;; amdgpu-corpus repo=pytorch/pytorch kind=compiled arch=gfx1100 opt=O3
	.text
	.amdgcn_target "amdgcn-amd-amdhsa--gfx1100"
	.amdhsa_code_object_version 6
	.p2align	2                               ; -- Begin function _ZN2at6native25elementwise_kernel_helperILb0EZZZNS0_12_GLOBAL__N_130modified_bessel_i1_kernel_cudaERNS_18TensorIteratorBaseEENKUlvE_clEvENKUlvE_clEvEUldE_NS0_6memory8policies11unroll_baseILi256ESt5arrayIPcLm2EE23TrivialOffsetCalculatorILi1EjESF_NS8_15LoadWithoutCastENS8_16StoreWithoutCastELi4ELi1EEEEEvT0_T1_
	.type	_ZN2at6native25elementwise_kernel_helperILb0EZZZNS0_12_GLOBAL__N_130modified_bessel_i1_kernel_cudaERNS_18TensorIteratorBaseEENKUlvE_clEvENKUlvE_clEvEUldE_NS0_6memory8policies11unroll_baseILi256ESt5arrayIPcLm2EE23TrivialOffsetCalculatorILi1EjESF_NS8_15LoadWithoutCastENS8_16StoreWithoutCastELi4ELi1EEEEEvT0_T1_,@function
_ZN2at6native25elementwise_kernel_helperILb0EZZZNS0_12_GLOBAL__N_130modified_bessel_i1_kernel_cudaERNS_18TensorIteratorBaseEENKUlvE_clEvENKUlvE_clEvEUldE_NS0_6memory8policies11unroll_baseILi256ESt5arrayIPcLm2EE23TrivialOffsetCalculatorILi1EjESF_NS8_15LoadWithoutCastENS8_16StoreWithoutCastELi4ELi1EEEEEvT0_T1_: ; @_ZN2at6native25elementwise_kernel_helperILb0EZZZNS0_12_GLOBAL__N_130modified_bessel_i1_kernel_cudaERNS_18TensorIteratorBaseEENKUlvE_clEvENKUlvE_clEvEUldE_NS0_6memory8policies11unroll_baseILi256ESt5arrayIPcLm2EE23TrivialOffsetCalculatorILi1EjESF_NS8_15LoadWithoutCastENS8_16StoreWithoutCastELi4ELi1EEEEEvT0_T1_
; %bb.0:
	s_waitcnt vmcnt(0) expcnt(0) lgkmcnt(0)
	v_and_b32_e32 v22, 0x3ff, v31
	v_mov_b32_e32 v18, 0
	v_mov_b32_e32 v19, 0
	s_lshl_b32 s1, s12, 10
	s_delay_alu instid0(VALU_DEP_3) | instskip(SKIP_4) | instid1(VALU_DEP_4)
	v_add_nc_u32_e32 v23, 0x100, v22
	v_cmp_lt_i32_e64 s0, v22, v4
	v_or_b32_e32 v13, s1, v22
	v_dual_mov_b32 v21, v19 :: v_dual_mov_b32 v20, v18
	v_mov_b32_e32 v5, v22
	s_and_saveexec_b32 s2, s0
	s_cbranch_execz .LBB0_2
; %bb.1:
	v_mov_b32_e32 v14, 0
	s_delay_alu instid0(VALU_DEP_1) | instskip(NEXT) | instid1(VALU_DEP_1)
	v_lshlrev_b64 v[5:6], 3, v[13:14]
	v_add_co_u32 v5, vcc_lo, v2, v5
	s_delay_alu instid0(VALU_DEP_2)
	v_add_co_ci_u32_e32 v6, vcc_lo, v3, v6, vcc_lo
	flat_load_b64 v[20:21], v[5:6]
	v_add_nc_u32_e32 v5, 0x100, v22
.LBB0_2:
	s_or_b32 exec_lo, exec_lo, s2
	s_delay_alu instid0(SALU_CYCLE_1) | instskip(NEXT) | instid1(VALU_DEP_1)
	s_mov_b32 s2, exec_lo
	v_cmpx_lt_i32_e64 v5, v4
	s_cbranch_execz .LBB0_4
; %bb.3:
	v_dual_mov_b32 v7, 0 :: v_dual_add_nc_u32 v6, s1, v5
	v_add_nc_u32_e32 v5, 0x100, v5
	s_delay_alu instid0(VALU_DEP_2) | instskip(NEXT) | instid1(VALU_DEP_1)
	v_lshlrev_b64 v[6:7], 3, v[6:7]
	v_add_co_u32 v6, vcc_lo, v2, v6
	s_delay_alu instid0(VALU_DEP_2)
	v_add_co_ci_u32_e32 v7, vcc_lo, v3, v7, vcc_lo
	flat_load_b64 v[18:19], v[6:7]
.LBB0_4:
	s_or_b32 exec_lo, exec_lo, s2
	v_mov_b32_e32 v14, 0
	v_mov_b32_e32 v15, 0
	s_mov_b32 s2, exec_lo
	s_delay_alu instid0(VALU_DEP_1)
	v_dual_mov_b32 v17, v15 :: v_dual_mov_b32 v16, v14
	v_cmpx_lt_i32_e64 v5, v4
	s_cbranch_execnz .LBB0_8
; %bb.5:
	s_or_b32 exec_lo, exec_lo, s2
	s_delay_alu instid0(SALU_CYCLE_1)
	s_mov_b32 s2, exec_lo
	v_cmpx_lt_i32_e64 v5, v4
	s_cbranch_execnz .LBB0_9
.LBB0_6:
	s_or_b32 exec_lo, exec_lo, s2
                                        ; implicit-def: $vgpr5_vgpr6_vgpr7_vgpr8_vgpr9_vgpr10_vgpr11_vgpr12
	s_and_saveexec_b32 s2, s0
	s_cbranch_execnz .LBB0_10
.LBB0_7:
	s_or_b32 exec_lo, exec_lo, s2
	s_delay_alu instid0(SALU_CYCLE_1)
	s_mov_b32 s2, exec_lo
	v_cmpx_lt_i32_e64 v23, v4
	s_cbranch_execnz .LBB0_23
	s_branch .LBB0_36
.LBB0_8:
	v_dual_mov_b32 v7, 0 :: v_dual_add_nc_u32 v6, s1, v5
	v_add_nc_u32_e32 v5, 0x100, v5
	s_delay_alu instid0(VALU_DEP_2) | instskip(NEXT) | instid1(VALU_DEP_1)
	v_lshlrev_b64 v[6:7], 3, v[6:7]
	v_add_co_u32 v6, vcc_lo, v2, v6
	s_delay_alu instid0(VALU_DEP_2) | instskip(SKIP_2) | instid1(SALU_CYCLE_1)
	v_add_co_ci_u32_e32 v7, vcc_lo, v3, v7, vcc_lo
	flat_load_b64 v[16:17], v[6:7]
	s_or_b32 exec_lo, exec_lo, s2
	s_mov_b32 s2, exec_lo
	v_cmpx_lt_i32_e64 v5, v4
	s_cbranch_execz .LBB0_6
.LBB0_9:
	v_dual_mov_b32 v6, 0 :: v_dual_add_nc_u32 v5, s1, v5
	s_delay_alu instid0(VALU_DEP_1) | instskip(NEXT) | instid1(VALU_DEP_1)
	v_lshlrev_b64 v[5:6], 3, v[5:6]
	v_add_co_u32 v2, vcc_lo, v2, v5
	s_delay_alu instid0(VALU_DEP_2)
	v_add_co_ci_u32_e32 v3, vcc_lo, v3, v6, vcc_lo
	flat_load_b64 v[14:15], v[2:3]
	s_or_b32 exec_lo, exec_lo, s2
                                        ; implicit-def: $vgpr5_vgpr6_vgpr7_vgpr8_vgpr9_vgpr10_vgpr11_vgpr12
	s_and_saveexec_b32 s2, s0
	s_cbranch_execz .LBB0_7
.LBB0_10:
	s_waitcnt vmcnt(0) lgkmcnt(0)
	v_cmp_ge_f64_e64 s3, 0x40200000, |v[20:21]|
                                        ; implicit-def: $vgpr5_vgpr6
	s_delay_alu instid0(VALU_DEP_1) | instskip(NEXT) | instid1(SALU_CYCLE_1)
	s_and_saveexec_b32 s4, s3
	s_xor_b32 s3, exec_lo, s4
	s_cbranch_execz .LBB0_16
; %bb.11:
	v_fma_f64 v[2:3], |v[20:21]|, 0.5, -2.0
	s_mov_b32 s4, 0xc38a0576
	s_mov_b32 s5, 0xbc7857d0
	;; [unrolled: 1-line block ×4, first 2 shown]
	s_delay_alu instid0(VALU_DEP_1) | instid1(SALU_CYCLE_1)
	v_fma_f64 v[5:6], v[2:3], s[6:7], s[4:5]
	s_mov_b32 s7, 0xbc499f2a
	s_mov_b32 s4, 0xe593bfac
	s_mov_b32 s5, 0x3ca663e3
	s_delay_alu instid0(VALU_DEP_1) | instskip(NEXT) | instid1(VALU_DEP_1)
	v_fma_f64 v[7:8], v[2:3], v[5:6], s[6:7]
	v_add_f64 v[7:8], v[7:8], s[4:5]
	s_mov_b32 s4, 0x7e0d1573
	s_mov_b32 s5, 0xbcd3eaaa
	s_delay_alu instid0(VALU_DEP_1) | instskip(NEXT) | instid1(VALU_DEP_1)
	v_fma_f64 v[5:6], v[2:3], v[7:8], -v[5:6]
	v_add_f64 v[5:6], v[5:6], s[4:5]
	s_mov_b32 s4, 0x615290c
	s_mov_b32 s5, 0x3d011d7f
	s_delay_alu instid0(VALU_DEP_1) | instskip(NEXT) | instid1(VALU_DEP_1)
	v_fma_f64 v[7:8], v[2:3], v[5:6], -v[7:8]
	;; [unrolled: 5-line block ×26, first 2 shown]
                                        ; implicit-def: $vgpr5_vgpr6
	v_add_f64 v[2:3], v[2:3], s[4:5]
	s_mov_b32 s4, exec_lo
	s_delay_alu instid0(VALU_DEP_1)
	v_add_f64 v[2:3], v[2:3], -v[7:8]
	v_cmpx_ngt_f64_e32 0, v[20:21]
	s_xor_b32 s4, exec_lo, s4
	s_cbranch_execz .LBB0_13
; %bb.12:
	s_mov_b32 s6, 0x652b82fe
	s_mov_b32 s7, 0x3ff71547
	s_mov_b32 s8, 0x6a5dcb37
	v_mul_f64 v[5:6], |v[20:21]|, s[6:7]
	s_mov_b32 s6, 0xfefa39ef
	s_mov_b32 s7, 0xbfe62e42
	;; [unrolled: 1-line block ×3, first 2 shown]
	s_delay_alu instid0(VALU_DEP_3) | instskip(SKIP_1) | instid1(VALU_DEP_3)
	v_mul_f64 v[2:3], v[2:3], 0.5
	v_cmp_nlt_f64_e64 vcc_lo, 0x40900000, |v[20:21]|
	v_rndne_f64_e32 v[5:6], v[5:6]
	s_delay_alu instid0(VALU_DEP_3) | instskip(NEXT) | instid1(VALU_DEP_2)
	v_mul_f64 v[2:3], |v[20:21]|, v[2:3]
	v_fma_f64 v[7:8], v[5:6], s[6:7], |v[20:21]|
	s_mov_b32 s6, 0x3b39803f
	s_mov_b32 s7, 0xbc7abc9e
	v_cvt_i32_f64_e32 v11, v[5:6]
                                        ; implicit-def: $vgpr20_vgpr21
	s_delay_alu instid0(VALU_DEP_2)
	v_fma_f64 v[7:8], v[5:6], s[6:7], v[7:8]
	s_mov_b32 s6, 0xfca7ab0c
	s_mov_b32 s7, 0x3e928af3
	s_delay_alu instid0(VALU_DEP_1) | instid1(SALU_CYCLE_1)
	v_fma_f64 v[9:10], v[7:8], s[8:9], s[6:7]
	s_mov_b32 s6, 0x623fde64
	s_mov_b32 s7, 0x3ec71dee
	s_delay_alu instid0(VALU_DEP_1) | instid1(SALU_CYCLE_1)
	;; [unrolled: 4-line block ×9, first 2 shown]
	v_fma_f64 v[9:10], v[7:8], v[9:10], s[6:7]
	s_delay_alu instid0(VALU_DEP_1) | instskip(NEXT) | instid1(VALU_DEP_1)
	v_fma_f64 v[9:10], v[7:8], v[9:10], 1.0
	v_fma_f64 v[5:6], v[7:8], v[9:10], 1.0
	s_delay_alu instid0(VALU_DEP_1) | instskip(NEXT) | instid1(VALU_DEP_1)
	v_ldexp_f64 v[5:6], v[5:6], v11
	v_cndmask_b32_e32 v6, 0x7ff00000, v6, vcc_lo
	s_delay_alu instid0(VALU_DEP_2) | instskip(NEXT) | instid1(VALU_DEP_1)
	v_cndmask_b32_e32 v5, 0, v5, vcc_lo
	v_mul_f64 v[5:6], v[5:6], v[2:3]
                                        ; implicit-def: $vgpr2_vgpr3
.LBB0_13:
	s_and_not1_saveexec_b32 s4, s4
	s_cbranch_execz .LBB0_15
; %bb.14:
	s_mov_b32 s6, 0x652b82fe
	s_mov_b32 s7, 0x3ff71547
	;; [unrolled: 1-line block ×3, first 2 shown]
	v_mul_f64 v[5:6], |v[20:21]|, s[6:7]
	s_mov_b32 s6, 0xfefa39ef
	s_mov_b32 s7, 0xbfe62e42
	;; [unrolled: 1-line block ×3, first 2 shown]
	s_delay_alu instid0(VALU_DEP_3) | instskip(SKIP_1) | instid1(VALU_DEP_3)
	v_mul_f64 v[2:3], v[2:3], -0.5
	v_cmp_nlt_f64_e64 vcc_lo, 0x40900000, |v[20:21]|
	v_rndne_f64_e32 v[5:6], v[5:6]
	s_delay_alu instid0(VALU_DEP_3) | instskip(NEXT) | instid1(VALU_DEP_2)
	v_mul_f64 v[2:3], |v[20:21]|, v[2:3]
	v_fma_f64 v[7:8], v[5:6], s[6:7], |v[20:21]|
	s_mov_b32 s6, 0x3b39803f
	s_mov_b32 s7, 0xbc7abc9e
	v_cvt_i32_f64_e32 v11, v[5:6]
	s_delay_alu instid0(VALU_DEP_2)
	v_fma_f64 v[7:8], v[5:6], s[6:7], v[7:8]
	s_mov_b32 s6, 0xfca7ab0c
	s_mov_b32 s7, 0x3e928af3
	s_delay_alu instid0(VALU_DEP_1) | instid1(SALU_CYCLE_1)
	v_fma_f64 v[9:10], v[7:8], s[8:9], s[6:7]
	s_mov_b32 s6, 0x623fde64
	s_mov_b32 s7, 0x3ec71dee
	s_delay_alu instid0(VALU_DEP_1) | instid1(SALU_CYCLE_1)
	;; [unrolled: 4-line block ×9, first 2 shown]
	v_fma_f64 v[9:10], v[7:8], v[9:10], s[6:7]
	s_delay_alu instid0(VALU_DEP_1) | instskip(NEXT) | instid1(VALU_DEP_1)
	v_fma_f64 v[9:10], v[7:8], v[9:10], 1.0
	v_fma_f64 v[5:6], v[7:8], v[9:10], 1.0
	s_delay_alu instid0(VALU_DEP_1) | instskip(NEXT) | instid1(VALU_DEP_1)
	v_ldexp_f64 v[5:6], v[5:6], v11
	v_cndmask_b32_e32 v6, 0x7ff00000, v6, vcc_lo
	s_delay_alu instid0(VALU_DEP_2) | instskip(NEXT) | instid1(VALU_DEP_1)
	v_cndmask_b32_e32 v5, 0, v5, vcc_lo
	v_mul_f64 v[5:6], v[5:6], v[2:3]
.LBB0_15:
	s_or_b32 exec_lo, exec_lo, s4
                                        ; implicit-def: $vgpr20_vgpr21
.LBB0_16:
	s_and_not1_saveexec_b32 s3, s3
	s_cbranch_execz .LBB0_22
; %bb.17:
	v_dual_mov_b32 v2, v20 :: v_dual_and_b32 v3, 0x7fffffff, v21
	s_mov_b32 s4, 0xea87b950
	s_mov_b32 s5, 0x3c545b8a
	;; [unrolled: 1-line block ×4, first 2 shown]
	v_div_scale_f64 v[5:6], null, v[2:3], v[2:3], 0x40400000
	v_div_scale_f64 v[2:3], vcc_lo, 0x40400000, v[2:3], 0x40400000
	s_mov_b32 s8, 0x2e9e5443
	s_mov_b32 s9, 0xbe90dbfd
	s_delay_alu instid0(VALU_DEP_2) | instskip(SKIP_2) | instid1(VALU_DEP_1)
	v_rcp_f64_e32 v[7:8], v[5:6]
	s_waitcnt_depctr 0xfff
	v_fma_f64 v[9:10], -v[5:6], v[7:8], 1.0
	v_fma_f64 v[7:8], v[7:8], v[9:10], v[7:8]
	s_delay_alu instid0(VALU_DEP_1) | instskip(NEXT) | instid1(VALU_DEP_1)
	v_fma_f64 v[9:10], -v[5:6], v[7:8], 1.0
	v_fma_f64 v[7:8], v[7:8], v[9:10], v[7:8]
	s_delay_alu instid0(VALU_DEP_1) | instskip(NEXT) | instid1(VALU_DEP_1)
	v_mul_f64 v[9:10], v[2:3], v[7:8]
	v_fma_f64 v[2:3], -v[5:6], v[9:10], v[2:3]
	s_delay_alu instid0(VALU_DEP_1) | instskip(NEXT) | instid1(VALU_DEP_1)
	v_div_fmas_f64 v[2:3], v[2:3], v[7:8], v[9:10]
	v_div_fixup_f64 v[2:3], v[2:3], |v[20:21]|, 0x40400000
	s_delay_alu instid0(VALU_DEP_1) | instskip(NEXT) | instid1(VALU_DEP_1)
	v_add_f64 v[2:3], v[2:3], -2.0
	v_fma_f64 v[5:6], v[2:3], s[6:7], s[4:5]
	s_mov_b32 s7, 0xbc61556d
	s_mov_b32 s4, 0xb2532277
	;; [unrolled: 1-line block ×3, first 2 shown]
	s_delay_alu instid0(VALU_DEP_1) | instskip(SKIP_2) | instid1(VALU_DEP_1)
	v_fma_f64 v[7:8], v[2:3], v[5:6], s[6:7]
	s_mov_b32 s6, 0x9ad53528
	s_mov_b32 s7, 0xbe30790b
	v_add_f64 v[7:8], v[7:8], s[4:5]
	s_mov_b32 s4, 0x9c773320
	s_mov_b32 s5, 0xbc82806c
	s_delay_alu instid0(VALU_DEP_1) | instskip(NEXT) | instid1(VALU_DEP_1)
	v_fma_f64 v[5:6], v[2:3], v[7:8], -v[5:6]
	v_add_f64 v[5:6], v[5:6], s[4:5]
	s_mov_b32 s4, 0xfceb588a
	s_mov_b32 s5, 0x3cb55915
	s_delay_alu instid0(VALU_DEP_1) | instskip(NEXT) | instid1(VALU_DEP_1)
	v_fma_f64 v[7:8], v[2:3], v[5:6], -v[7:8]
	;; [unrolled: 5-line block ×15, first 2 shown]
	v_add_f64 v[5:6], v[5:6], s[4:5]
	s_mov_b32 s4, 0x652b82fe
	s_mov_b32 s5, 0x3ff71547
	s_delay_alu instid0(SALU_CYCLE_1) | instskip(SKIP_2) | instid1(VALU_DEP_2)
	v_mul_f64 v[9:10], |v[20:21]|, s[4:5]
	s_mov_b32 s4, 0xfefa39ef
	s_mov_b32 s5, 0xbfe62e42
	v_fma_f64 v[7:8], v[2:3], v[5:6], -v[7:8]
	s_delay_alu instid0(VALU_DEP_2) | instskip(NEXT) | instid1(VALU_DEP_2)
	v_rndne_f64_e32 v[9:10], v[9:10]
	v_add_f64 v[7:8], v[7:8], s[6:7]
	s_mov_b32 s6, 0x94bb46c1
	s_mov_b32 s7, 0xbe5c4153
	s_delay_alu instid0(VALU_DEP_2) | instskip(SKIP_2) | instid1(VALU_DEP_2)
	v_fma_f64 v[11:12], v[9:10], s[4:5], |v[20:21]|
	s_mov_b32 s4, 0x3b39803f
	s_mov_b32 s5, 0xbc7abc9e
	v_fma_f64 v[5:6], v[2:3], v[7:8], -v[5:6]
	s_delay_alu instid0(VALU_DEP_2) | instskip(SKIP_3) | instid1(VALU_DEP_3)
	v_fma_f64 v[11:12], v[9:10], s[4:5], v[11:12]
	s_mov_b32 s4, 0xfca7ab0c
	s_mov_b32 s5, 0x3e928af3
	v_cvt_i32_f64_e32 v9, v[9:10]
	v_add_f64 v[5:6], v[5:6], s[6:7]
	s_mov_b32 s6, 0x6a5dcb37
	s_mov_b32 s7, 0x3e5ade15
	s_delay_alu instid0(VALU_DEP_3) | instid1(SALU_CYCLE_1)
	v_fma_f64 v[24:25], v[11:12], s[6:7], s[4:5]
	s_mov_b32 s4, 0x623fde64
	s_mov_b32 s5, 0x3ec71dee
	;; [unrolled: 1-line block ×4, first 2 shown]
	s_delay_alu instid0(VALU_DEP_2) | instskip(NEXT) | instid1(VALU_DEP_2)
	v_fma_f64 v[7:8], v[2:3], v[5:6], -v[7:8]
	v_fma_f64 v[24:25], v[11:12], v[24:25], s[4:5]
	s_mov_b32 s4, 0x7c89e6b0
	s_mov_b32 s5, 0x3efa0199
	s_delay_alu instid0(VALU_DEP_2) | instskip(NEXT) | instid1(VALU_DEP_2)
	v_add_f64 v[7:8], v[7:8], s[8:9]
	v_fma_f64 v[24:25], v[11:12], v[24:25], s[4:5]
	s_mov_b32 s4, 0x14761f6e
	s_mov_b32 s5, 0x3f2a01a0
	s_delay_alu instid0(VALU_DEP_2) | instskip(NEXT) | instid1(VALU_DEP_2)
	v_fma_f64 v[5:6], v[2:3], v[7:8], -v[5:6]
	v_fma_f64 v[24:25], v[11:12], v[24:25], s[4:5]
	s_mov_b32 s4, 0x1852b7b0
	s_mov_b32 s5, 0x3f56c16c
	s_delay_alu instid0(VALU_DEP_2) | instskip(SKIP_2) | instid1(VALU_DEP_2)
	v_add_f64 v[5:6], v[5:6], s[6:7]
	s_mov_b32 s6, 0x804aa9a6
	s_mov_b32 s7, 0xbf1cfd7f
	v_fma_f64 v[24:25], v[11:12], v[24:25], s[4:5]
	s_mov_b32 s4, 0x11122322
	s_mov_b32 s5, 0x3f811111
	s_delay_alu instid0(VALU_DEP_2) | instskip(NEXT) | instid1(VALU_DEP_2)
	v_fma_f64 v[7:8], v[2:3], v[5:6], -v[7:8]
	v_fma_f64 v[24:25], v[11:12], v[24:25], s[4:5]
	s_mov_b32 s4, 0x555502a1
	s_mov_b32 s5, 0x3fa55555
	s_delay_alu instid0(VALU_DEP_2) | instskip(SKIP_2) | instid1(VALU_DEP_2)
	v_add_f64 v[7:8], v[7:8], s[6:7]
	s_mov_b32 s6, 0x53fcdb4c
	s_mov_b32 s7, 0xbf83fda0
	v_fma_f64 v[24:25], v[11:12], v[24:25], s[4:5]
	s_mov_b32 s4, 0x55555511
	s_mov_b32 s5, 0x3fc55555
	s_delay_alu instid0(VALU_DEP_2) | instskip(NEXT) | instid1(VALU_DEP_2)
	v_fma_f64 v[5:6], v[2:3], v[7:8], -v[5:6]
	v_fma_f64 v[24:25], v[11:12], v[24:25], s[4:5]
	s_mov_b32 s4, 11
	s_mov_b32 s5, 0x3fe00000
	s_delay_alu instid0(VALU_DEP_2) | instskip(SKIP_2) | instid1(VALU_DEP_1)
	v_add_f64 v[5:6], v[5:6], s[6:7]
	s_mov_b32 s6, 0xb55b1514
	s_mov_b32 s7, 0x3fe8ea18
	v_fma_f64 v[2:3], v[2:3], v[5:6], -v[7:8]
	s_delay_alu instid0(VALU_DEP_3) | instskip(SKIP_1) | instid1(VALU_DEP_2)
	v_fma_f64 v[5:6], v[11:12], v[24:25], s[4:5]
	s_mov_b32 s4, exec_lo
	v_add_f64 v[2:3], v[2:3], s[6:7]
	s_delay_alu instid0(VALU_DEP_2) | instskip(NEXT) | instid1(VALU_DEP_2)
	v_fma_f64 v[5:6], v[11:12], v[5:6], 1.0
	v_add_f64 v[2:3], v[2:3], -v[7:8]
	s_delay_alu instid0(VALU_DEP_2) | instskip(NEXT) | instid1(VALU_DEP_2)
	v_fma_f64 v[7:8], v[11:12], v[5:6], 1.0
                                        ; implicit-def: $vgpr5_vgpr6
	v_mul_f64 v[2:3], v[2:3], 0.5
	v_cmpx_ngt_f64_e32 0, v[20:21]
	s_xor_b32 s4, exec_lo, s4
	s_cbranch_execz .LBB0_19
; %bb.18:
	v_cmp_gt_f64_e64 s5, 0x10000000, |v[20:21]|
	s_delay_alu instid0(VALU_DEP_4) | instskip(SKIP_1) | instid1(VALU_DEP_3)
	v_ldexp_f64 v[7:8], v[7:8], v9
	v_cmp_nlt_f64_e64 vcc_lo, 0x40900000, |v[20:21]|
	v_cndmask_b32_e64 v5, 0, 1, s5
	s_delay_alu instid0(VALU_DEP_1) | instskip(NEXT) | instid1(VALU_DEP_1)
	v_dual_cndmask_b32 v8, 0x7ff00000, v8 :: v_dual_lshlrev_b32 v5, 8, v5
	v_ldexp_f64 v[5:6], |v[20:21]|, v5
	s_delay_alu instid0(VALU_DEP_1) | instskip(SKIP_3) | instid1(VALU_DEP_1)
	v_rsq_f64_e32 v[10:11], v[5:6]
	s_waitcnt_depctr 0xfff
	v_mul_f64 v[24:25], v[5:6], v[10:11]
	v_mul_f64 v[10:11], v[10:11], 0.5
	v_fma_f64 v[26:27], -v[10:11], v[24:25], 0.5
	s_delay_alu instid0(VALU_DEP_1) | instskip(SKIP_1) | instid1(VALU_DEP_2)
	v_fma_f64 v[24:25], v[24:25], v[26:27], v[24:25]
	v_fma_f64 v[10:11], v[10:11], v[26:27], v[10:11]
	v_fma_f64 v[26:27], -v[24:25], v[24:25], v[5:6]
	s_delay_alu instid0(VALU_DEP_1) | instskip(NEXT) | instid1(VALU_DEP_1)
	v_fma_f64 v[24:25], v[26:27], v[10:11], v[24:25]
	v_fma_f64 v[26:27], -v[24:25], v[24:25], v[5:6]
	s_delay_alu instid0(VALU_DEP_1) | instskip(SKIP_1) | instid1(VALU_DEP_1)
	v_fma_f64 v[9:10], v[26:27], v[10:11], v[24:25]
	v_cndmask_b32_e64 v11, 0, 0xffffff80, s5
	v_ldexp_f64 v[9:10], v[9:10], v11
	v_cndmask_b32_e32 v7, 0, v7, vcc_lo
	v_cmp_class_f64_e64 vcc_lo, v[5:6], 0x260
	s_delay_alu instid0(VALU_DEP_3) | instskip(NEXT) | instid1(VALU_DEP_3)
	v_cndmask_b32_e32 v6, v10, v6, vcc_lo
	v_mul_f64 v[2:3], v[7:8], v[2:3]
	v_cndmask_b32_e32 v5, v9, v5, vcc_lo
	s_delay_alu instid0(VALU_DEP_1) | instskip(NEXT) | instid1(VALU_DEP_1)
	v_div_scale_f64 v[7:8], null, v[5:6], v[5:6], v[2:3]
	v_rcp_f64_e32 v[9:10], v[7:8]
	s_waitcnt_depctr 0xfff
	v_fma_f64 v[11:12], -v[7:8], v[9:10], 1.0
	s_delay_alu instid0(VALU_DEP_1) | instskip(NEXT) | instid1(VALU_DEP_1)
	v_fma_f64 v[9:10], v[9:10], v[11:12], v[9:10]
	v_fma_f64 v[11:12], -v[7:8], v[9:10], 1.0
	s_delay_alu instid0(VALU_DEP_1) | instskip(SKIP_1) | instid1(VALU_DEP_1)
	v_fma_f64 v[9:10], v[9:10], v[11:12], v[9:10]
	v_div_scale_f64 v[11:12], vcc_lo, v[2:3], v[5:6], v[2:3]
	v_mul_f64 v[20:21], v[11:12], v[9:10]
	s_delay_alu instid0(VALU_DEP_1) | instskip(NEXT) | instid1(VALU_DEP_1)
	v_fma_f64 v[7:8], -v[7:8], v[20:21], v[11:12]
	v_div_fmas_f64 v[7:8], v[7:8], v[9:10], v[20:21]
                                        ; implicit-def: $vgpr20_vgpr21
                                        ; implicit-def: $vgpr9
	s_delay_alu instid0(VALU_DEP_1)
	v_div_fixup_f64 v[5:6], v[7:8], v[5:6], v[2:3]
                                        ; implicit-def: $vgpr7_vgpr8
                                        ; implicit-def: $vgpr2_vgpr3
.LBB0_19:
	s_and_not1_saveexec_b32 s4, s4
	s_cbranch_execz .LBB0_21
; %bb.20:
	v_cmp_gt_f64_e64 s5, 0x10000000, |v[20:21]|
	s_delay_alu instid0(VALU_DEP_4) | instskip(SKIP_1) | instid1(VALU_DEP_3)
	v_ldexp_f64 v[7:8], -v[7:8], v9
	v_cmp_nlt_f64_e64 vcc_lo, 0x40900000, |v[20:21]|
	v_cndmask_b32_e64 v5, 0, 1, s5
	s_delay_alu instid0(VALU_DEP_1) | instskip(NEXT) | instid1(VALU_DEP_1)
	v_dual_cndmask_b32 v8, 0xfff00000, v8 :: v_dual_lshlrev_b32 v5, 8, v5
	v_ldexp_f64 v[5:6], |v[20:21]|, v5
	s_delay_alu instid0(VALU_DEP_1) | instskip(SKIP_3) | instid1(VALU_DEP_1)
	v_rsq_f64_e32 v[10:11], v[5:6]
	s_waitcnt_depctr 0xfff
	v_mul_f64 v[24:25], v[5:6], v[10:11]
	v_mul_f64 v[10:11], v[10:11], 0.5
	v_fma_f64 v[26:27], -v[10:11], v[24:25], 0.5
	s_delay_alu instid0(VALU_DEP_1) | instskip(SKIP_1) | instid1(VALU_DEP_2)
	v_fma_f64 v[24:25], v[24:25], v[26:27], v[24:25]
	v_fma_f64 v[10:11], v[10:11], v[26:27], v[10:11]
	v_fma_f64 v[26:27], -v[24:25], v[24:25], v[5:6]
	s_delay_alu instid0(VALU_DEP_1) | instskip(NEXT) | instid1(VALU_DEP_1)
	v_fma_f64 v[24:25], v[26:27], v[10:11], v[24:25]
	v_fma_f64 v[26:27], -v[24:25], v[24:25], v[5:6]
	s_delay_alu instid0(VALU_DEP_1) | instskip(SKIP_1) | instid1(VALU_DEP_1)
	v_fma_f64 v[9:10], v[26:27], v[10:11], v[24:25]
	v_cndmask_b32_e64 v11, 0, 0xffffff80, s5
	v_ldexp_f64 v[9:10], v[9:10], v11
	v_cndmask_b32_e32 v7, 0, v7, vcc_lo
	v_cmp_class_f64_e64 vcc_lo, v[5:6], 0x260
	s_delay_alu instid0(VALU_DEP_3) | instskip(NEXT) | instid1(VALU_DEP_3)
	v_cndmask_b32_e32 v6, v10, v6, vcc_lo
	v_mul_f64 v[2:3], v[7:8], v[2:3]
	v_cndmask_b32_e32 v5, v9, v5, vcc_lo
	s_delay_alu instid0(VALU_DEP_1) | instskip(NEXT) | instid1(VALU_DEP_1)
	v_div_scale_f64 v[7:8], null, v[5:6], v[5:6], v[2:3]
	v_rcp_f64_e32 v[9:10], v[7:8]
	s_waitcnt_depctr 0xfff
	v_fma_f64 v[11:12], -v[7:8], v[9:10], 1.0
	s_delay_alu instid0(VALU_DEP_1) | instskip(NEXT) | instid1(VALU_DEP_1)
	v_fma_f64 v[9:10], v[9:10], v[11:12], v[9:10]
	v_fma_f64 v[11:12], -v[7:8], v[9:10], 1.0
	s_delay_alu instid0(VALU_DEP_1) | instskip(SKIP_1) | instid1(VALU_DEP_1)
	v_fma_f64 v[9:10], v[9:10], v[11:12], v[9:10]
	v_div_scale_f64 v[11:12], vcc_lo, v[2:3], v[5:6], v[2:3]
	v_mul_f64 v[20:21], v[11:12], v[9:10]
	s_delay_alu instid0(VALU_DEP_1) | instskip(NEXT) | instid1(VALU_DEP_1)
	v_fma_f64 v[7:8], -v[7:8], v[20:21], v[11:12]
	v_div_fmas_f64 v[7:8], v[7:8], v[9:10], v[20:21]
	s_delay_alu instid0(VALU_DEP_1)
	v_div_fixup_f64 v[5:6], v[7:8], v[5:6], v[2:3]
.LBB0_21:
	s_or_b32 exec_lo, exec_lo, s4
.LBB0_22:
	s_delay_alu instid0(SALU_CYCLE_1) | instskip(NEXT) | instid1(SALU_CYCLE_1)
	s_or_b32 exec_lo, exec_lo, s3
	s_or_b32 exec_lo, exec_lo, s2
	s_delay_alu instid0(SALU_CYCLE_1)
	s_mov_b32 s2, exec_lo
	v_cmpx_lt_i32_e64 v23, v4
	s_cbranch_execz .LBB0_36
.LBB0_23:
	s_waitcnt vmcnt(0) lgkmcnt(0)
	v_cmp_ge_f64_e64 s3, 0x40200000, |v[18:19]|
	s_delay_alu instid0(VALU_DEP_1) | instskip(NEXT) | instid1(SALU_CYCLE_1)
	s_and_saveexec_b32 s4, s3
	s_xor_b32 s3, exec_lo, s4
	s_cbranch_execz .LBB0_29
; %bb.24:
	v_fma_f64 v[2:3], |v[18:19]|, 0.5, -2.0
	s_mov_b32 s4, 0xc38a0576
	s_mov_b32 s5, 0xbc7857d0
	;; [unrolled: 1-line block ×4, first 2 shown]
	s_delay_alu instid0(VALU_DEP_1) | instid1(SALU_CYCLE_1)
	v_fma_f64 v[7:8], v[2:3], s[6:7], s[4:5]
	s_mov_b32 s7, 0xbc499f2a
	s_mov_b32 s4, 0xe593bfac
	;; [unrolled: 1-line block ×3, first 2 shown]
	s_delay_alu instid0(VALU_DEP_1) | instskip(NEXT) | instid1(VALU_DEP_1)
	v_fma_f64 v[20:21], v[2:3], v[7:8], s[6:7]
	v_add_f64 v[20:21], v[20:21], s[4:5]
	s_mov_b32 s4, 0x7e0d1573
	s_mov_b32 s5, 0xbcd3eaaa
	s_delay_alu instid0(VALU_DEP_1) | instskip(NEXT) | instid1(VALU_DEP_1)
	v_fma_f64 v[7:8], v[2:3], v[20:21], -v[7:8]
	v_add_f64 v[7:8], v[7:8], s[4:5]
	s_mov_b32 s4, 0x615290c
	s_mov_b32 s5, 0x3d011d7f
	s_delay_alu instid0(VALU_DEP_1) | instskip(NEXT) | instid1(VALU_DEP_1)
	v_fma_f64 v[20:21], v[2:3], v[7:8], -v[20:21]
	;; [unrolled: 5-line block ×26, first 2 shown]
	v_add_f64 v[2:3], v[2:3], s[4:5]
	s_mov_b32 s4, exec_lo
	s_delay_alu instid0(VALU_DEP_1)
	v_add_f64 v[2:3], v[2:3], -v[20:21]
	v_cmpx_ngt_f64_e32 0, v[18:19]
	s_xor_b32 s4, exec_lo, s4
	s_cbranch_execz .LBB0_26
; %bb.25:
	s_mov_b32 s6, 0x652b82fe
	s_mov_b32 s7, 0x3ff71547
	;; [unrolled: 1-line block ×3, first 2 shown]
	v_mul_f64 v[7:8], |v[18:19]|, s[6:7]
	s_mov_b32 s6, 0xfefa39ef
	s_mov_b32 s7, 0xbfe62e42
	;; [unrolled: 1-line block ×3, first 2 shown]
	s_delay_alu instid0(VALU_DEP_3) | instskip(SKIP_1) | instid1(VALU_DEP_3)
	v_mul_f64 v[2:3], v[2:3], 0.5
	v_cmp_nlt_f64_e64 vcc_lo, 0x40900000, |v[18:19]|
	v_rndne_f64_e32 v[7:8], v[7:8]
	s_delay_alu instid0(VALU_DEP_3) | instskip(NEXT) | instid1(VALU_DEP_2)
	v_mul_f64 v[2:3], |v[18:19]|, v[2:3]
	v_fma_f64 v[20:21], v[7:8], s[6:7], |v[18:19]|
	s_mov_b32 s6, 0x3b39803f
	s_mov_b32 s7, 0xbc7abc9e
	v_cvt_i32_f64_e32 v26, v[7:8]
                                        ; implicit-def: $vgpr18_vgpr19
	s_delay_alu instid0(VALU_DEP_2)
	v_fma_f64 v[20:21], v[7:8], s[6:7], v[20:21]
	s_mov_b32 s6, 0xfca7ab0c
	s_mov_b32 s7, 0x3e928af3
	s_delay_alu instid0(VALU_DEP_1) | instid1(SALU_CYCLE_1)
	v_fma_f64 v[24:25], v[20:21], s[8:9], s[6:7]
	s_mov_b32 s6, 0x623fde64
	s_mov_b32 s7, 0x3ec71dee
	s_delay_alu instid0(VALU_DEP_1) | instid1(SALU_CYCLE_1)
	;; [unrolled: 4-line block ×9, first 2 shown]
	v_fma_f64 v[24:25], v[20:21], v[24:25], s[6:7]
	s_delay_alu instid0(VALU_DEP_1) | instskip(NEXT) | instid1(VALU_DEP_1)
	v_fma_f64 v[24:25], v[20:21], v[24:25], 1.0
	v_fma_f64 v[7:8], v[20:21], v[24:25], 1.0
	s_delay_alu instid0(VALU_DEP_1) | instskip(NEXT) | instid1(VALU_DEP_1)
	v_ldexp_f64 v[7:8], v[7:8], v26
	v_cndmask_b32_e32 v8, 0x7ff00000, v8, vcc_lo
	s_delay_alu instid0(VALU_DEP_2) | instskip(NEXT) | instid1(VALU_DEP_1)
	v_cndmask_b32_e32 v7, 0, v7, vcc_lo
	v_mul_f64 v[7:8], v[7:8], v[2:3]
                                        ; implicit-def: $vgpr2_vgpr3
.LBB0_26:
	s_and_not1_saveexec_b32 s4, s4
	s_cbranch_execz .LBB0_28
; %bb.27:
	s_mov_b32 s6, 0x652b82fe
	s_mov_b32 s7, 0x3ff71547
	;; [unrolled: 1-line block ×3, first 2 shown]
	v_mul_f64 v[7:8], |v[18:19]|, s[6:7]
	s_mov_b32 s6, 0xfefa39ef
	s_mov_b32 s7, 0xbfe62e42
	;; [unrolled: 1-line block ×3, first 2 shown]
	s_delay_alu instid0(VALU_DEP_3) | instskip(SKIP_1) | instid1(VALU_DEP_3)
	v_mul_f64 v[2:3], v[2:3], -0.5
	v_cmp_nlt_f64_e64 vcc_lo, 0x40900000, |v[18:19]|
	v_rndne_f64_e32 v[7:8], v[7:8]
	s_delay_alu instid0(VALU_DEP_3) | instskip(NEXT) | instid1(VALU_DEP_2)
	v_mul_f64 v[2:3], |v[18:19]|, v[2:3]
	v_fma_f64 v[20:21], v[7:8], s[6:7], |v[18:19]|
	s_mov_b32 s6, 0x3b39803f
	s_mov_b32 s7, 0xbc7abc9e
	v_cvt_i32_f64_e32 v26, v[7:8]
	s_delay_alu instid0(VALU_DEP_2)
	v_fma_f64 v[20:21], v[7:8], s[6:7], v[20:21]
	s_mov_b32 s6, 0xfca7ab0c
	s_mov_b32 s7, 0x3e928af3
	s_delay_alu instid0(VALU_DEP_1) | instid1(SALU_CYCLE_1)
	v_fma_f64 v[24:25], v[20:21], s[8:9], s[6:7]
	s_mov_b32 s6, 0x623fde64
	s_mov_b32 s7, 0x3ec71dee
	s_delay_alu instid0(VALU_DEP_1) | instid1(SALU_CYCLE_1)
	;; [unrolled: 4-line block ×9, first 2 shown]
	v_fma_f64 v[24:25], v[20:21], v[24:25], s[6:7]
	s_delay_alu instid0(VALU_DEP_1) | instskip(NEXT) | instid1(VALU_DEP_1)
	v_fma_f64 v[24:25], v[20:21], v[24:25], 1.0
	v_fma_f64 v[7:8], v[20:21], v[24:25], 1.0
	s_delay_alu instid0(VALU_DEP_1) | instskip(NEXT) | instid1(VALU_DEP_1)
	v_ldexp_f64 v[7:8], v[7:8], v26
	v_cndmask_b32_e32 v8, 0x7ff00000, v8, vcc_lo
	s_delay_alu instid0(VALU_DEP_2) | instskip(NEXT) | instid1(VALU_DEP_1)
	v_cndmask_b32_e32 v7, 0, v7, vcc_lo
	v_mul_f64 v[7:8], v[7:8], v[2:3]
.LBB0_28:
	s_or_b32 exec_lo, exec_lo, s4
                                        ; implicit-def: $vgpr18_vgpr19
.LBB0_29:
	s_and_not1_saveexec_b32 s3, s3
	s_cbranch_execz .LBB0_35
; %bb.30:
	v_dual_mov_b32 v2, v18 :: v_dual_and_b32 v3, 0x7fffffff, v19
	s_mov_b32 s4, 0xea87b950
	s_mov_b32 s5, 0x3c545b8a
	s_mov_b32 s7, 0x3c61556d
	s_mov_b32 s6, 0xb352e8e6
	v_div_scale_f64 v[7:8], null, v[2:3], v[2:3], 0x40400000
	v_div_scale_f64 v[2:3], vcc_lo, 0x40400000, v[2:3], 0x40400000
	s_mov_b32 s8, 0x2e9e5443
	s_mov_b32 s9, 0xbe90dbfd
	s_delay_alu instid0(VALU_DEP_2) | instskip(SKIP_2) | instid1(VALU_DEP_1)
	v_rcp_f64_e32 v[20:21], v[7:8]
	s_waitcnt_depctr 0xfff
	v_fma_f64 v[24:25], -v[7:8], v[20:21], 1.0
	v_fma_f64 v[20:21], v[20:21], v[24:25], v[20:21]
	s_delay_alu instid0(VALU_DEP_1) | instskip(NEXT) | instid1(VALU_DEP_1)
	v_fma_f64 v[24:25], -v[7:8], v[20:21], 1.0
	v_fma_f64 v[20:21], v[20:21], v[24:25], v[20:21]
	s_delay_alu instid0(VALU_DEP_1) | instskip(NEXT) | instid1(VALU_DEP_1)
	v_mul_f64 v[24:25], v[2:3], v[20:21]
	v_fma_f64 v[2:3], -v[7:8], v[24:25], v[2:3]
	s_delay_alu instid0(VALU_DEP_1) | instskip(NEXT) | instid1(VALU_DEP_1)
	v_div_fmas_f64 v[2:3], v[2:3], v[20:21], v[24:25]
	v_div_fixup_f64 v[2:3], v[2:3], |v[18:19]|, 0x40400000
	s_delay_alu instid0(VALU_DEP_1) | instskip(NEXT) | instid1(VALU_DEP_1)
	v_add_f64 v[2:3], v[2:3], -2.0
	v_fma_f64 v[7:8], v[2:3], s[6:7], s[4:5]
	s_mov_b32 s7, 0xbc61556d
	s_mov_b32 s4, 0xb2532277
	;; [unrolled: 1-line block ×3, first 2 shown]
	s_delay_alu instid0(VALU_DEP_1) | instskip(SKIP_2) | instid1(VALU_DEP_1)
	v_fma_f64 v[20:21], v[2:3], v[7:8], s[6:7]
	s_mov_b32 s6, 0x9ad53528
	s_mov_b32 s7, 0xbe30790b
	v_add_f64 v[20:21], v[20:21], s[4:5]
	s_mov_b32 s4, 0x9c773320
	s_mov_b32 s5, 0xbc82806c
	s_delay_alu instid0(VALU_DEP_1) | instskip(NEXT) | instid1(VALU_DEP_1)
	v_fma_f64 v[7:8], v[2:3], v[20:21], -v[7:8]
	v_add_f64 v[7:8], v[7:8], s[4:5]
	s_mov_b32 s4, 0xfceb588a
	s_mov_b32 s5, 0x3cb55915
	s_delay_alu instid0(VALU_DEP_1) | instskip(NEXT) | instid1(VALU_DEP_1)
	v_fma_f64 v[20:21], v[2:3], v[7:8], -v[20:21]
	;; [unrolled: 5-line block ×15, first 2 shown]
	v_add_f64 v[7:8], v[7:8], s[4:5]
	s_mov_b32 s4, 0x652b82fe
	s_mov_b32 s5, 0x3ff71547
	s_delay_alu instid0(SALU_CYCLE_1) | instskip(SKIP_2) | instid1(VALU_DEP_2)
	v_mul_f64 v[24:25], |v[18:19]|, s[4:5]
	s_mov_b32 s4, 0xfefa39ef
	s_mov_b32 s5, 0xbfe62e42
	v_fma_f64 v[20:21], v[2:3], v[7:8], -v[20:21]
	s_delay_alu instid0(VALU_DEP_2) | instskip(NEXT) | instid1(VALU_DEP_2)
	v_rndne_f64_e32 v[24:25], v[24:25]
	v_add_f64 v[20:21], v[20:21], s[6:7]
	s_mov_b32 s6, 0x94bb46c1
	s_mov_b32 s7, 0xbe5c4153
	s_delay_alu instid0(VALU_DEP_2) | instskip(SKIP_2) | instid1(VALU_DEP_2)
	v_fma_f64 v[26:27], v[24:25], s[4:5], |v[18:19]|
	s_mov_b32 s4, 0x3b39803f
	s_mov_b32 s5, 0xbc7abc9e
	v_fma_f64 v[7:8], v[2:3], v[20:21], -v[7:8]
	s_delay_alu instid0(VALU_DEP_2) | instskip(SKIP_3) | instid1(VALU_DEP_3)
	v_fma_f64 v[26:27], v[24:25], s[4:5], v[26:27]
	s_mov_b32 s4, 0xfca7ab0c
	s_mov_b32 s5, 0x3e928af3
	v_cvt_i32_f64_e32 v24, v[24:25]
	v_add_f64 v[7:8], v[7:8], s[6:7]
	s_mov_b32 s6, 0x6a5dcb37
	s_mov_b32 s7, 0x3e5ade15
	s_delay_alu instid0(VALU_DEP_3) | instid1(SALU_CYCLE_1)
	v_fma_f64 v[28:29], v[26:27], s[6:7], s[4:5]
	s_mov_b32 s4, 0x623fde64
	s_mov_b32 s5, 0x3ec71dee
	;; [unrolled: 1-line block ×4, first 2 shown]
	s_delay_alu instid0(VALU_DEP_2) | instskip(NEXT) | instid1(VALU_DEP_2)
	v_fma_f64 v[20:21], v[2:3], v[7:8], -v[20:21]
	v_fma_f64 v[28:29], v[26:27], v[28:29], s[4:5]
	s_mov_b32 s4, 0x7c89e6b0
	s_mov_b32 s5, 0x3efa0199
	s_delay_alu instid0(VALU_DEP_2) | instskip(NEXT) | instid1(VALU_DEP_2)
	v_add_f64 v[20:21], v[20:21], s[8:9]
	v_fma_f64 v[28:29], v[26:27], v[28:29], s[4:5]
	s_mov_b32 s4, 0x14761f6e
	s_mov_b32 s5, 0x3f2a01a0
	s_delay_alu instid0(VALU_DEP_2) | instskip(NEXT) | instid1(VALU_DEP_2)
	v_fma_f64 v[7:8], v[2:3], v[20:21], -v[7:8]
	v_fma_f64 v[28:29], v[26:27], v[28:29], s[4:5]
	s_mov_b32 s4, 0x1852b7b0
	s_mov_b32 s5, 0x3f56c16c
	s_delay_alu instid0(VALU_DEP_2) | instskip(SKIP_2) | instid1(VALU_DEP_2)
	v_add_f64 v[7:8], v[7:8], s[6:7]
	s_mov_b32 s6, 0x804aa9a6
	s_mov_b32 s7, 0xbf1cfd7f
	v_fma_f64 v[28:29], v[26:27], v[28:29], s[4:5]
	s_mov_b32 s4, 0x11122322
	s_mov_b32 s5, 0x3f811111
	s_delay_alu instid0(VALU_DEP_2) | instskip(NEXT) | instid1(VALU_DEP_2)
	v_fma_f64 v[20:21], v[2:3], v[7:8], -v[20:21]
	v_fma_f64 v[28:29], v[26:27], v[28:29], s[4:5]
	s_mov_b32 s4, 0x555502a1
	s_mov_b32 s5, 0x3fa55555
	s_delay_alu instid0(VALU_DEP_2) | instskip(SKIP_2) | instid1(VALU_DEP_2)
	v_add_f64 v[20:21], v[20:21], s[6:7]
	s_mov_b32 s6, 0x53fcdb4c
	s_mov_b32 s7, 0xbf83fda0
	v_fma_f64 v[28:29], v[26:27], v[28:29], s[4:5]
	s_mov_b32 s4, 0x55555511
	s_mov_b32 s5, 0x3fc55555
	s_delay_alu instid0(VALU_DEP_2) | instskip(NEXT) | instid1(VALU_DEP_2)
	v_fma_f64 v[7:8], v[2:3], v[20:21], -v[7:8]
	v_fma_f64 v[28:29], v[26:27], v[28:29], s[4:5]
	s_mov_b32 s4, 11
	s_mov_b32 s5, 0x3fe00000
	s_delay_alu instid0(VALU_DEP_2) | instskip(SKIP_2) | instid1(VALU_DEP_1)
	v_add_f64 v[7:8], v[7:8], s[6:7]
	s_mov_b32 s6, 0xb55b1514
	s_mov_b32 s7, 0x3fe8ea18
	v_fma_f64 v[2:3], v[2:3], v[7:8], -v[20:21]
	s_delay_alu instid0(VALU_DEP_3) | instskip(SKIP_1) | instid1(VALU_DEP_2)
	v_fma_f64 v[7:8], v[26:27], v[28:29], s[4:5]
	s_mov_b32 s4, exec_lo
	v_add_f64 v[2:3], v[2:3], s[6:7]
	s_delay_alu instid0(VALU_DEP_2) | instskip(NEXT) | instid1(VALU_DEP_2)
	v_fma_f64 v[7:8], v[26:27], v[7:8], 1.0
	v_add_f64 v[2:3], v[2:3], -v[20:21]
	s_delay_alu instid0(VALU_DEP_2) | instskip(NEXT) | instid1(VALU_DEP_2)
	v_fma_f64 v[20:21], v[26:27], v[7:8], 1.0
	v_mul_f64 v[2:3], v[2:3], 0.5
	v_cmpx_ngt_f64_e32 0, v[18:19]
	s_xor_b32 s4, exec_lo, s4
	s_cbranch_execz .LBB0_32
; %bb.31:
	v_cmp_gt_f64_e64 s5, 0x10000000, |v[18:19]|
	s_delay_alu instid0(VALU_DEP_4) | instskip(SKIP_1) | instid1(VALU_DEP_3)
	v_ldexp_f64 v[20:21], v[20:21], v24
	v_cmp_nlt_f64_e64 vcc_lo, 0x40900000, |v[18:19]|
	v_cndmask_b32_e64 v7, 0, 1, s5
	v_cndmask_b32_e64 v24, 0, 0xffffff80, s5
	s_delay_alu instid0(VALU_DEP_4) | instskip(NEXT) | instid1(VALU_DEP_3)
	v_cndmask_b32_e32 v21, 0x7ff00000, v21, vcc_lo
	v_dual_cndmask_b32 v20, 0, v20 :: v_dual_lshlrev_b32 v7, 8, v7
	s_delay_alu instid0(VALU_DEP_1) | instskip(NEXT) | instid1(VALU_DEP_2)
	v_mul_f64 v[2:3], v[20:21], v[2:3]
	v_ldexp_f64 v[7:8], |v[18:19]|, v7
	s_delay_alu instid0(VALU_DEP_1) | instskip(SKIP_4) | instid1(VALU_DEP_1)
	v_rsq_f64_e32 v[25:26], v[7:8]
	v_cmp_class_f64_e64 vcc_lo, v[7:8], 0x260
	s_waitcnt_depctr 0xfff
	v_mul_f64 v[27:28], v[7:8], v[25:26]
	v_mul_f64 v[25:26], v[25:26], 0.5
	v_fma_f64 v[29:30], -v[25:26], v[27:28], 0.5
	s_delay_alu instid0(VALU_DEP_1) | instskip(SKIP_1) | instid1(VALU_DEP_2)
	v_fma_f64 v[27:28], v[27:28], v[29:30], v[27:28]
	v_fma_f64 v[25:26], v[25:26], v[29:30], v[25:26]
	v_fma_f64 v[29:30], -v[27:28], v[27:28], v[7:8]
	s_delay_alu instid0(VALU_DEP_1) | instskip(NEXT) | instid1(VALU_DEP_1)
	v_fma_f64 v[27:28], v[29:30], v[25:26], v[27:28]
	v_fma_f64 v[29:30], -v[27:28], v[27:28], v[7:8]
	s_delay_alu instid0(VALU_DEP_1) | instskip(NEXT) | instid1(VALU_DEP_1)
	v_fma_f64 v[18:19], v[29:30], v[25:26], v[27:28]
	v_ldexp_f64 v[18:19], v[18:19], v24
	s_delay_alu instid0(VALU_DEP_1) | instskip(NEXT) | instid1(VALU_DEP_1)
	v_dual_cndmask_b32 v8, v19, v8 :: v_dual_cndmask_b32 v7, v18, v7
	v_div_scale_f64 v[18:19], null, v[7:8], v[7:8], v[2:3]
	s_delay_alu instid0(VALU_DEP_1) | instskip(SKIP_2) | instid1(VALU_DEP_1)
	v_rcp_f64_e32 v[20:21], v[18:19]
	s_waitcnt_depctr 0xfff
	v_fma_f64 v[24:25], -v[18:19], v[20:21], 1.0
	v_fma_f64 v[20:21], v[20:21], v[24:25], v[20:21]
	s_delay_alu instid0(VALU_DEP_1) | instskip(NEXT) | instid1(VALU_DEP_1)
	v_fma_f64 v[24:25], -v[18:19], v[20:21], 1.0
	v_fma_f64 v[20:21], v[20:21], v[24:25], v[20:21]
	v_div_scale_f64 v[24:25], vcc_lo, v[2:3], v[7:8], v[2:3]
	s_delay_alu instid0(VALU_DEP_1) | instskip(NEXT) | instid1(VALU_DEP_1)
	v_mul_f64 v[26:27], v[24:25], v[20:21]
	v_fma_f64 v[18:19], -v[18:19], v[26:27], v[24:25]
                                        ; implicit-def: $vgpr24
	s_delay_alu instid0(VALU_DEP_1) | instskip(NEXT) | instid1(VALU_DEP_1)
	v_div_fmas_f64 v[18:19], v[18:19], v[20:21], v[26:27]
                                        ; implicit-def: $vgpr20_vgpr21
	v_div_fixup_f64 v[7:8], v[18:19], v[7:8], v[2:3]
                                        ; implicit-def: $vgpr18_vgpr19
                                        ; implicit-def: $vgpr2_vgpr3
.LBB0_32:
	s_and_not1_saveexec_b32 s4, s4
	s_cbranch_execz .LBB0_34
; %bb.33:
	v_cmp_gt_f64_e64 s5, 0x10000000, |v[18:19]|
	s_delay_alu instid0(VALU_DEP_4) | instskip(SKIP_1) | instid1(VALU_DEP_3)
	v_ldexp_f64 v[20:21], -v[20:21], v24
	v_cmp_nlt_f64_e64 vcc_lo, 0x40900000, |v[18:19]|
	v_cndmask_b32_e64 v7, 0, 1, s5
	v_cndmask_b32_e64 v24, 0, 0xffffff80, s5
	s_delay_alu instid0(VALU_DEP_4) | instskip(NEXT) | instid1(VALU_DEP_3)
	v_cndmask_b32_e32 v21, 0xfff00000, v21, vcc_lo
	v_dual_cndmask_b32 v20, 0, v20 :: v_dual_lshlrev_b32 v7, 8, v7
	s_delay_alu instid0(VALU_DEP_1) | instskip(NEXT) | instid1(VALU_DEP_2)
	v_mul_f64 v[2:3], v[20:21], v[2:3]
	v_ldexp_f64 v[7:8], |v[18:19]|, v7
	s_delay_alu instid0(VALU_DEP_1) | instskip(SKIP_4) | instid1(VALU_DEP_1)
	v_rsq_f64_e32 v[25:26], v[7:8]
	v_cmp_class_f64_e64 vcc_lo, v[7:8], 0x260
	s_waitcnt_depctr 0xfff
	v_mul_f64 v[27:28], v[7:8], v[25:26]
	v_mul_f64 v[25:26], v[25:26], 0.5
	v_fma_f64 v[29:30], -v[25:26], v[27:28], 0.5
	s_delay_alu instid0(VALU_DEP_1) | instskip(SKIP_1) | instid1(VALU_DEP_2)
	v_fma_f64 v[27:28], v[27:28], v[29:30], v[27:28]
	v_fma_f64 v[25:26], v[25:26], v[29:30], v[25:26]
	v_fma_f64 v[29:30], -v[27:28], v[27:28], v[7:8]
	s_delay_alu instid0(VALU_DEP_1) | instskip(NEXT) | instid1(VALU_DEP_1)
	v_fma_f64 v[27:28], v[29:30], v[25:26], v[27:28]
	v_fma_f64 v[29:30], -v[27:28], v[27:28], v[7:8]
	s_delay_alu instid0(VALU_DEP_1) | instskip(NEXT) | instid1(VALU_DEP_1)
	v_fma_f64 v[18:19], v[29:30], v[25:26], v[27:28]
	v_ldexp_f64 v[18:19], v[18:19], v24
	s_delay_alu instid0(VALU_DEP_1) | instskip(NEXT) | instid1(VALU_DEP_1)
	v_dual_cndmask_b32 v8, v19, v8 :: v_dual_cndmask_b32 v7, v18, v7
	v_div_scale_f64 v[18:19], null, v[7:8], v[7:8], v[2:3]
	s_delay_alu instid0(VALU_DEP_1) | instskip(SKIP_2) | instid1(VALU_DEP_1)
	v_rcp_f64_e32 v[20:21], v[18:19]
	s_waitcnt_depctr 0xfff
	v_fma_f64 v[24:25], -v[18:19], v[20:21], 1.0
	v_fma_f64 v[20:21], v[20:21], v[24:25], v[20:21]
	s_delay_alu instid0(VALU_DEP_1) | instskip(NEXT) | instid1(VALU_DEP_1)
	v_fma_f64 v[24:25], -v[18:19], v[20:21], 1.0
	v_fma_f64 v[20:21], v[20:21], v[24:25], v[20:21]
	v_div_scale_f64 v[24:25], vcc_lo, v[2:3], v[7:8], v[2:3]
	s_delay_alu instid0(VALU_DEP_1) | instskip(NEXT) | instid1(VALU_DEP_1)
	v_mul_f64 v[26:27], v[24:25], v[20:21]
	v_fma_f64 v[18:19], -v[18:19], v[26:27], v[24:25]
	s_delay_alu instid0(VALU_DEP_1) | instskip(NEXT) | instid1(VALU_DEP_1)
	v_div_fmas_f64 v[18:19], v[18:19], v[20:21], v[26:27]
	v_div_fixup_f64 v[7:8], v[18:19], v[7:8], v[2:3]
.LBB0_34:
	s_or_b32 exec_lo, exec_lo, s4
.LBB0_35:
	s_delay_alu instid0(SALU_CYCLE_1)
	s_or_b32 exec_lo, exec_lo, s3
.LBB0_36:
	s_delay_alu instid0(SALU_CYCLE_1) | instskip(SKIP_2) | instid1(VALU_DEP_1)
	s_or_b32 exec_lo, exec_lo, s2
	v_add_nc_u32_e32 v2, 0x200, v22
	s_mov_b32 s2, exec_lo
	v_cmpx_lt_i32_e64 v2, v4
	s_cbranch_execz .LBB0_50
; %bb.37:
	s_waitcnt vmcnt(0) lgkmcnt(0)
	v_cmp_ge_f64_e64 s3, 0x40200000, |v[16:17]|
	s_delay_alu instid0(VALU_DEP_1) | instskip(NEXT) | instid1(SALU_CYCLE_1)
	s_and_saveexec_b32 s4, s3
	s_xor_b32 s3, exec_lo, s4
	s_cbranch_execz .LBB0_43
; %bb.38:
	v_fma_f64 v[2:3], |v[16:17]|, 0.5, -2.0
	s_mov_b32 s4, 0xc38a0576
	s_mov_b32 s5, 0xbc7857d0
	;; [unrolled: 1-line block ×4, first 2 shown]
	s_delay_alu instid0(VALU_DEP_1) | instid1(SALU_CYCLE_1)
	v_fma_f64 v[9:10], v[2:3], s[6:7], s[4:5]
	s_mov_b32 s7, 0xbc499f2a
	s_mov_b32 s4, 0xe593bfac
	;; [unrolled: 1-line block ×3, first 2 shown]
	s_delay_alu instid0(VALU_DEP_1) | instskip(NEXT) | instid1(VALU_DEP_1)
	v_fma_f64 v[18:19], v[2:3], v[9:10], s[6:7]
	v_add_f64 v[18:19], v[18:19], s[4:5]
	s_mov_b32 s4, 0x7e0d1573
	s_mov_b32 s5, 0xbcd3eaaa
	s_delay_alu instid0(VALU_DEP_1) | instskip(NEXT) | instid1(VALU_DEP_1)
	v_fma_f64 v[9:10], v[2:3], v[18:19], -v[9:10]
	v_add_f64 v[9:10], v[9:10], s[4:5]
	s_mov_b32 s4, 0x615290c
	s_mov_b32 s5, 0x3d011d7f
	s_delay_alu instid0(VALU_DEP_1) | instskip(NEXT) | instid1(VALU_DEP_1)
	v_fma_f64 v[18:19], v[2:3], v[9:10], -v[18:19]
	;; [unrolled: 5-line block ×26, first 2 shown]
	v_add_f64 v[2:3], v[2:3], s[4:5]
	s_mov_b32 s4, exec_lo
	s_delay_alu instid0(VALU_DEP_1)
	v_add_f64 v[2:3], v[2:3], -v[18:19]
	v_cmpx_ngt_f64_e32 0, v[16:17]
	s_xor_b32 s4, exec_lo, s4
	s_cbranch_execz .LBB0_40
; %bb.39:
	s_mov_b32 s6, 0x652b82fe
	s_mov_b32 s7, 0x3ff71547
	;; [unrolled: 1-line block ×3, first 2 shown]
	v_mul_f64 v[9:10], |v[16:17]|, s[6:7]
	s_mov_b32 s6, 0xfefa39ef
	s_mov_b32 s7, 0xbfe62e42
	;; [unrolled: 1-line block ×3, first 2 shown]
	s_delay_alu instid0(VALU_DEP_3) | instskip(SKIP_1) | instid1(VALU_DEP_3)
	v_mul_f64 v[2:3], v[2:3], 0.5
	v_cmp_nlt_f64_e64 vcc_lo, 0x40900000, |v[16:17]|
	v_rndne_f64_e32 v[9:10], v[9:10]
	s_delay_alu instid0(VALU_DEP_3) | instskip(NEXT) | instid1(VALU_DEP_2)
	v_mul_f64 v[2:3], |v[16:17]|, v[2:3]
	v_fma_f64 v[18:19], v[9:10], s[6:7], |v[16:17]|
	s_mov_b32 s6, 0x3b39803f
	s_mov_b32 s7, 0xbc7abc9e
	v_cvt_i32_f64_e32 v24, v[9:10]
                                        ; implicit-def: $vgpr16_vgpr17
	s_delay_alu instid0(VALU_DEP_2)
	v_fma_f64 v[18:19], v[9:10], s[6:7], v[18:19]
	s_mov_b32 s6, 0xfca7ab0c
	s_mov_b32 s7, 0x3e928af3
	s_delay_alu instid0(VALU_DEP_1) | instid1(SALU_CYCLE_1)
	v_fma_f64 v[20:21], v[18:19], s[8:9], s[6:7]
	s_mov_b32 s6, 0x623fde64
	s_mov_b32 s7, 0x3ec71dee
	s_delay_alu instid0(VALU_DEP_1) | instid1(SALU_CYCLE_1)
	;; [unrolled: 4-line block ×9, first 2 shown]
	v_fma_f64 v[20:21], v[18:19], v[20:21], s[6:7]
	s_delay_alu instid0(VALU_DEP_1) | instskip(NEXT) | instid1(VALU_DEP_1)
	v_fma_f64 v[20:21], v[18:19], v[20:21], 1.0
	v_fma_f64 v[9:10], v[18:19], v[20:21], 1.0
	s_delay_alu instid0(VALU_DEP_1) | instskip(NEXT) | instid1(VALU_DEP_1)
	v_ldexp_f64 v[9:10], v[9:10], v24
	v_cndmask_b32_e32 v10, 0x7ff00000, v10, vcc_lo
	s_delay_alu instid0(VALU_DEP_2) | instskip(NEXT) | instid1(VALU_DEP_1)
	v_cndmask_b32_e32 v9, 0, v9, vcc_lo
	v_mul_f64 v[9:10], v[9:10], v[2:3]
                                        ; implicit-def: $vgpr2_vgpr3
.LBB0_40:
	s_and_not1_saveexec_b32 s4, s4
	s_cbranch_execz .LBB0_42
; %bb.41:
	s_mov_b32 s6, 0x652b82fe
	s_mov_b32 s7, 0x3ff71547
	s_mov_b32 s8, 0x6a5dcb37
	v_mul_f64 v[9:10], |v[16:17]|, s[6:7]
	s_mov_b32 s6, 0xfefa39ef
	s_mov_b32 s7, 0xbfe62e42
	;; [unrolled: 1-line block ×3, first 2 shown]
	s_delay_alu instid0(VALU_DEP_3) | instskip(SKIP_1) | instid1(VALU_DEP_3)
	v_mul_f64 v[2:3], v[2:3], -0.5
	v_cmp_nlt_f64_e64 vcc_lo, 0x40900000, |v[16:17]|
	v_rndne_f64_e32 v[9:10], v[9:10]
	s_delay_alu instid0(VALU_DEP_3) | instskip(NEXT) | instid1(VALU_DEP_2)
	v_mul_f64 v[2:3], |v[16:17]|, v[2:3]
	v_fma_f64 v[18:19], v[9:10], s[6:7], |v[16:17]|
	s_mov_b32 s6, 0x3b39803f
	s_mov_b32 s7, 0xbc7abc9e
	v_cvt_i32_f64_e32 v24, v[9:10]
	s_delay_alu instid0(VALU_DEP_2)
	v_fma_f64 v[18:19], v[9:10], s[6:7], v[18:19]
	s_mov_b32 s6, 0xfca7ab0c
	s_mov_b32 s7, 0x3e928af3
	s_delay_alu instid0(VALU_DEP_1) | instid1(SALU_CYCLE_1)
	v_fma_f64 v[20:21], v[18:19], s[8:9], s[6:7]
	s_mov_b32 s6, 0x623fde64
	s_mov_b32 s7, 0x3ec71dee
	s_delay_alu instid0(VALU_DEP_1) | instid1(SALU_CYCLE_1)
	;; [unrolled: 4-line block ×9, first 2 shown]
	v_fma_f64 v[20:21], v[18:19], v[20:21], s[6:7]
	s_delay_alu instid0(VALU_DEP_1) | instskip(NEXT) | instid1(VALU_DEP_1)
	v_fma_f64 v[20:21], v[18:19], v[20:21], 1.0
	v_fma_f64 v[9:10], v[18:19], v[20:21], 1.0
	s_delay_alu instid0(VALU_DEP_1) | instskip(NEXT) | instid1(VALU_DEP_1)
	v_ldexp_f64 v[9:10], v[9:10], v24
	v_cndmask_b32_e32 v10, 0x7ff00000, v10, vcc_lo
	s_delay_alu instid0(VALU_DEP_2) | instskip(NEXT) | instid1(VALU_DEP_1)
	v_cndmask_b32_e32 v9, 0, v9, vcc_lo
	v_mul_f64 v[9:10], v[9:10], v[2:3]
.LBB0_42:
	s_or_b32 exec_lo, exec_lo, s4
                                        ; implicit-def: $vgpr16_vgpr17
.LBB0_43:
	s_and_not1_saveexec_b32 s3, s3
	s_cbranch_execz .LBB0_49
; %bb.44:
	v_dual_mov_b32 v2, v16 :: v_dual_and_b32 v3, 0x7fffffff, v17
	s_mov_b32 s4, 0xea87b950
	s_mov_b32 s5, 0x3c545b8a
	s_mov_b32 s7, 0x3c61556d
	s_mov_b32 s6, 0xb352e8e6
	v_div_scale_f64 v[9:10], null, v[2:3], v[2:3], 0x40400000
	v_div_scale_f64 v[2:3], vcc_lo, 0x40400000, v[2:3], 0x40400000
	s_mov_b32 s8, 0x2e9e5443
	s_mov_b32 s9, 0xbe90dbfd
	s_delay_alu instid0(VALU_DEP_2) | instskip(SKIP_2) | instid1(VALU_DEP_1)
	v_rcp_f64_e32 v[18:19], v[9:10]
	s_waitcnt_depctr 0xfff
	v_fma_f64 v[20:21], -v[9:10], v[18:19], 1.0
	v_fma_f64 v[18:19], v[18:19], v[20:21], v[18:19]
	s_delay_alu instid0(VALU_DEP_1) | instskip(NEXT) | instid1(VALU_DEP_1)
	v_fma_f64 v[20:21], -v[9:10], v[18:19], 1.0
	v_fma_f64 v[18:19], v[18:19], v[20:21], v[18:19]
	s_delay_alu instid0(VALU_DEP_1) | instskip(NEXT) | instid1(VALU_DEP_1)
	v_mul_f64 v[20:21], v[2:3], v[18:19]
	v_fma_f64 v[2:3], -v[9:10], v[20:21], v[2:3]
	s_delay_alu instid0(VALU_DEP_1) | instskip(NEXT) | instid1(VALU_DEP_1)
	v_div_fmas_f64 v[2:3], v[2:3], v[18:19], v[20:21]
	v_div_fixup_f64 v[2:3], v[2:3], |v[16:17]|, 0x40400000
	s_delay_alu instid0(VALU_DEP_1) | instskip(NEXT) | instid1(VALU_DEP_1)
	v_add_f64 v[2:3], v[2:3], -2.0
	v_fma_f64 v[9:10], v[2:3], s[6:7], s[4:5]
	s_mov_b32 s7, 0xbc61556d
	s_mov_b32 s4, 0xb2532277
	;; [unrolled: 1-line block ×3, first 2 shown]
	s_delay_alu instid0(VALU_DEP_1) | instskip(SKIP_2) | instid1(VALU_DEP_1)
	v_fma_f64 v[18:19], v[2:3], v[9:10], s[6:7]
	s_mov_b32 s6, 0x9ad53528
	s_mov_b32 s7, 0xbe30790b
	v_add_f64 v[18:19], v[18:19], s[4:5]
	s_mov_b32 s4, 0x9c773320
	s_mov_b32 s5, 0xbc82806c
	s_delay_alu instid0(VALU_DEP_1) | instskip(NEXT) | instid1(VALU_DEP_1)
	v_fma_f64 v[9:10], v[2:3], v[18:19], -v[9:10]
	v_add_f64 v[9:10], v[9:10], s[4:5]
	s_mov_b32 s4, 0xfceb588a
	s_mov_b32 s5, 0x3cb55915
	s_delay_alu instid0(VALU_DEP_1) | instskip(NEXT) | instid1(VALU_DEP_1)
	v_fma_f64 v[18:19], v[2:3], v[9:10], -v[18:19]
	;; [unrolled: 5-line block ×15, first 2 shown]
	v_add_f64 v[9:10], v[9:10], s[4:5]
	s_mov_b32 s4, 0x652b82fe
	s_mov_b32 s5, 0x3ff71547
	s_delay_alu instid0(SALU_CYCLE_1) | instskip(SKIP_2) | instid1(VALU_DEP_2)
	v_mul_f64 v[20:21], |v[16:17]|, s[4:5]
	s_mov_b32 s4, 0xfefa39ef
	s_mov_b32 s5, 0xbfe62e42
	v_fma_f64 v[18:19], v[2:3], v[9:10], -v[18:19]
	s_delay_alu instid0(VALU_DEP_2) | instskip(NEXT) | instid1(VALU_DEP_2)
	v_rndne_f64_e32 v[20:21], v[20:21]
	v_add_f64 v[18:19], v[18:19], s[6:7]
	s_mov_b32 s6, 0x94bb46c1
	s_mov_b32 s7, 0xbe5c4153
	s_delay_alu instid0(VALU_DEP_2) | instskip(SKIP_2) | instid1(VALU_DEP_2)
	v_fma_f64 v[24:25], v[20:21], s[4:5], |v[16:17]|
	s_mov_b32 s4, 0x3b39803f
	s_mov_b32 s5, 0xbc7abc9e
	v_fma_f64 v[9:10], v[2:3], v[18:19], -v[9:10]
	s_delay_alu instid0(VALU_DEP_2) | instskip(SKIP_3) | instid1(VALU_DEP_3)
	v_fma_f64 v[24:25], v[20:21], s[4:5], v[24:25]
	s_mov_b32 s4, 0xfca7ab0c
	s_mov_b32 s5, 0x3e928af3
	v_cvt_i32_f64_e32 v20, v[20:21]
	v_add_f64 v[9:10], v[9:10], s[6:7]
	s_mov_b32 s6, 0x6a5dcb37
	s_mov_b32 s7, 0x3e5ade15
	s_delay_alu instid0(VALU_DEP_3) | instid1(SALU_CYCLE_1)
	v_fma_f64 v[26:27], v[24:25], s[6:7], s[4:5]
	s_mov_b32 s4, 0x623fde64
	s_mov_b32 s5, 0x3ec71dee
	;; [unrolled: 1-line block ×4, first 2 shown]
	s_delay_alu instid0(VALU_DEP_2) | instskip(NEXT) | instid1(VALU_DEP_2)
	v_fma_f64 v[18:19], v[2:3], v[9:10], -v[18:19]
	v_fma_f64 v[26:27], v[24:25], v[26:27], s[4:5]
	s_mov_b32 s4, 0x7c89e6b0
	s_mov_b32 s5, 0x3efa0199
	s_delay_alu instid0(VALU_DEP_2) | instskip(NEXT) | instid1(VALU_DEP_2)
	v_add_f64 v[18:19], v[18:19], s[8:9]
	v_fma_f64 v[26:27], v[24:25], v[26:27], s[4:5]
	s_mov_b32 s4, 0x14761f6e
	s_mov_b32 s5, 0x3f2a01a0
	s_delay_alu instid0(VALU_DEP_2) | instskip(NEXT) | instid1(VALU_DEP_2)
	v_fma_f64 v[9:10], v[2:3], v[18:19], -v[9:10]
	v_fma_f64 v[26:27], v[24:25], v[26:27], s[4:5]
	s_mov_b32 s4, 0x1852b7b0
	s_mov_b32 s5, 0x3f56c16c
	s_delay_alu instid0(VALU_DEP_2) | instskip(SKIP_2) | instid1(VALU_DEP_2)
	v_add_f64 v[9:10], v[9:10], s[6:7]
	s_mov_b32 s6, 0x804aa9a6
	s_mov_b32 s7, 0xbf1cfd7f
	v_fma_f64 v[26:27], v[24:25], v[26:27], s[4:5]
	s_mov_b32 s4, 0x11122322
	s_mov_b32 s5, 0x3f811111
	s_delay_alu instid0(VALU_DEP_2) | instskip(NEXT) | instid1(VALU_DEP_2)
	v_fma_f64 v[18:19], v[2:3], v[9:10], -v[18:19]
	v_fma_f64 v[26:27], v[24:25], v[26:27], s[4:5]
	s_mov_b32 s4, 0x555502a1
	s_mov_b32 s5, 0x3fa55555
	s_delay_alu instid0(VALU_DEP_2) | instskip(SKIP_2) | instid1(VALU_DEP_2)
	v_add_f64 v[18:19], v[18:19], s[6:7]
	s_mov_b32 s6, 0x53fcdb4c
	s_mov_b32 s7, 0xbf83fda0
	v_fma_f64 v[26:27], v[24:25], v[26:27], s[4:5]
	s_mov_b32 s4, 0x55555511
	s_mov_b32 s5, 0x3fc55555
	s_delay_alu instid0(VALU_DEP_2) | instskip(NEXT) | instid1(VALU_DEP_2)
	v_fma_f64 v[9:10], v[2:3], v[18:19], -v[9:10]
	v_fma_f64 v[26:27], v[24:25], v[26:27], s[4:5]
	s_mov_b32 s4, 11
	s_mov_b32 s5, 0x3fe00000
	s_delay_alu instid0(VALU_DEP_2) | instskip(SKIP_2) | instid1(VALU_DEP_1)
	v_add_f64 v[9:10], v[9:10], s[6:7]
	s_mov_b32 s6, 0xb55b1514
	s_mov_b32 s7, 0x3fe8ea18
	v_fma_f64 v[2:3], v[2:3], v[9:10], -v[18:19]
	s_delay_alu instid0(VALU_DEP_3) | instskip(SKIP_1) | instid1(VALU_DEP_2)
	v_fma_f64 v[9:10], v[24:25], v[26:27], s[4:5]
	s_mov_b32 s4, exec_lo
	v_add_f64 v[2:3], v[2:3], s[6:7]
	s_delay_alu instid0(VALU_DEP_2) | instskip(NEXT) | instid1(VALU_DEP_2)
	v_fma_f64 v[9:10], v[24:25], v[9:10], 1.0
	v_add_f64 v[2:3], v[2:3], -v[18:19]
	s_delay_alu instid0(VALU_DEP_2) | instskip(NEXT) | instid1(VALU_DEP_2)
	v_fma_f64 v[18:19], v[24:25], v[9:10], 1.0
	v_mul_f64 v[2:3], v[2:3], 0.5
	v_cmpx_ngt_f64_e32 0, v[16:17]
	s_xor_b32 s4, exec_lo, s4
	s_cbranch_execz .LBB0_46
; %bb.45:
	v_cmp_gt_f64_e64 s5, 0x10000000, |v[16:17]|
	s_delay_alu instid0(VALU_DEP_4) | instskip(SKIP_1) | instid1(VALU_DEP_3)
	v_ldexp_f64 v[18:19], v[18:19], v20
	v_cmp_nlt_f64_e64 vcc_lo, 0x40900000, |v[16:17]|
	v_cndmask_b32_e64 v9, 0, 1, s5
	v_cndmask_b32_e64 v20, 0, 0xffffff80, s5
	s_delay_alu instid0(VALU_DEP_4) | instskip(NEXT) | instid1(VALU_DEP_3)
	v_cndmask_b32_e32 v19, 0x7ff00000, v19, vcc_lo
	v_dual_cndmask_b32 v18, 0, v18 :: v_dual_lshlrev_b32 v9, 8, v9
	s_delay_alu instid0(VALU_DEP_1) | instskip(NEXT) | instid1(VALU_DEP_2)
	v_mul_f64 v[2:3], v[18:19], v[2:3]
	v_ldexp_f64 v[9:10], |v[16:17]|, v9
	s_delay_alu instid0(VALU_DEP_1) | instskip(SKIP_4) | instid1(VALU_DEP_1)
	v_rsq_f64_e32 v[24:25], v[9:10]
	v_cmp_class_f64_e64 vcc_lo, v[9:10], 0x260
	s_waitcnt_depctr 0xfff
	v_mul_f64 v[26:27], v[9:10], v[24:25]
	v_mul_f64 v[24:25], v[24:25], 0.5
	v_fma_f64 v[28:29], -v[24:25], v[26:27], 0.5
	s_delay_alu instid0(VALU_DEP_1) | instskip(SKIP_1) | instid1(VALU_DEP_2)
	v_fma_f64 v[26:27], v[26:27], v[28:29], v[26:27]
	v_fma_f64 v[24:25], v[24:25], v[28:29], v[24:25]
	v_fma_f64 v[28:29], -v[26:27], v[26:27], v[9:10]
	s_delay_alu instid0(VALU_DEP_1) | instskip(NEXT) | instid1(VALU_DEP_1)
	v_fma_f64 v[26:27], v[28:29], v[24:25], v[26:27]
	v_fma_f64 v[28:29], -v[26:27], v[26:27], v[9:10]
	s_delay_alu instid0(VALU_DEP_1) | instskip(NEXT) | instid1(VALU_DEP_1)
	v_fma_f64 v[16:17], v[28:29], v[24:25], v[26:27]
	v_ldexp_f64 v[16:17], v[16:17], v20
	s_delay_alu instid0(VALU_DEP_1) | instskip(NEXT) | instid1(VALU_DEP_1)
	v_dual_cndmask_b32 v10, v17, v10 :: v_dual_cndmask_b32 v9, v16, v9
	v_div_scale_f64 v[16:17], null, v[9:10], v[9:10], v[2:3]
	s_delay_alu instid0(VALU_DEP_1) | instskip(SKIP_2) | instid1(VALU_DEP_1)
	v_rcp_f64_e32 v[18:19], v[16:17]
	s_waitcnt_depctr 0xfff
	v_fma_f64 v[20:21], -v[16:17], v[18:19], 1.0
	v_fma_f64 v[18:19], v[18:19], v[20:21], v[18:19]
	s_delay_alu instid0(VALU_DEP_1) | instskip(NEXT) | instid1(VALU_DEP_1)
	v_fma_f64 v[20:21], -v[16:17], v[18:19], 1.0
	v_fma_f64 v[18:19], v[18:19], v[20:21], v[18:19]
	v_div_scale_f64 v[20:21], vcc_lo, v[2:3], v[9:10], v[2:3]
	s_delay_alu instid0(VALU_DEP_1) | instskip(NEXT) | instid1(VALU_DEP_1)
	v_mul_f64 v[24:25], v[20:21], v[18:19]
	v_fma_f64 v[16:17], -v[16:17], v[24:25], v[20:21]
                                        ; implicit-def: $vgpr20
	s_delay_alu instid0(VALU_DEP_1) | instskip(NEXT) | instid1(VALU_DEP_1)
	v_div_fmas_f64 v[16:17], v[16:17], v[18:19], v[24:25]
                                        ; implicit-def: $vgpr18_vgpr19
	v_div_fixup_f64 v[9:10], v[16:17], v[9:10], v[2:3]
                                        ; implicit-def: $vgpr16_vgpr17
                                        ; implicit-def: $vgpr2_vgpr3
.LBB0_46:
	s_and_not1_saveexec_b32 s4, s4
	s_cbranch_execz .LBB0_48
; %bb.47:
	v_cmp_gt_f64_e64 s5, 0x10000000, |v[16:17]|
	s_delay_alu instid0(VALU_DEP_4) | instskip(SKIP_1) | instid1(VALU_DEP_3)
	v_ldexp_f64 v[18:19], -v[18:19], v20
	v_cmp_nlt_f64_e64 vcc_lo, 0x40900000, |v[16:17]|
	v_cndmask_b32_e64 v9, 0, 1, s5
	v_cndmask_b32_e64 v20, 0, 0xffffff80, s5
	s_delay_alu instid0(VALU_DEP_4) | instskip(NEXT) | instid1(VALU_DEP_3)
	v_cndmask_b32_e32 v19, 0xfff00000, v19, vcc_lo
	v_dual_cndmask_b32 v18, 0, v18 :: v_dual_lshlrev_b32 v9, 8, v9
	s_delay_alu instid0(VALU_DEP_1) | instskip(NEXT) | instid1(VALU_DEP_2)
	v_mul_f64 v[2:3], v[18:19], v[2:3]
	v_ldexp_f64 v[9:10], |v[16:17]|, v9
	s_delay_alu instid0(VALU_DEP_1) | instskip(SKIP_4) | instid1(VALU_DEP_1)
	v_rsq_f64_e32 v[24:25], v[9:10]
	v_cmp_class_f64_e64 vcc_lo, v[9:10], 0x260
	s_waitcnt_depctr 0xfff
	v_mul_f64 v[26:27], v[9:10], v[24:25]
	v_mul_f64 v[24:25], v[24:25], 0.5
	v_fma_f64 v[28:29], -v[24:25], v[26:27], 0.5
	s_delay_alu instid0(VALU_DEP_1) | instskip(SKIP_1) | instid1(VALU_DEP_2)
	v_fma_f64 v[26:27], v[26:27], v[28:29], v[26:27]
	v_fma_f64 v[24:25], v[24:25], v[28:29], v[24:25]
	v_fma_f64 v[28:29], -v[26:27], v[26:27], v[9:10]
	s_delay_alu instid0(VALU_DEP_1) | instskip(NEXT) | instid1(VALU_DEP_1)
	v_fma_f64 v[26:27], v[28:29], v[24:25], v[26:27]
	v_fma_f64 v[28:29], -v[26:27], v[26:27], v[9:10]
	s_delay_alu instid0(VALU_DEP_1) | instskip(NEXT) | instid1(VALU_DEP_1)
	v_fma_f64 v[16:17], v[28:29], v[24:25], v[26:27]
	v_ldexp_f64 v[16:17], v[16:17], v20
	s_delay_alu instid0(VALU_DEP_1) | instskip(NEXT) | instid1(VALU_DEP_1)
	v_dual_cndmask_b32 v10, v17, v10 :: v_dual_cndmask_b32 v9, v16, v9
	v_div_scale_f64 v[16:17], null, v[9:10], v[9:10], v[2:3]
	s_delay_alu instid0(VALU_DEP_1) | instskip(SKIP_2) | instid1(VALU_DEP_1)
	v_rcp_f64_e32 v[18:19], v[16:17]
	s_waitcnt_depctr 0xfff
	v_fma_f64 v[20:21], -v[16:17], v[18:19], 1.0
	v_fma_f64 v[18:19], v[18:19], v[20:21], v[18:19]
	s_delay_alu instid0(VALU_DEP_1) | instskip(NEXT) | instid1(VALU_DEP_1)
	v_fma_f64 v[20:21], -v[16:17], v[18:19], 1.0
	v_fma_f64 v[18:19], v[18:19], v[20:21], v[18:19]
	v_div_scale_f64 v[20:21], vcc_lo, v[2:3], v[9:10], v[2:3]
	s_delay_alu instid0(VALU_DEP_1) | instskip(NEXT) | instid1(VALU_DEP_1)
	v_mul_f64 v[24:25], v[20:21], v[18:19]
	v_fma_f64 v[16:17], -v[16:17], v[24:25], v[20:21]
	s_delay_alu instid0(VALU_DEP_1) | instskip(NEXT) | instid1(VALU_DEP_1)
	v_div_fmas_f64 v[16:17], v[16:17], v[18:19], v[24:25]
	v_div_fixup_f64 v[9:10], v[16:17], v[9:10], v[2:3]
.LBB0_48:
	s_or_b32 exec_lo, exec_lo, s4
.LBB0_49:
	s_delay_alu instid0(SALU_CYCLE_1)
	s_or_b32 exec_lo, exec_lo, s3
.LBB0_50:
	s_delay_alu instid0(SALU_CYCLE_1) | instskip(SKIP_2) | instid1(VALU_DEP_1)
	s_or_b32 exec_lo, exec_lo, s2
	v_add_nc_u32_e32 v2, 0x300, v22
	s_mov_b32 s2, exec_lo
	v_cmpx_lt_i32_e64 v2, v4
	s_cbranch_execnz .LBB0_56
; %bb.51:
	s_or_b32 exec_lo, exec_lo, s2
	s_and_saveexec_b32 s2, s0
	s_delay_alu instid0(SALU_CYCLE_1)
	s_xor_b32 s0, exec_lo, s2
	s_cbranch_execnz .LBB0_69
.LBB0_52:
	s_or_b32 exec_lo, exec_lo, s0
	s_delay_alu instid0(SALU_CYCLE_1)
	s_mov_b32 s0, exec_lo
	v_cmpx_lt_i32_e64 v22, v4
	s_cbranch_execnz .LBB0_70
.LBB0_53:
	s_or_b32 exec_lo, exec_lo, s0
	s_delay_alu instid0(SALU_CYCLE_1)
	s_mov_b32 s0, exec_lo
	v_cmpx_lt_i32_e64 v22, v4
	s_cbranch_execnz .LBB0_71
.LBB0_54:
	s_or_b32 exec_lo, exec_lo, s0
	s_delay_alu instid0(SALU_CYCLE_1)
	s_mov_b32 s0, exec_lo
	v_cmpx_lt_i32_e64 v22, v4
	s_cbranch_execnz .LBB0_72
.LBB0_55:
	s_or_b32 exec_lo, exec_lo, s0
	s_waitcnt vmcnt(0) lgkmcnt(0)
	s_setpc_b64 s[30:31]
.LBB0_56:
	s_waitcnt vmcnt(0) lgkmcnt(0)
	v_cmp_ge_f64_e64 s3, 0x40200000, |v[14:15]|
	s_delay_alu instid0(VALU_DEP_1) | instskip(NEXT) | instid1(SALU_CYCLE_1)
	s_and_saveexec_b32 s4, s3
	s_xor_b32 s3, exec_lo, s4
	s_cbranch_execz .LBB0_62
; %bb.57:
	v_fma_f64 v[2:3], |v[14:15]|, 0.5, -2.0
	s_mov_b32 s4, 0xc38a0576
	s_mov_b32 s5, 0xbc7857d0
	;; [unrolled: 1-line block ×4, first 2 shown]
	s_delay_alu instid0(VALU_DEP_1) | instid1(SALU_CYCLE_1)
	v_fma_f64 v[11:12], v[2:3], s[6:7], s[4:5]
	s_mov_b32 s7, 0xbc499f2a
	s_mov_b32 s4, 0xe593bfac
	;; [unrolled: 1-line block ×3, first 2 shown]
	s_delay_alu instid0(VALU_DEP_1) | instskip(NEXT) | instid1(VALU_DEP_1)
	v_fma_f64 v[16:17], v[2:3], v[11:12], s[6:7]
	v_add_f64 v[16:17], v[16:17], s[4:5]
	s_mov_b32 s4, 0x7e0d1573
	s_mov_b32 s5, 0xbcd3eaaa
	s_delay_alu instid0(VALU_DEP_1) | instskip(NEXT) | instid1(VALU_DEP_1)
	v_fma_f64 v[11:12], v[2:3], v[16:17], -v[11:12]
	v_add_f64 v[11:12], v[11:12], s[4:5]
	s_mov_b32 s4, 0x615290c
	s_mov_b32 s5, 0x3d011d7f
	s_delay_alu instid0(VALU_DEP_1) | instskip(NEXT) | instid1(VALU_DEP_1)
	v_fma_f64 v[16:17], v[2:3], v[11:12], -v[16:17]
	;; [unrolled: 5-line block ×26, first 2 shown]
	v_add_f64 v[2:3], v[2:3], s[4:5]
	s_mov_b32 s4, exec_lo
	s_delay_alu instid0(VALU_DEP_1)
	v_add_f64 v[2:3], v[2:3], -v[16:17]
	v_cmpx_ngt_f64_e32 0, v[14:15]
	s_xor_b32 s4, exec_lo, s4
	s_cbranch_execz .LBB0_59
; %bb.58:
	s_mov_b32 s6, 0x652b82fe
	s_mov_b32 s7, 0x3ff71547
	;; [unrolled: 1-line block ×3, first 2 shown]
	v_mul_f64 v[11:12], |v[14:15]|, s[6:7]
	s_mov_b32 s6, 0xfefa39ef
	s_mov_b32 s7, 0xbfe62e42
	;; [unrolled: 1-line block ×3, first 2 shown]
	s_delay_alu instid0(VALU_DEP_3) | instskip(SKIP_1) | instid1(VALU_DEP_3)
	v_mul_f64 v[2:3], v[2:3], 0.5
	v_cmp_nlt_f64_e64 vcc_lo, 0x40900000, |v[14:15]|
	v_rndne_f64_e32 v[11:12], v[11:12]
	s_delay_alu instid0(VALU_DEP_3) | instskip(NEXT) | instid1(VALU_DEP_2)
	v_mul_f64 v[2:3], |v[14:15]|, v[2:3]
	v_fma_f64 v[16:17], v[11:12], s[6:7], |v[14:15]|
	s_mov_b32 s6, 0x3b39803f
	s_mov_b32 s7, 0xbc7abc9e
	v_cvt_i32_f64_e32 v20, v[11:12]
                                        ; implicit-def: $vgpr14_vgpr15
	s_delay_alu instid0(VALU_DEP_2)
	v_fma_f64 v[16:17], v[11:12], s[6:7], v[16:17]
	s_mov_b32 s6, 0xfca7ab0c
	s_mov_b32 s7, 0x3e928af3
	s_delay_alu instid0(VALU_DEP_1) | instid1(SALU_CYCLE_1)
	v_fma_f64 v[18:19], v[16:17], s[8:9], s[6:7]
	s_mov_b32 s6, 0x623fde64
	s_mov_b32 s7, 0x3ec71dee
	s_delay_alu instid0(VALU_DEP_1) | instid1(SALU_CYCLE_1)
	;; [unrolled: 4-line block ×9, first 2 shown]
	v_fma_f64 v[18:19], v[16:17], v[18:19], s[6:7]
	s_delay_alu instid0(VALU_DEP_1) | instskip(NEXT) | instid1(VALU_DEP_1)
	v_fma_f64 v[18:19], v[16:17], v[18:19], 1.0
	v_fma_f64 v[11:12], v[16:17], v[18:19], 1.0
	s_delay_alu instid0(VALU_DEP_1) | instskip(NEXT) | instid1(VALU_DEP_1)
	v_ldexp_f64 v[11:12], v[11:12], v20
	v_cndmask_b32_e32 v12, 0x7ff00000, v12, vcc_lo
	s_delay_alu instid0(VALU_DEP_2) | instskip(NEXT) | instid1(VALU_DEP_1)
	v_cndmask_b32_e32 v11, 0, v11, vcc_lo
	v_mul_f64 v[11:12], v[11:12], v[2:3]
                                        ; implicit-def: $vgpr2_vgpr3
.LBB0_59:
	s_and_not1_saveexec_b32 s4, s4
	s_cbranch_execz .LBB0_61
; %bb.60:
	s_mov_b32 s6, 0x652b82fe
	s_mov_b32 s7, 0x3ff71547
	;; [unrolled: 1-line block ×3, first 2 shown]
	v_mul_f64 v[11:12], |v[14:15]|, s[6:7]
	s_mov_b32 s6, 0xfefa39ef
	s_mov_b32 s7, 0xbfe62e42
	;; [unrolled: 1-line block ×3, first 2 shown]
	s_delay_alu instid0(VALU_DEP_3) | instskip(SKIP_1) | instid1(VALU_DEP_3)
	v_mul_f64 v[2:3], v[2:3], -0.5
	v_cmp_nlt_f64_e64 vcc_lo, 0x40900000, |v[14:15]|
	v_rndne_f64_e32 v[11:12], v[11:12]
	s_delay_alu instid0(VALU_DEP_3) | instskip(NEXT) | instid1(VALU_DEP_2)
	v_mul_f64 v[2:3], |v[14:15]|, v[2:3]
	v_fma_f64 v[16:17], v[11:12], s[6:7], |v[14:15]|
	s_mov_b32 s6, 0x3b39803f
	s_mov_b32 s7, 0xbc7abc9e
	v_cvt_i32_f64_e32 v20, v[11:12]
	s_delay_alu instid0(VALU_DEP_2)
	v_fma_f64 v[16:17], v[11:12], s[6:7], v[16:17]
	s_mov_b32 s6, 0xfca7ab0c
	s_mov_b32 s7, 0x3e928af3
	s_delay_alu instid0(VALU_DEP_1) | instid1(SALU_CYCLE_1)
	v_fma_f64 v[18:19], v[16:17], s[8:9], s[6:7]
	s_mov_b32 s6, 0x623fde64
	s_mov_b32 s7, 0x3ec71dee
	s_delay_alu instid0(VALU_DEP_1) | instid1(SALU_CYCLE_1)
	;; [unrolled: 4-line block ×9, first 2 shown]
	v_fma_f64 v[18:19], v[16:17], v[18:19], s[6:7]
	s_delay_alu instid0(VALU_DEP_1) | instskip(NEXT) | instid1(VALU_DEP_1)
	v_fma_f64 v[18:19], v[16:17], v[18:19], 1.0
	v_fma_f64 v[11:12], v[16:17], v[18:19], 1.0
	s_delay_alu instid0(VALU_DEP_1) | instskip(NEXT) | instid1(VALU_DEP_1)
	v_ldexp_f64 v[11:12], v[11:12], v20
	v_cndmask_b32_e32 v12, 0x7ff00000, v12, vcc_lo
	s_delay_alu instid0(VALU_DEP_2) | instskip(NEXT) | instid1(VALU_DEP_1)
	v_cndmask_b32_e32 v11, 0, v11, vcc_lo
	v_mul_f64 v[11:12], v[11:12], v[2:3]
.LBB0_61:
	s_or_b32 exec_lo, exec_lo, s4
                                        ; implicit-def: $vgpr14_vgpr15
.LBB0_62:
	s_and_not1_saveexec_b32 s3, s3
	s_cbranch_execz .LBB0_68
; %bb.63:
	v_dual_mov_b32 v2, v14 :: v_dual_and_b32 v3, 0x7fffffff, v15
	s_mov_b32 s4, 0xea87b950
	s_mov_b32 s5, 0x3c545b8a
	;; [unrolled: 1-line block ×4, first 2 shown]
	v_div_scale_f64 v[11:12], null, v[2:3], v[2:3], 0x40400000
	v_div_scale_f64 v[2:3], vcc_lo, 0x40400000, v[2:3], 0x40400000
	s_mov_b32 s8, 0x2e9e5443
	s_mov_b32 s9, 0xbe90dbfd
	s_delay_alu instid0(VALU_DEP_2) | instskip(SKIP_2) | instid1(VALU_DEP_1)
	v_rcp_f64_e32 v[16:17], v[11:12]
	s_waitcnt_depctr 0xfff
	v_fma_f64 v[18:19], -v[11:12], v[16:17], 1.0
	v_fma_f64 v[16:17], v[16:17], v[18:19], v[16:17]
	s_delay_alu instid0(VALU_DEP_1) | instskip(NEXT) | instid1(VALU_DEP_1)
	v_fma_f64 v[18:19], -v[11:12], v[16:17], 1.0
	v_fma_f64 v[16:17], v[16:17], v[18:19], v[16:17]
	s_delay_alu instid0(VALU_DEP_1) | instskip(NEXT) | instid1(VALU_DEP_1)
	v_mul_f64 v[18:19], v[2:3], v[16:17]
	v_fma_f64 v[2:3], -v[11:12], v[18:19], v[2:3]
	s_delay_alu instid0(VALU_DEP_1) | instskip(NEXT) | instid1(VALU_DEP_1)
	v_div_fmas_f64 v[2:3], v[2:3], v[16:17], v[18:19]
	v_div_fixup_f64 v[2:3], v[2:3], |v[14:15]|, 0x40400000
	s_delay_alu instid0(VALU_DEP_1) | instskip(NEXT) | instid1(VALU_DEP_1)
	v_add_f64 v[2:3], v[2:3], -2.0
	v_fma_f64 v[11:12], v[2:3], s[6:7], s[4:5]
	s_mov_b32 s7, 0xbc61556d
	s_mov_b32 s4, 0xb2532277
	;; [unrolled: 1-line block ×3, first 2 shown]
	s_delay_alu instid0(VALU_DEP_1) | instskip(SKIP_2) | instid1(VALU_DEP_1)
	v_fma_f64 v[16:17], v[2:3], v[11:12], s[6:7]
	s_mov_b32 s6, 0x9ad53528
	s_mov_b32 s7, 0xbe30790b
	v_add_f64 v[16:17], v[16:17], s[4:5]
	s_mov_b32 s4, 0x9c773320
	s_mov_b32 s5, 0xbc82806c
	s_delay_alu instid0(VALU_DEP_1) | instskip(NEXT) | instid1(VALU_DEP_1)
	v_fma_f64 v[11:12], v[2:3], v[16:17], -v[11:12]
	v_add_f64 v[11:12], v[11:12], s[4:5]
	s_mov_b32 s4, 0xfceb588a
	s_mov_b32 s5, 0x3cb55915
	s_delay_alu instid0(VALU_DEP_1) | instskip(NEXT) | instid1(VALU_DEP_1)
	v_fma_f64 v[16:17], v[2:3], v[11:12], -v[16:17]
	;; [unrolled: 5-line block ×15, first 2 shown]
	v_add_f64 v[11:12], v[11:12], s[4:5]
	s_mov_b32 s4, 0x652b82fe
	s_mov_b32 s5, 0x3ff71547
	s_delay_alu instid0(SALU_CYCLE_1) | instskip(SKIP_2) | instid1(VALU_DEP_2)
	v_mul_f64 v[18:19], |v[14:15]|, s[4:5]
	s_mov_b32 s4, 0xfefa39ef
	s_mov_b32 s5, 0xbfe62e42
	v_fma_f64 v[16:17], v[2:3], v[11:12], -v[16:17]
	s_delay_alu instid0(VALU_DEP_2) | instskip(NEXT) | instid1(VALU_DEP_2)
	v_rndne_f64_e32 v[18:19], v[18:19]
	v_add_f64 v[16:17], v[16:17], s[6:7]
	s_mov_b32 s6, 0x94bb46c1
	s_mov_b32 s7, 0xbe5c4153
	s_delay_alu instid0(VALU_DEP_2) | instskip(SKIP_2) | instid1(VALU_DEP_2)
	v_fma_f64 v[20:21], v[18:19], s[4:5], |v[14:15]|
	s_mov_b32 s4, 0x3b39803f
	s_mov_b32 s5, 0xbc7abc9e
	v_fma_f64 v[11:12], v[2:3], v[16:17], -v[11:12]
	s_delay_alu instid0(VALU_DEP_2) | instskip(SKIP_3) | instid1(VALU_DEP_3)
	v_fma_f64 v[20:21], v[18:19], s[4:5], v[20:21]
	s_mov_b32 s4, 0xfca7ab0c
	s_mov_b32 s5, 0x3e928af3
	v_cvt_i32_f64_e32 v18, v[18:19]
	v_add_f64 v[11:12], v[11:12], s[6:7]
	s_mov_b32 s6, 0x6a5dcb37
	s_mov_b32 s7, 0x3e5ade15
	s_delay_alu instid0(VALU_DEP_3) | instid1(SALU_CYCLE_1)
	v_fma_f64 v[24:25], v[20:21], s[6:7], s[4:5]
	s_mov_b32 s4, 0x623fde64
	s_mov_b32 s5, 0x3ec71dee
	;; [unrolled: 1-line block ×4, first 2 shown]
	s_delay_alu instid0(VALU_DEP_2) | instskip(NEXT) | instid1(VALU_DEP_2)
	v_fma_f64 v[16:17], v[2:3], v[11:12], -v[16:17]
	v_fma_f64 v[24:25], v[20:21], v[24:25], s[4:5]
	s_mov_b32 s4, 0x7c89e6b0
	s_mov_b32 s5, 0x3efa0199
	s_delay_alu instid0(VALU_DEP_2) | instskip(NEXT) | instid1(VALU_DEP_2)
	v_add_f64 v[16:17], v[16:17], s[8:9]
	v_fma_f64 v[24:25], v[20:21], v[24:25], s[4:5]
	s_mov_b32 s4, 0x14761f6e
	s_mov_b32 s5, 0x3f2a01a0
	s_delay_alu instid0(VALU_DEP_2) | instskip(NEXT) | instid1(VALU_DEP_2)
	v_fma_f64 v[11:12], v[2:3], v[16:17], -v[11:12]
	v_fma_f64 v[24:25], v[20:21], v[24:25], s[4:5]
	s_mov_b32 s4, 0x1852b7b0
	s_mov_b32 s5, 0x3f56c16c
	s_delay_alu instid0(VALU_DEP_2) | instskip(SKIP_2) | instid1(VALU_DEP_2)
	v_add_f64 v[11:12], v[11:12], s[6:7]
	s_mov_b32 s6, 0x804aa9a6
	s_mov_b32 s7, 0xbf1cfd7f
	v_fma_f64 v[24:25], v[20:21], v[24:25], s[4:5]
	s_mov_b32 s4, 0x11122322
	s_mov_b32 s5, 0x3f811111
	s_delay_alu instid0(VALU_DEP_2) | instskip(NEXT) | instid1(VALU_DEP_2)
	v_fma_f64 v[16:17], v[2:3], v[11:12], -v[16:17]
	v_fma_f64 v[24:25], v[20:21], v[24:25], s[4:5]
	s_mov_b32 s4, 0x555502a1
	s_mov_b32 s5, 0x3fa55555
	s_delay_alu instid0(VALU_DEP_2) | instskip(SKIP_2) | instid1(VALU_DEP_2)
	v_add_f64 v[16:17], v[16:17], s[6:7]
	s_mov_b32 s6, 0x53fcdb4c
	s_mov_b32 s7, 0xbf83fda0
	v_fma_f64 v[24:25], v[20:21], v[24:25], s[4:5]
	s_mov_b32 s4, 0x55555511
	s_mov_b32 s5, 0x3fc55555
	s_delay_alu instid0(VALU_DEP_2) | instskip(NEXT) | instid1(VALU_DEP_2)
	v_fma_f64 v[11:12], v[2:3], v[16:17], -v[11:12]
	v_fma_f64 v[24:25], v[20:21], v[24:25], s[4:5]
	s_mov_b32 s4, 11
	s_mov_b32 s5, 0x3fe00000
	s_delay_alu instid0(VALU_DEP_2) | instskip(SKIP_2) | instid1(VALU_DEP_1)
	v_add_f64 v[11:12], v[11:12], s[6:7]
	s_mov_b32 s6, 0xb55b1514
	s_mov_b32 s7, 0x3fe8ea18
	v_fma_f64 v[2:3], v[2:3], v[11:12], -v[16:17]
	s_delay_alu instid0(VALU_DEP_3) | instskip(SKIP_1) | instid1(VALU_DEP_2)
	v_fma_f64 v[11:12], v[20:21], v[24:25], s[4:5]
	s_mov_b32 s4, exec_lo
	v_add_f64 v[2:3], v[2:3], s[6:7]
	s_delay_alu instid0(VALU_DEP_2) | instskip(NEXT) | instid1(VALU_DEP_2)
	v_fma_f64 v[11:12], v[20:21], v[11:12], 1.0
	v_add_f64 v[2:3], v[2:3], -v[16:17]
	s_delay_alu instid0(VALU_DEP_2) | instskip(NEXT) | instid1(VALU_DEP_2)
	v_fma_f64 v[16:17], v[20:21], v[11:12], 1.0
	v_mul_f64 v[2:3], v[2:3], 0.5
	v_cmpx_ngt_f64_e32 0, v[14:15]
	s_xor_b32 s4, exec_lo, s4
	s_cbranch_execz .LBB0_65
; %bb.64:
	v_cmp_gt_f64_e64 s5, 0x10000000, |v[14:15]|
	s_delay_alu instid0(VALU_DEP_4) | instskip(SKIP_1) | instid1(VALU_DEP_3)
	v_ldexp_f64 v[16:17], v[16:17], v18
	v_cmp_nlt_f64_e64 vcc_lo, 0x40900000, |v[14:15]|
	v_cndmask_b32_e64 v11, 0, 1, s5
	v_cndmask_b32_e64 v18, 0, 0xffffff80, s5
	s_delay_alu instid0(VALU_DEP_4) | instskip(NEXT) | instid1(VALU_DEP_3)
	v_cndmask_b32_e32 v17, 0x7ff00000, v17, vcc_lo
	v_dual_cndmask_b32 v16, 0, v16 :: v_dual_lshlrev_b32 v11, 8, v11
	s_delay_alu instid0(VALU_DEP_1) | instskip(NEXT) | instid1(VALU_DEP_2)
	v_mul_f64 v[2:3], v[16:17], v[2:3]
	v_ldexp_f64 v[11:12], |v[14:15]|, v11
	s_delay_alu instid0(VALU_DEP_1) | instskip(SKIP_4) | instid1(VALU_DEP_1)
	v_rsq_f64_e32 v[19:20], v[11:12]
	v_cmp_class_f64_e64 vcc_lo, v[11:12], 0x260
	s_waitcnt_depctr 0xfff
	v_mul_f64 v[24:25], v[11:12], v[19:20]
	v_mul_f64 v[19:20], v[19:20], 0.5
	v_fma_f64 v[26:27], -v[19:20], v[24:25], 0.5
	s_delay_alu instid0(VALU_DEP_1) | instskip(SKIP_1) | instid1(VALU_DEP_2)
	v_fma_f64 v[24:25], v[24:25], v[26:27], v[24:25]
	v_fma_f64 v[19:20], v[19:20], v[26:27], v[19:20]
	v_fma_f64 v[26:27], -v[24:25], v[24:25], v[11:12]
	s_delay_alu instid0(VALU_DEP_1) | instskip(NEXT) | instid1(VALU_DEP_1)
	v_fma_f64 v[24:25], v[26:27], v[19:20], v[24:25]
	v_fma_f64 v[26:27], -v[24:25], v[24:25], v[11:12]
	s_delay_alu instid0(VALU_DEP_1) | instskip(NEXT) | instid1(VALU_DEP_1)
	v_fma_f64 v[14:15], v[26:27], v[19:20], v[24:25]
	v_ldexp_f64 v[14:15], v[14:15], v18
	s_delay_alu instid0(VALU_DEP_1) | instskip(NEXT) | instid1(VALU_DEP_1)
	v_dual_cndmask_b32 v12, v15, v12 :: v_dual_cndmask_b32 v11, v14, v11
	v_div_scale_f64 v[14:15], null, v[11:12], v[11:12], v[2:3]
	s_delay_alu instid0(VALU_DEP_1) | instskip(SKIP_2) | instid1(VALU_DEP_1)
	v_rcp_f64_e32 v[16:17], v[14:15]
	s_waitcnt_depctr 0xfff
	v_fma_f64 v[18:19], -v[14:15], v[16:17], 1.0
	v_fma_f64 v[16:17], v[16:17], v[18:19], v[16:17]
	s_delay_alu instid0(VALU_DEP_1) | instskip(NEXT) | instid1(VALU_DEP_1)
	v_fma_f64 v[18:19], -v[14:15], v[16:17], 1.0
	v_fma_f64 v[16:17], v[16:17], v[18:19], v[16:17]
	v_div_scale_f64 v[18:19], vcc_lo, v[2:3], v[11:12], v[2:3]
	s_delay_alu instid0(VALU_DEP_1) | instskip(NEXT) | instid1(VALU_DEP_1)
	v_mul_f64 v[20:21], v[18:19], v[16:17]
	v_fma_f64 v[14:15], -v[14:15], v[20:21], v[18:19]
                                        ; implicit-def: $vgpr18
	s_delay_alu instid0(VALU_DEP_1) | instskip(NEXT) | instid1(VALU_DEP_1)
	v_div_fmas_f64 v[14:15], v[14:15], v[16:17], v[20:21]
                                        ; implicit-def: $vgpr16_vgpr17
	v_div_fixup_f64 v[11:12], v[14:15], v[11:12], v[2:3]
                                        ; implicit-def: $vgpr14_vgpr15
                                        ; implicit-def: $vgpr2_vgpr3
.LBB0_65:
	s_and_not1_saveexec_b32 s4, s4
	s_cbranch_execz .LBB0_67
; %bb.66:
	v_cmp_gt_f64_e64 s5, 0x10000000, |v[14:15]|
	s_delay_alu instid0(VALU_DEP_4) | instskip(SKIP_1) | instid1(VALU_DEP_3)
	v_ldexp_f64 v[16:17], -v[16:17], v18
	v_cmp_nlt_f64_e64 vcc_lo, 0x40900000, |v[14:15]|
	v_cndmask_b32_e64 v11, 0, 1, s5
	v_cndmask_b32_e64 v18, 0, 0xffffff80, s5
	s_delay_alu instid0(VALU_DEP_4) | instskip(NEXT) | instid1(VALU_DEP_3)
	v_cndmask_b32_e32 v17, 0xfff00000, v17, vcc_lo
	v_dual_cndmask_b32 v16, 0, v16 :: v_dual_lshlrev_b32 v11, 8, v11
	s_delay_alu instid0(VALU_DEP_1) | instskip(NEXT) | instid1(VALU_DEP_2)
	v_mul_f64 v[2:3], v[16:17], v[2:3]
	v_ldexp_f64 v[11:12], |v[14:15]|, v11
	s_delay_alu instid0(VALU_DEP_1) | instskip(SKIP_4) | instid1(VALU_DEP_1)
	v_rsq_f64_e32 v[19:20], v[11:12]
	v_cmp_class_f64_e64 vcc_lo, v[11:12], 0x260
	s_waitcnt_depctr 0xfff
	v_mul_f64 v[24:25], v[11:12], v[19:20]
	v_mul_f64 v[19:20], v[19:20], 0.5
	v_fma_f64 v[26:27], -v[19:20], v[24:25], 0.5
	s_delay_alu instid0(VALU_DEP_1) | instskip(SKIP_1) | instid1(VALU_DEP_2)
	v_fma_f64 v[24:25], v[24:25], v[26:27], v[24:25]
	v_fma_f64 v[19:20], v[19:20], v[26:27], v[19:20]
	v_fma_f64 v[26:27], -v[24:25], v[24:25], v[11:12]
	s_delay_alu instid0(VALU_DEP_1) | instskip(NEXT) | instid1(VALU_DEP_1)
	v_fma_f64 v[24:25], v[26:27], v[19:20], v[24:25]
	v_fma_f64 v[26:27], -v[24:25], v[24:25], v[11:12]
	s_delay_alu instid0(VALU_DEP_1) | instskip(NEXT) | instid1(VALU_DEP_1)
	v_fma_f64 v[14:15], v[26:27], v[19:20], v[24:25]
	v_ldexp_f64 v[14:15], v[14:15], v18
	s_delay_alu instid0(VALU_DEP_1) | instskip(NEXT) | instid1(VALU_DEP_1)
	v_dual_cndmask_b32 v12, v15, v12 :: v_dual_cndmask_b32 v11, v14, v11
	v_div_scale_f64 v[14:15], null, v[11:12], v[11:12], v[2:3]
	s_delay_alu instid0(VALU_DEP_1) | instskip(SKIP_2) | instid1(VALU_DEP_1)
	v_rcp_f64_e32 v[16:17], v[14:15]
	s_waitcnt_depctr 0xfff
	v_fma_f64 v[18:19], -v[14:15], v[16:17], 1.0
	v_fma_f64 v[16:17], v[16:17], v[18:19], v[16:17]
	s_delay_alu instid0(VALU_DEP_1) | instskip(NEXT) | instid1(VALU_DEP_1)
	v_fma_f64 v[18:19], -v[14:15], v[16:17], 1.0
	v_fma_f64 v[16:17], v[16:17], v[18:19], v[16:17]
	v_div_scale_f64 v[18:19], vcc_lo, v[2:3], v[11:12], v[2:3]
	s_delay_alu instid0(VALU_DEP_1) | instskip(NEXT) | instid1(VALU_DEP_1)
	v_mul_f64 v[20:21], v[18:19], v[16:17]
	v_fma_f64 v[14:15], -v[14:15], v[20:21], v[18:19]
	s_delay_alu instid0(VALU_DEP_1) | instskip(NEXT) | instid1(VALU_DEP_1)
	v_div_fmas_f64 v[14:15], v[14:15], v[16:17], v[20:21]
	v_div_fixup_f64 v[11:12], v[14:15], v[11:12], v[2:3]
.LBB0_67:
	s_or_b32 exec_lo, exec_lo, s4
.LBB0_68:
	s_delay_alu instid0(SALU_CYCLE_1) | instskip(NEXT) | instid1(SALU_CYCLE_1)
	s_or_b32 exec_lo, exec_lo, s3
	s_or_b32 exec_lo, exec_lo, s2
	s_and_saveexec_b32 s2, s0
	s_delay_alu instid0(SALU_CYCLE_1)
	s_xor_b32 s0, exec_lo, s2
	s_cbranch_execz .LBB0_52
.LBB0_69:
	s_waitcnt vmcnt(0) lgkmcnt(0)
	v_mov_b32_e32 v14, 0
	v_mov_b32_e32 v22, v23
	s_delay_alu instid0(VALU_DEP_2) | instskip(NEXT) | instid1(VALU_DEP_1)
	v_lshlrev_b64 v[2:3], 3, v[13:14]
	v_add_co_u32 v2, vcc_lo, v0, v2
	s_delay_alu instid0(VALU_DEP_2) | instskip(SKIP_2) | instid1(SALU_CYCLE_1)
	v_add_co_ci_u32_e32 v3, vcc_lo, v1, v3, vcc_lo
	flat_store_b64 v[2:3], v[5:6]
	s_or_b32 exec_lo, exec_lo, s0
	s_mov_b32 s0, exec_lo
	v_cmpx_lt_i32_e64 v22, v4
	s_cbranch_execz .LBB0_53
.LBB0_70:
	v_dual_mov_b32 v3, 0 :: v_dual_add_nc_u32 v2, s1, v22
	v_add_nc_u32_e32 v22, 0x100, v22
	s_delay_alu instid0(VALU_DEP_2) | instskip(NEXT) | instid1(VALU_DEP_1)
	v_lshlrev_b64 v[2:3], 3, v[2:3]
	v_add_co_u32 v2, vcc_lo, v0, v2
	s_delay_alu instid0(VALU_DEP_2) | instskip(SKIP_2) | instid1(SALU_CYCLE_1)
	v_add_co_ci_u32_e32 v3, vcc_lo, v1, v3, vcc_lo
	flat_store_b64 v[2:3], v[7:8]
	s_or_b32 exec_lo, exec_lo, s0
	s_mov_b32 s0, exec_lo
	v_cmpx_lt_i32_e64 v22, v4
	s_cbranch_execz .LBB0_54
.LBB0_71:
	v_dual_mov_b32 v3, 0 :: v_dual_add_nc_u32 v2, s1, v22
	v_add_nc_u32_e32 v22, 0x100, v22
	s_delay_alu instid0(VALU_DEP_2) | instskip(NEXT) | instid1(VALU_DEP_1)
	v_lshlrev_b64 v[2:3], 3, v[2:3]
	v_add_co_u32 v2, vcc_lo, v0, v2
	s_delay_alu instid0(VALU_DEP_2) | instskip(SKIP_2) | instid1(SALU_CYCLE_1)
	v_add_co_ci_u32_e32 v3, vcc_lo, v1, v3, vcc_lo
	flat_store_b64 v[2:3], v[9:10]
	s_or_b32 exec_lo, exec_lo, s0
	s_mov_b32 s0, exec_lo
	v_cmpx_lt_i32_e64 v22, v4
	s_cbranch_execz .LBB0_55
.LBB0_72:
	v_dual_mov_b32 v3, 0 :: v_dual_add_nc_u32 v2, s1, v22
	s_delay_alu instid0(VALU_DEP_1) | instskip(NEXT) | instid1(VALU_DEP_1)
	v_lshlrev_b64 v[2:3], 3, v[2:3]
	v_add_co_u32 v0, vcc_lo, v0, v2
	s_delay_alu instid0(VALU_DEP_2)
	v_add_co_ci_u32_e32 v1, vcc_lo, v1, v3, vcc_lo
	flat_store_b64 v[0:1], v[11:12]
	s_or_b32 exec_lo, exec_lo, s0
	s_waitcnt vmcnt(0) lgkmcnt(0)
	s_setpc_b64 s[30:31]
.Lfunc_end0:
	.size	_ZN2at6native25elementwise_kernel_helperILb0EZZZNS0_12_GLOBAL__N_130modified_bessel_i1_kernel_cudaERNS_18TensorIteratorBaseEENKUlvE_clEvENKUlvE_clEvEUldE_NS0_6memory8policies11unroll_baseILi256ESt5arrayIPcLm2EE23TrivialOffsetCalculatorILi1EjESF_NS8_15LoadWithoutCastENS8_16StoreWithoutCastELi4ELi1EEEEEvT0_T1_, .Lfunc_end0-_ZN2at6native25elementwise_kernel_helperILb0EZZZNS0_12_GLOBAL__N_130modified_bessel_i1_kernel_cudaERNS_18TensorIteratorBaseEENKUlvE_clEvENKUlvE_clEvEUldE_NS0_6memory8policies11unroll_baseILi256ESt5arrayIPcLm2EE23TrivialOffsetCalculatorILi1EjESF_NS8_15LoadWithoutCastENS8_16StoreWithoutCastELi4ELi1EEEEEvT0_T1_
                                        ; -- End function
	.section	.AMDGPU.csdata,"",@progbits
; Function info:
; codeLenInByte = 17208
; NumSgprs: 34
; NumVgprs: 32
; ScratchSize: 0
; MemoryBound: 0
	.text
	.p2align	2                               ; -- Begin function _ZN2at6native25elementwise_kernel_helperILb0EZZZNS0_12_GLOBAL__N_130modified_bessel_i1_kernel_cudaERNS_18TensorIteratorBaseEENKUlvE_clEvENKUlvE_clEvEUldE_NS0_6memory8policies10vectorizedILi4ESt5arrayIPcLm2EELi4EEEEEvT0_T1_
	.type	_ZN2at6native25elementwise_kernel_helperILb0EZZZNS0_12_GLOBAL__N_130modified_bessel_i1_kernel_cudaERNS_18TensorIteratorBaseEENKUlvE_clEvENKUlvE_clEvEUldE_NS0_6memory8policies10vectorizedILi4ESt5arrayIPcLm2EELi4EEEEEvT0_T1_,@function
_ZN2at6native25elementwise_kernel_helperILb0EZZZNS0_12_GLOBAL__N_130modified_bessel_i1_kernel_cudaERNS_18TensorIteratorBaseEENKUlvE_clEvENKUlvE_clEvEUldE_NS0_6memory8policies10vectorizedILi4ESt5arrayIPcLm2EELi4EEEEEvT0_T1_: ; @_ZN2at6native25elementwise_kernel_helperILb0EZZZNS0_12_GLOBAL__N_130modified_bessel_i1_kernel_cudaERNS_18TensorIteratorBaseEENKUlvE_clEvENKUlvE_clEvEUldE_NS0_6memory8policies10vectorizedILi4ESt5arrayIPcLm2EELi4EEEEEvT0_T1_
; %bb.0:
	s_waitcnt vmcnt(0) expcnt(0) lgkmcnt(0)
	s_lshl_b32 s0, s12, 10
	v_and_b32_e32 v4, 0x3ff, v31
	s_ashr_i32 s1, s0, 31
                                        ; implicit-def: $vgpr6_vgpr7
	s_delay_alu instid0(SALU_CYCLE_1) | instskip(NEXT) | instid1(VALU_DEP_1)
	s_lshl_b64 s[0:1], s[0:1], 3
	v_lshlrev_b32_e32 v16, 5, v4
	v_add_co_u32 v2, vcc_lo, v2, s0
	v_add_co_ci_u32_e32 v3, vcc_lo, s1, v3, vcc_lo
	s_delay_alu instid0(VALU_DEP_2) | instskip(NEXT) | instid1(VALU_DEP_2)
	v_add_co_u32 v2, vcc_lo, v2, v16
	v_add_co_ci_u32_e32 v3, vcc_lo, 0, v3, vcc_lo
	s_clause 0x1
	flat_load_b128 v[8:11], v[2:3]
	flat_load_b128 v[2:5], v[2:3] offset:16
	s_waitcnt vmcnt(1) lgkmcnt(1)
	v_cmp_ge_f64_e64 s2, 0x40200000, |v[8:9]|
	s_delay_alu instid0(VALU_DEP_1) | instskip(NEXT) | instid1(SALU_CYCLE_1)
	s_and_saveexec_b32 s3, s2
	s_xor_b32 s2, exec_lo, s3
	s_cbranch_execz .LBB1_6
; %bb.1:
	v_fma_f64 v[6:7], |v[8:9]|, 0.5, -2.0
	s_mov_b32 s4, 0xc38a0576
	s_mov_b32 s5, 0xbc7857d0
	;; [unrolled: 1-line block ×4, first 2 shown]
	s_mov_b32 s3, exec_lo
	s_delay_alu instid0(VALU_DEP_1) | instskip(SKIP_3) | instid1(VALU_DEP_1)
	v_fma_f64 v[12:13], v[6:7], s[6:7], s[4:5]
	s_mov_b32 s7, 0xbc499f2a
	s_mov_b32 s4, 0xe593bfac
	;; [unrolled: 1-line block ×3, first 2 shown]
	v_fma_f64 v[14:15], v[6:7], v[12:13], s[6:7]
	s_delay_alu instid0(VALU_DEP_1) | instskip(SKIP_2) | instid1(VALU_DEP_1)
	v_add_f64 v[14:15], v[14:15], s[4:5]
	s_mov_b32 s4, 0x7e0d1573
	s_mov_b32 s5, 0xbcd3eaaa
	v_fma_f64 v[12:13], v[6:7], v[14:15], -v[12:13]
	s_delay_alu instid0(VALU_DEP_1) | instskip(SKIP_2) | instid1(VALU_DEP_1)
	v_add_f64 v[12:13], v[12:13], s[4:5]
	s_mov_b32 s4, 0x615290c
	s_mov_b32 s5, 0x3d011d7f
	v_fma_f64 v[14:15], v[6:7], v[12:13], -v[14:15]
	;; [unrolled: 5-line block ×26, first 2 shown]
	s_delay_alu instid0(VALU_DEP_1) | instskip(NEXT) | instid1(VALU_DEP_1)
	v_add_f64 v[6:7], v[6:7], s[4:5]
	v_add_f64 v[12:13], v[6:7], -v[14:15]
                                        ; implicit-def: $vgpr6_vgpr7
	v_cmpx_ngt_f64_e32 0, v[8:9]
	s_xor_b32 s3, exec_lo, s3
	s_cbranch_execz .LBB1_3
; %bb.2:
	s_mov_b32 s4, 0x652b82fe
	s_mov_b32 s5, 0x3ff71547
	;; [unrolled: 1-line block ×3, first 2 shown]
	v_mul_f64 v[6:7], |v[8:9]|, s[4:5]
	s_mov_b32 s4, 0xfefa39ef
	s_mov_b32 s5, 0xbfe62e42
	;; [unrolled: 1-line block ×3, first 2 shown]
	s_delay_alu instid0(VALU_DEP_3) | instskip(SKIP_1) | instid1(VALU_DEP_3)
	v_mul_f64 v[12:13], v[12:13], 0.5
	v_cmp_nlt_f64_e64 vcc_lo, 0x40900000, |v[8:9]|
	v_rndne_f64_e32 v[6:7], v[6:7]
	s_delay_alu instid0(VALU_DEP_1) | instskip(SKIP_4) | instid1(VALU_DEP_3)
	v_fma_f64 v[14:15], v[6:7], s[4:5], |v[8:9]|
	s_mov_b32 s4, 0x3b39803f
	s_mov_b32 s5, 0xbc7abc9e
	v_cvt_i32_f64_e32 v19, v[6:7]
	v_mul_f64 v[8:9], |v[8:9]|, v[12:13]
                                        ; implicit-def: $vgpr12_vgpr13
	v_fma_f64 v[14:15], v[6:7], s[4:5], v[14:15]
	s_mov_b32 s4, 0xfca7ab0c
	s_mov_b32 s5, 0x3e928af3
	s_delay_alu instid0(VALU_DEP_1) | instid1(SALU_CYCLE_1)
	v_fma_f64 v[17:18], v[14:15], s[6:7], s[4:5]
	s_mov_b32 s4, 0x623fde64
	s_mov_b32 s5, 0x3ec71dee
	s_delay_alu instid0(VALU_DEP_1) | instid1(SALU_CYCLE_1)
	;; [unrolled: 4-line block ×9, first 2 shown]
	v_fma_f64 v[17:18], v[14:15], v[17:18], s[4:5]
	s_delay_alu instid0(VALU_DEP_1) | instskip(NEXT) | instid1(VALU_DEP_1)
	v_fma_f64 v[17:18], v[14:15], v[17:18], 1.0
	v_fma_f64 v[6:7], v[14:15], v[17:18], 1.0
	s_delay_alu instid0(VALU_DEP_1) | instskip(NEXT) | instid1(VALU_DEP_1)
	v_ldexp_f64 v[6:7], v[6:7], v19
	v_cndmask_b32_e32 v7, 0x7ff00000, v7, vcc_lo
	s_delay_alu instid0(VALU_DEP_2) | instskip(NEXT) | instid1(VALU_DEP_1)
	v_cndmask_b32_e32 v6, 0, v6, vcc_lo
	v_mul_f64 v[6:7], v[6:7], v[8:9]
.LBB1_3:
	s_and_not1_saveexec_b32 s3, s3
	s_cbranch_execz .LBB1_5
; %bb.4:
	s_mov_b32 s4, 0x652b82fe
	s_mov_b32 s5, 0x3ff71547
	;; [unrolled: 1-line block ×3, first 2 shown]
	v_mul_f64 v[6:7], |v[8:9]|, s[4:5]
	s_mov_b32 s4, 0xfefa39ef
	s_mov_b32 s5, 0xbfe62e42
	;; [unrolled: 1-line block ×3, first 2 shown]
	s_delay_alu instid0(VALU_DEP_3) | instskip(SKIP_1) | instid1(VALU_DEP_3)
	v_mul_f64 v[12:13], v[12:13], -0.5
	v_cmp_nlt_f64_e64 vcc_lo, 0x40900000, |v[8:9]|
	v_rndne_f64_e32 v[6:7], v[6:7]
	s_delay_alu instid0(VALU_DEP_1) | instskip(SKIP_4) | instid1(VALU_DEP_3)
	v_fma_f64 v[14:15], v[6:7], s[4:5], |v[8:9]|
	s_mov_b32 s4, 0x3b39803f
	s_mov_b32 s5, 0xbc7abc9e
	v_cvt_i32_f64_e32 v19, v[6:7]
	v_mul_f64 v[8:9], |v[8:9]|, v[12:13]
	v_fma_f64 v[14:15], v[6:7], s[4:5], v[14:15]
	s_mov_b32 s4, 0xfca7ab0c
	s_mov_b32 s5, 0x3e928af3
	s_delay_alu instid0(VALU_DEP_1) | instid1(SALU_CYCLE_1)
	v_fma_f64 v[17:18], v[14:15], s[6:7], s[4:5]
	s_mov_b32 s4, 0x623fde64
	s_mov_b32 s5, 0x3ec71dee
	s_delay_alu instid0(VALU_DEP_1) | instid1(SALU_CYCLE_1)
	;; [unrolled: 4-line block ×9, first 2 shown]
	v_fma_f64 v[17:18], v[14:15], v[17:18], s[4:5]
	s_delay_alu instid0(VALU_DEP_1) | instskip(NEXT) | instid1(VALU_DEP_1)
	v_fma_f64 v[17:18], v[14:15], v[17:18], 1.0
	v_fma_f64 v[6:7], v[14:15], v[17:18], 1.0
	s_delay_alu instid0(VALU_DEP_1) | instskip(NEXT) | instid1(VALU_DEP_1)
	v_ldexp_f64 v[6:7], v[6:7], v19
	v_cndmask_b32_e32 v7, 0x7ff00000, v7, vcc_lo
	s_delay_alu instid0(VALU_DEP_2) | instskip(NEXT) | instid1(VALU_DEP_1)
	v_cndmask_b32_e32 v6, 0, v6, vcc_lo
	v_mul_f64 v[6:7], v[6:7], v[8:9]
.LBB1_5:
	s_or_b32 exec_lo, exec_lo, s3
.LBB1_6:
	s_and_not1_saveexec_b32 s2, s2
	s_cbranch_execz .LBB1_12
; %bb.7:
	v_dual_mov_b32 v6, v8 :: v_dual_and_b32 v7, 0x7fffffff, v9
	s_mov_b32 s4, 0xea87b950
	s_mov_b32 s5, 0x3c545b8a
	;; [unrolled: 1-line block ×4, first 2 shown]
	v_div_scale_f64 v[12:13], null, v[6:7], v[6:7], 0x40400000
	v_div_scale_f64 v[6:7], vcc_lo, 0x40400000, v[6:7], 0x40400000
	s_mov_b32 s8, 0x2e9e5443
	s_mov_b32 s9, 0xbe90dbfd
	s_mov_b32 s3, exec_lo
	s_delay_alu instid0(VALU_DEP_2) | instskip(SKIP_2) | instid1(VALU_DEP_1)
	v_rcp_f64_e32 v[14:15], v[12:13]
	s_waitcnt_depctr 0xfff
	v_fma_f64 v[17:18], -v[12:13], v[14:15], 1.0
	v_fma_f64 v[14:15], v[14:15], v[17:18], v[14:15]
	s_delay_alu instid0(VALU_DEP_1) | instskip(NEXT) | instid1(VALU_DEP_1)
	v_fma_f64 v[17:18], -v[12:13], v[14:15], 1.0
	v_fma_f64 v[14:15], v[14:15], v[17:18], v[14:15]
	s_delay_alu instid0(VALU_DEP_1) | instskip(NEXT) | instid1(VALU_DEP_1)
	v_mul_f64 v[17:18], v[6:7], v[14:15]
	v_fma_f64 v[6:7], -v[12:13], v[17:18], v[6:7]
	s_delay_alu instid0(VALU_DEP_1) | instskip(NEXT) | instid1(VALU_DEP_1)
	v_div_fmas_f64 v[6:7], v[6:7], v[14:15], v[17:18]
	v_div_fixup_f64 v[6:7], v[6:7], |v[8:9]|, 0x40400000
	s_delay_alu instid0(VALU_DEP_1) | instskip(NEXT) | instid1(VALU_DEP_1)
	v_add_f64 v[6:7], v[6:7], -2.0
	v_fma_f64 v[12:13], v[6:7], s[6:7], s[4:5]
	s_mov_b32 s7, 0xbc61556d
	s_mov_b32 s4, 0xb2532277
	;; [unrolled: 1-line block ×3, first 2 shown]
	s_delay_alu instid0(VALU_DEP_1) | instskip(SKIP_2) | instid1(VALU_DEP_1)
	v_fma_f64 v[14:15], v[6:7], v[12:13], s[6:7]
	s_mov_b32 s6, 0x9ad53528
	s_mov_b32 s7, 0xbe30790b
	v_add_f64 v[14:15], v[14:15], s[4:5]
	s_mov_b32 s4, 0x9c773320
	s_mov_b32 s5, 0xbc82806c
	s_delay_alu instid0(VALU_DEP_1) | instskip(NEXT) | instid1(VALU_DEP_1)
	v_fma_f64 v[12:13], v[6:7], v[14:15], -v[12:13]
	v_add_f64 v[12:13], v[12:13], s[4:5]
	s_mov_b32 s4, 0xfceb588a
	s_mov_b32 s5, 0x3cb55915
	s_delay_alu instid0(VALU_DEP_1) | instskip(NEXT) | instid1(VALU_DEP_1)
	v_fma_f64 v[14:15], v[6:7], v[12:13], -v[14:15]
	;; [unrolled: 5-line block ×15, first 2 shown]
	v_add_f64 v[12:13], v[12:13], s[4:5]
	s_mov_b32 s4, 0x652b82fe
	s_mov_b32 s5, 0x3ff71547
	s_delay_alu instid0(SALU_CYCLE_1) | instskip(SKIP_2) | instid1(VALU_DEP_2)
	v_mul_f64 v[17:18], |v[8:9]|, s[4:5]
	s_mov_b32 s4, 0xfefa39ef
	s_mov_b32 s5, 0xbfe62e42
	v_fma_f64 v[14:15], v[6:7], v[12:13], -v[14:15]
	s_delay_alu instid0(VALU_DEP_2) | instskip(NEXT) | instid1(VALU_DEP_2)
	v_rndne_f64_e32 v[17:18], v[17:18]
	v_add_f64 v[14:15], v[14:15], s[6:7]
	s_mov_b32 s6, 0x94bb46c1
	s_mov_b32 s7, 0xbe5c4153
	s_delay_alu instid0(VALU_DEP_2) | instskip(SKIP_2) | instid1(VALU_DEP_2)
	v_fma_f64 v[19:20], v[17:18], s[4:5], |v[8:9]|
	s_mov_b32 s4, 0x3b39803f
	s_mov_b32 s5, 0xbc7abc9e
	v_fma_f64 v[12:13], v[6:7], v[14:15], -v[12:13]
	s_delay_alu instid0(VALU_DEP_2) | instskip(SKIP_3) | instid1(VALU_DEP_3)
	v_fma_f64 v[19:20], v[17:18], s[4:5], v[19:20]
	s_mov_b32 s4, 0xfca7ab0c
	s_mov_b32 s5, 0x3e928af3
	v_cvt_i32_f64_e32 v17, v[17:18]
	v_add_f64 v[12:13], v[12:13], s[6:7]
	s_mov_b32 s6, 0x6a5dcb37
	s_mov_b32 s7, 0x3e5ade15
	s_delay_alu instid0(VALU_DEP_3) | instid1(SALU_CYCLE_1)
	v_fma_f64 v[21:22], v[19:20], s[6:7], s[4:5]
	s_mov_b32 s4, 0x623fde64
	s_mov_b32 s5, 0x3ec71dee
	;; [unrolled: 1-line block ×4, first 2 shown]
	s_delay_alu instid0(VALU_DEP_2) | instskip(NEXT) | instid1(VALU_DEP_2)
	v_fma_f64 v[14:15], v[6:7], v[12:13], -v[14:15]
	v_fma_f64 v[21:22], v[19:20], v[21:22], s[4:5]
	s_mov_b32 s4, 0x7c89e6b0
	s_mov_b32 s5, 0x3efa0199
	s_delay_alu instid0(VALU_DEP_2) | instskip(NEXT) | instid1(VALU_DEP_2)
	v_add_f64 v[14:15], v[14:15], s[8:9]
	v_fma_f64 v[21:22], v[19:20], v[21:22], s[4:5]
	s_mov_b32 s4, 0x14761f6e
	s_mov_b32 s5, 0x3f2a01a0
	s_delay_alu instid0(VALU_DEP_2) | instskip(NEXT) | instid1(VALU_DEP_2)
	v_fma_f64 v[12:13], v[6:7], v[14:15], -v[12:13]
	v_fma_f64 v[21:22], v[19:20], v[21:22], s[4:5]
	s_mov_b32 s4, 0x1852b7b0
	s_mov_b32 s5, 0x3f56c16c
	s_delay_alu instid0(VALU_DEP_2) | instskip(SKIP_2) | instid1(VALU_DEP_2)
	v_add_f64 v[12:13], v[12:13], s[6:7]
	s_mov_b32 s6, 0x804aa9a6
	s_mov_b32 s7, 0xbf1cfd7f
	v_fma_f64 v[21:22], v[19:20], v[21:22], s[4:5]
	s_mov_b32 s4, 0x11122322
	s_mov_b32 s5, 0x3f811111
	s_delay_alu instid0(VALU_DEP_2) | instskip(NEXT) | instid1(VALU_DEP_2)
	v_fma_f64 v[14:15], v[6:7], v[12:13], -v[14:15]
	v_fma_f64 v[21:22], v[19:20], v[21:22], s[4:5]
	s_mov_b32 s4, 0x555502a1
	s_mov_b32 s5, 0x3fa55555
	s_delay_alu instid0(VALU_DEP_2) | instskip(SKIP_2) | instid1(VALU_DEP_2)
	v_add_f64 v[14:15], v[14:15], s[6:7]
	s_mov_b32 s6, 0x53fcdb4c
	s_mov_b32 s7, 0xbf83fda0
	v_fma_f64 v[21:22], v[19:20], v[21:22], s[4:5]
	s_mov_b32 s4, 0x55555511
	s_mov_b32 s5, 0x3fc55555
	s_delay_alu instid0(VALU_DEP_2) | instskip(NEXT) | instid1(VALU_DEP_2)
	v_fma_f64 v[12:13], v[6:7], v[14:15], -v[12:13]
	v_fma_f64 v[21:22], v[19:20], v[21:22], s[4:5]
	s_mov_b32 s4, 11
	s_mov_b32 s5, 0x3fe00000
	s_delay_alu instid0(VALU_DEP_2) | instskip(SKIP_2) | instid1(VALU_DEP_1)
	v_add_f64 v[12:13], v[12:13], s[6:7]
	s_mov_b32 s6, 0xb55b1514
	s_mov_b32 s7, 0x3fe8ea18
	v_fma_f64 v[6:7], v[6:7], v[12:13], -v[14:15]
	s_delay_alu instid0(VALU_DEP_3) | instskip(NEXT) | instid1(VALU_DEP_2)
	v_fma_f64 v[12:13], v[19:20], v[21:22], s[4:5]
	v_add_f64 v[6:7], v[6:7], s[6:7]
	s_delay_alu instid0(VALU_DEP_2) | instskip(NEXT) | instid1(VALU_DEP_2)
	v_fma_f64 v[12:13], v[19:20], v[12:13], 1.0
	v_add_f64 v[6:7], v[6:7], -v[14:15]
	s_delay_alu instid0(VALU_DEP_2) | instskip(NEXT) | instid1(VALU_DEP_2)
	v_fma_f64 v[14:15], v[19:20], v[12:13], 1.0
	v_mul_f64 v[12:13], v[6:7], 0.5
                                        ; implicit-def: $vgpr6_vgpr7
	v_cmpx_ngt_f64_e32 0, v[8:9]
	s_xor_b32 s3, exec_lo, s3
	s_cbranch_execz .LBB1_9
; %bb.8:
	v_cmp_gt_f64_e64 s4, 0x10000000, |v[8:9]|
	s_delay_alu instid0(VALU_DEP_4) | instskip(SKIP_1) | instid1(VALU_DEP_3)
	v_ldexp_f64 v[14:15], v[14:15], v17
	v_cmp_nlt_f64_e64 vcc_lo, 0x40900000, |v[8:9]|
	v_cndmask_b32_e64 v6, 0, 1, s4
	v_cndmask_b32_e64 v17, 0, 0xffffff80, s4
	s_delay_alu instid0(VALU_DEP_2) | instskip(NEXT) | instid1(VALU_DEP_1)
	v_dual_cndmask_b32 v15, 0x7ff00000, v15 :: v_dual_lshlrev_b32 v6, 8, v6
	v_ldexp_f64 v[6:7], |v[8:9]|, v6
	s_delay_alu instid0(VALU_DEP_1) | instskip(SKIP_3) | instid1(VALU_DEP_1)
	v_rsq_f64_e32 v[18:19], v[6:7]
	s_waitcnt_depctr 0xfff
	v_mul_f64 v[20:21], v[6:7], v[18:19]
	v_mul_f64 v[18:19], v[18:19], 0.5
	v_fma_f64 v[22:23], -v[18:19], v[20:21], 0.5
	s_delay_alu instid0(VALU_DEP_1) | instskip(SKIP_1) | instid1(VALU_DEP_2)
	v_fma_f64 v[20:21], v[20:21], v[22:23], v[20:21]
	v_fma_f64 v[18:19], v[18:19], v[22:23], v[18:19]
	v_fma_f64 v[22:23], -v[20:21], v[20:21], v[6:7]
	s_delay_alu instid0(VALU_DEP_1) | instskip(NEXT) | instid1(VALU_DEP_1)
	v_fma_f64 v[20:21], v[22:23], v[18:19], v[20:21]
	v_fma_f64 v[22:23], -v[20:21], v[20:21], v[6:7]
	s_delay_alu instid0(VALU_DEP_1) | instskip(NEXT) | instid1(VALU_DEP_1)
	v_fma_f64 v[8:9], v[22:23], v[18:19], v[20:21]
	v_ldexp_f64 v[8:9], v[8:9], v17
	v_cndmask_b32_e32 v14, 0, v14, vcc_lo
	v_cmp_class_f64_e64 vcc_lo, v[6:7], 0x260
	s_delay_alu instid0(VALU_DEP_3) | instskip(NEXT) | instid1(VALU_DEP_3)
	v_cndmask_b32_e32 v7, v9, v7, vcc_lo
	v_mul_f64 v[12:13], v[14:15], v[12:13]
	v_cndmask_b32_e32 v6, v8, v6, vcc_lo
	s_delay_alu instid0(VALU_DEP_1) | instskip(NEXT) | instid1(VALU_DEP_1)
	v_div_scale_f64 v[8:9], null, v[6:7], v[6:7], v[12:13]
	v_rcp_f64_e32 v[14:15], v[8:9]
	s_waitcnt_depctr 0xfff
	v_fma_f64 v[17:18], -v[8:9], v[14:15], 1.0
	s_delay_alu instid0(VALU_DEP_1) | instskip(NEXT) | instid1(VALU_DEP_1)
	v_fma_f64 v[14:15], v[14:15], v[17:18], v[14:15]
	v_fma_f64 v[17:18], -v[8:9], v[14:15], 1.0
	s_delay_alu instid0(VALU_DEP_1) | instskip(SKIP_1) | instid1(VALU_DEP_1)
	v_fma_f64 v[14:15], v[14:15], v[17:18], v[14:15]
	v_div_scale_f64 v[17:18], vcc_lo, v[12:13], v[6:7], v[12:13]
	v_mul_f64 v[19:20], v[17:18], v[14:15]
	s_delay_alu instid0(VALU_DEP_1) | instskip(NEXT) | instid1(VALU_DEP_1)
	v_fma_f64 v[8:9], -v[8:9], v[19:20], v[17:18]
                                        ; implicit-def: $vgpr17
	v_div_fmas_f64 v[8:9], v[8:9], v[14:15], v[19:20]
                                        ; implicit-def: $vgpr14_vgpr15
	s_delay_alu instid0(VALU_DEP_1)
	v_div_fixup_f64 v[6:7], v[8:9], v[6:7], v[12:13]
                                        ; implicit-def: $vgpr12_vgpr13
.LBB1_9:
	s_and_not1_saveexec_b32 s3, s3
	s_cbranch_execz .LBB1_11
; %bb.10:
	v_cmp_gt_f64_e64 s4, 0x10000000, |v[8:9]|
	s_delay_alu instid0(VALU_DEP_4) | instskip(SKIP_1) | instid1(VALU_DEP_3)
	v_ldexp_f64 v[14:15], -v[14:15], v17
	v_cmp_nlt_f64_e64 vcc_lo, 0x40900000, |v[8:9]|
	v_cndmask_b32_e64 v6, 0, 1, s4
	v_cndmask_b32_e64 v17, 0, 0xffffff80, s4
	s_delay_alu instid0(VALU_DEP_2) | instskip(NEXT) | instid1(VALU_DEP_1)
	v_dual_cndmask_b32 v15, 0xfff00000, v15 :: v_dual_lshlrev_b32 v6, 8, v6
	v_ldexp_f64 v[6:7], |v[8:9]|, v6
	s_delay_alu instid0(VALU_DEP_1) | instskip(SKIP_3) | instid1(VALU_DEP_1)
	v_rsq_f64_e32 v[18:19], v[6:7]
	s_waitcnt_depctr 0xfff
	v_mul_f64 v[20:21], v[6:7], v[18:19]
	v_mul_f64 v[18:19], v[18:19], 0.5
	v_fma_f64 v[22:23], -v[18:19], v[20:21], 0.5
	s_delay_alu instid0(VALU_DEP_1) | instskip(SKIP_1) | instid1(VALU_DEP_2)
	v_fma_f64 v[20:21], v[20:21], v[22:23], v[20:21]
	v_fma_f64 v[18:19], v[18:19], v[22:23], v[18:19]
	v_fma_f64 v[22:23], -v[20:21], v[20:21], v[6:7]
	s_delay_alu instid0(VALU_DEP_1) | instskip(NEXT) | instid1(VALU_DEP_1)
	v_fma_f64 v[20:21], v[22:23], v[18:19], v[20:21]
	v_fma_f64 v[22:23], -v[20:21], v[20:21], v[6:7]
	s_delay_alu instid0(VALU_DEP_1) | instskip(NEXT) | instid1(VALU_DEP_1)
	v_fma_f64 v[8:9], v[22:23], v[18:19], v[20:21]
	v_ldexp_f64 v[8:9], v[8:9], v17
	v_cndmask_b32_e32 v14, 0, v14, vcc_lo
	v_cmp_class_f64_e64 vcc_lo, v[6:7], 0x260
	s_delay_alu instid0(VALU_DEP_3) | instskip(NEXT) | instid1(VALU_DEP_3)
	v_cndmask_b32_e32 v7, v9, v7, vcc_lo
	v_mul_f64 v[12:13], v[14:15], v[12:13]
	v_cndmask_b32_e32 v6, v8, v6, vcc_lo
	s_delay_alu instid0(VALU_DEP_1) | instskip(NEXT) | instid1(VALU_DEP_1)
	v_div_scale_f64 v[8:9], null, v[6:7], v[6:7], v[12:13]
	v_rcp_f64_e32 v[14:15], v[8:9]
	s_waitcnt_depctr 0xfff
	v_fma_f64 v[17:18], -v[8:9], v[14:15], 1.0
	s_delay_alu instid0(VALU_DEP_1) | instskip(NEXT) | instid1(VALU_DEP_1)
	v_fma_f64 v[14:15], v[14:15], v[17:18], v[14:15]
	v_fma_f64 v[17:18], -v[8:9], v[14:15], 1.0
	s_delay_alu instid0(VALU_DEP_1) | instskip(SKIP_1) | instid1(VALU_DEP_1)
	v_fma_f64 v[14:15], v[14:15], v[17:18], v[14:15]
	v_div_scale_f64 v[17:18], vcc_lo, v[12:13], v[6:7], v[12:13]
	v_mul_f64 v[19:20], v[17:18], v[14:15]
	s_delay_alu instid0(VALU_DEP_1) | instskip(NEXT) | instid1(VALU_DEP_1)
	v_fma_f64 v[8:9], -v[8:9], v[19:20], v[17:18]
	v_div_fmas_f64 v[8:9], v[8:9], v[14:15], v[19:20]
	s_delay_alu instid0(VALU_DEP_1)
	v_div_fixup_f64 v[6:7], v[8:9], v[6:7], v[12:13]
.LBB1_11:
	s_or_b32 exec_lo, exec_lo, s3
.LBB1_12:
	s_delay_alu instid0(SALU_CYCLE_1) | instskip(SKIP_1) | instid1(VALU_DEP_1)
	s_or_b32 exec_lo, exec_lo, s2
	v_cmp_ge_f64_e64 s2, 0x40200000, |v[10:11]|
	s_and_saveexec_b32 s3, s2
	s_delay_alu instid0(SALU_CYCLE_1)
	s_xor_b32 s2, exec_lo, s3
	s_cbranch_execz .LBB1_18
; %bb.13:
	v_fma_f64 v[8:9], |v[10:11]|, 0.5, -2.0
	s_mov_b32 s4, 0xc38a0576
	s_mov_b32 s5, 0xbc7857d0
	;; [unrolled: 1-line block ×4, first 2 shown]
	s_mov_b32 s3, exec_lo
	s_delay_alu instid0(VALU_DEP_1) | instskip(SKIP_3) | instid1(VALU_DEP_1)
	v_fma_f64 v[12:13], v[8:9], s[6:7], s[4:5]
	s_mov_b32 s7, 0xbc499f2a
	s_mov_b32 s4, 0xe593bfac
	;; [unrolled: 1-line block ×3, first 2 shown]
	v_fma_f64 v[14:15], v[8:9], v[12:13], s[6:7]
	s_delay_alu instid0(VALU_DEP_1) | instskip(SKIP_2) | instid1(VALU_DEP_1)
	v_add_f64 v[14:15], v[14:15], s[4:5]
	s_mov_b32 s4, 0x7e0d1573
	s_mov_b32 s5, 0xbcd3eaaa
	v_fma_f64 v[12:13], v[8:9], v[14:15], -v[12:13]
	s_delay_alu instid0(VALU_DEP_1) | instskip(SKIP_2) | instid1(VALU_DEP_1)
	v_add_f64 v[12:13], v[12:13], s[4:5]
	s_mov_b32 s4, 0x615290c
	s_mov_b32 s5, 0x3d011d7f
	v_fma_f64 v[14:15], v[8:9], v[12:13], -v[14:15]
	s_delay_alu instid0(VALU_DEP_1) | instskip(SKIP_2) | instid1(VALU_DEP_1)
	v_add_f64 v[14:15], v[14:15], s[4:5]
	s_mov_b32 s4, 0x1c8f0b3b
	s_mov_b32 s5, 0xbd2c628e
	v_fma_f64 v[12:13], v[8:9], v[14:15], -v[12:13]
	s_delay_alu instid0(VALU_DEP_1) | instskip(SKIP_2) | instid1(VALU_DEP_1)
	v_add_f64 v[12:13], v[12:13], s[4:5]
	s_mov_b32 s4, 0x4779d955
	s_mov_b32 s5, 0x3d56af78
	v_fma_f64 v[14:15], v[8:9], v[12:13], -v[14:15]
	s_delay_alu instid0(VALU_DEP_1) | instskip(SKIP_2) | instid1(VALU_DEP_1)
	v_add_f64 v[14:15], v[14:15], s[4:5]
	s_mov_b32 s4, 0x5fb70366
	s_mov_b32 s5, 0xbd817383
	v_fma_f64 v[12:13], v[8:9], v[14:15], -v[12:13]
	s_delay_alu instid0(VALU_DEP_1) | instskip(SKIP_2) | instid1(VALU_DEP_1)
	v_add_f64 v[12:13], v[12:13], s[4:5]
	s_mov_b32 s4, 0xb21d3154
	s_mov_b32 s5, 0x3da9cee2
	v_fma_f64 v[14:15], v[8:9], v[12:13], -v[14:15]
	s_delay_alu instid0(VALU_DEP_1) | instskip(SKIP_2) | instid1(VALU_DEP_1)
	v_add_f64 v[14:15], v[14:15], s[4:5]
	s_mov_b32 s4, 0x97eb07de
	s_mov_b32 s5, 0xbdd25103
	v_fma_f64 v[12:13], v[8:9], v[14:15], -v[12:13]
	s_delay_alu instid0(VALU_DEP_1) | instskip(SKIP_2) | instid1(VALU_DEP_1)
	v_add_f64 v[12:13], v[12:13], s[4:5]
	s_mov_b32 s4, 0xb43fdf6c
	s_mov_b32 s5, 0x3df8ea34
	v_fma_f64 v[14:15], v[8:9], v[12:13], -v[14:15]
	s_delay_alu instid0(VALU_DEP_1) | instskip(SKIP_2) | instid1(VALU_DEP_1)
	v_add_f64 v[14:15], v[14:15], s[4:5]
	s_mov_b32 s4, 0x28ea67e6
	s_mov_b32 s5, 0xbe20361b
	v_fma_f64 v[12:13], v[8:9], v[14:15], -v[12:13]
	s_delay_alu instid0(VALU_DEP_1) | instskip(SKIP_2) | instid1(VALU_DEP_1)
	v_add_f64 v[12:13], v[12:13], s[4:5]
	s_mov_b32 s4, 0x2395010
	s_mov_b32 s5, 0x3e44258e
	v_fma_f64 v[14:15], v[8:9], v[12:13], -v[14:15]
	s_delay_alu instid0(VALU_DEP_1) | instskip(SKIP_2) | instid1(VALU_DEP_1)
	v_add_f64 v[14:15], v[14:15], s[4:5]
	s_mov_b32 s4, 0x24b8c3e8
	s_mov_b32 s5, 0xbe67dd3e
	v_fma_f64 v[12:13], v[8:9], v[14:15], -v[12:13]
	s_delay_alu instid0(VALU_DEP_1) | instskip(SKIP_2) | instid1(VALU_DEP_1)
	v_add_f64 v[12:13], v[12:13], s[4:5]
	s_mov_b32 s4, 0xb347d108
	s_mov_b32 s5, 0x3e8ae344
	v_fma_f64 v[14:15], v[8:9], v[12:13], -v[14:15]
	s_delay_alu instid0(VALU_DEP_1) | instskip(SKIP_2) | instid1(VALU_DEP_1)
	v_add_f64 v[14:15], v[14:15], s[4:5]
	s_mov_b32 s4, 0x8363992a
	s_mov_b32 s5, 0xbeacc079
	v_fma_f64 v[12:13], v[8:9], v[14:15], -v[12:13]
	s_delay_alu instid0(VALU_DEP_1) | instskip(SKIP_2) | instid1(VALU_DEP_1)
	v_add_f64 v[12:13], v[12:13], s[4:5]
	s_mov_b32 s4, 0xd511afc5
	s_mov_b32 s5, 0x3ecd1c4e
	v_fma_f64 v[14:15], v[8:9], v[12:13], -v[14:15]
	s_delay_alu instid0(VALU_DEP_1) | instskip(SKIP_2) | instid1(VALU_DEP_1)
	v_add_f64 v[14:15], v[14:15], s[4:5]
	s_mov_b32 s4, 0xb8debbcf
	s_mov_b32 s5, 0xbeebd5f9
	v_fma_f64 v[12:13], v[8:9], v[14:15], -v[12:13]
	s_delay_alu instid0(VALU_DEP_1) | instskip(SKIP_2) | instid1(VALU_DEP_1)
	v_add_f64 v[12:13], v[12:13], s[4:5]
	s_mov_b32 s4, 0x42c70d0b
	s_mov_b32 s5, 0x3f0911b5
	v_fma_f64 v[14:15], v[8:9], v[12:13], -v[14:15]
	s_delay_alu instid0(VALU_DEP_1) | instskip(SKIP_2) | instid1(VALU_DEP_1)
	v_add_f64 v[14:15], v[14:15], s[4:5]
	s_mov_b32 s4, 0xd3d694fe
	s_mov_b32 s5, 0xbf2533ca
	v_fma_f64 v[12:13], v[8:9], v[14:15], -v[12:13]
	s_delay_alu instid0(VALU_DEP_1) | instskip(SKIP_2) | instid1(VALU_DEP_1)
	v_add_f64 v[12:13], v[12:13], s[4:5]
	s_mov_b32 s4, 0xb6c6df7d
	s_mov_b32 s5, 0x3f40c95d
	v_fma_f64 v[14:15], v[8:9], v[12:13], -v[14:15]
	s_delay_alu instid0(VALU_DEP_1) | instskip(SKIP_2) | instid1(VALU_DEP_1)
	v_add_f64 v[14:15], v[14:15], s[4:5]
	s_mov_b32 s4, 0xb3cd4a4
	s_mov_b32 s5, 0xbf58cc62
	v_fma_f64 v[12:13], v[8:9], v[14:15], -v[12:13]
	s_delay_alu instid0(VALU_DEP_1) | instskip(SKIP_2) | instid1(VALU_DEP_1)
	v_add_f64 v[12:13], v[12:13], s[4:5]
	s_mov_b32 s4, 0x49d3a1b4
	s_mov_b32 s5, 0x3f710653
	v_fma_f64 v[14:15], v[8:9], v[12:13], -v[14:15]
	s_delay_alu instid0(VALU_DEP_1) | instskip(SKIP_2) | instid1(VALU_DEP_1)
	v_add_f64 v[14:15], v[14:15], s[4:5]
	s_mov_b32 s4, 0x7913a26a
	s_mov_b32 s5, 0xbf85a29f
	v_fma_f64 v[12:13], v[8:9], v[14:15], -v[12:13]
	s_delay_alu instid0(VALU_DEP_1) | instskip(SKIP_2) | instid1(VALU_DEP_1)
	v_add_f64 v[12:13], v[12:13], s[4:5]
	s_mov_b32 s4, 0xe7bb2349
	s_mov_b32 s5, 0x3f9951e3
	v_fma_f64 v[14:15], v[8:9], v[12:13], -v[14:15]
	s_delay_alu instid0(VALU_DEP_1) | instskip(SKIP_2) | instid1(VALU_DEP_1)
	v_add_f64 v[14:15], v[14:15], s[4:5]
	s_mov_b32 s4, 0x537c9ebc
	s_mov_b32 s5, 0xbfab1bbc
	v_fma_f64 v[12:13], v[8:9], v[14:15], -v[12:13]
	s_delay_alu instid0(VALU_DEP_1) | instskip(SKIP_2) | instid1(VALU_DEP_1)
	v_add_f64 v[12:13], v[12:13], s[4:5]
	s_mov_b32 s4, 0xd536f53c
	s_mov_b32 s5, 0x3fba46da
	v_fma_f64 v[14:15], v[8:9], v[12:13], -v[14:15]
	s_delay_alu instid0(VALU_DEP_1) | instskip(SKIP_2) | instid1(VALU_DEP_1)
	v_add_f64 v[14:15], v[14:15], s[4:5]
	s_mov_b32 s4, 0x469192e
	s_mov_b32 s5, 0xbfc694d1
	v_fma_f64 v[12:13], v[8:9], v[14:15], -v[12:13]
	s_delay_alu instid0(VALU_DEP_1) | instskip(SKIP_2) | instid1(VALU_DEP_1)
	v_add_f64 v[12:13], v[12:13], s[4:5]
	s_mov_b32 s4, 0x724a7ffa
	s_mov_b32 s5, 0x3fd02a63
	v_fma_f64 v[8:9], v[8:9], v[12:13], -v[14:15]
	s_delay_alu instid0(VALU_DEP_1) | instskip(NEXT) | instid1(VALU_DEP_1)
	v_add_f64 v[8:9], v[8:9], s[4:5]
	v_add_f64 v[12:13], v[8:9], -v[14:15]
	v_cmpx_ngt_f64_e32 0, v[10:11]
	s_xor_b32 s3, exec_lo, s3
	s_cbranch_execz .LBB1_15
; %bb.14:
	s_mov_b32 s4, 0x652b82fe
	s_mov_b32 s5, 0x3ff71547
	;; [unrolled: 1-line block ×3, first 2 shown]
	v_mul_f64 v[8:9], |v[10:11]|, s[4:5]
	s_mov_b32 s4, 0xfefa39ef
	s_mov_b32 s5, 0xbfe62e42
	;; [unrolled: 1-line block ×3, first 2 shown]
	s_delay_alu instid0(VALU_DEP_3) | instskip(SKIP_1) | instid1(VALU_DEP_3)
	v_mul_f64 v[12:13], v[12:13], 0.5
	v_cmp_nlt_f64_e64 vcc_lo, 0x40900000, |v[10:11]|
	v_rndne_f64_e32 v[8:9], v[8:9]
	s_delay_alu instid0(VALU_DEP_1) | instskip(SKIP_4) | instid1(VALU_DEP_3)
	v_fma_f64 v[14:15], v[8:9], s[4:5], |v[10:11]|
	s_mov_b32 s4, 0x3b39803f
	s_mov_b32 s5, 0xbc7abc9e
	v_cvt_i32_f64_e32 v19, v[8:9]
	v_mul_f64 v[10:11], |v[10:11]|, v[12:13]
                                        ; implicit-def: $vgpr12_vgpr13
	v_fma_f64 v[14:15], v[8:9], s[4:5], v[14:15]
	s_mov_b32 s4, 0xfca7ab0c
	s_mov_b32 s5, 0x3e928af3
	s_delay_alu instid0(VALU_DEP_1) | instid1(SALU_CYCLE_1)
	v_fma_f64 v[17:18], v[14:15], s[6:7], s[4:5]
	s_mov_b32 s4, 0x623fde64
	s_mov_b32 s5, 0x3ec71dee
	s_delay_alu instid0(VALU_DEP_1) | instid1(SALU_CYCLE_1)
	v_fma_f64 v[17:18], v[14:15], v[17:18], s[4:5]
	s_mov_b32 s4, 0x7c89e6b0
	s_mov_b32 s5, 0x3efa0199
	s_delay_alu instid0(VALU_DEP_1) | instid1(SALU_CYCLE_1)
	v_fma_f64 v[17:18], v[14:15], v[17:18], s[4:5]
	s_mov_b32 s4, 0x14761f6e
	s_mov_b32 s5, 0x3f2a01a0
	s_delay_alu instid0(VALU_DEP_1) | instid1(SALU_CYCLE_1)
	v_fma_f64 v[17:18], v[14:15], v[17:18], s[4:5]
	s_mov_b32 s4, 0x1852b7b0
	s_mov_b32 s5, 0x3f56c16c
	s_delay_alu instid0(VALU_DEP_1) | instid1(SALU_CYCLE_1)
	v_fma_f64 v[17:18], v[14:15], v[17:18], s[4:5]
	s_mov_b32 s4, 0x11122322
	s_mov_b32 s5, 0x3f811111
	s_delay_alu instid0(VALU_DEP_1) | instid1(SALU_CYCLE_1)
	v_fma_f64 v[17:18], v[14:15], v[17:18], s[4:5]
	s_mov_b32 s4, 0x555502a1
	s_mov_b32 s5, 0x3fa55555
	s_delay_alu instid0(VALU_DEP_1) | instid1(SALU_CYCLE_1)
	v_fma_f64 v[17:18], v[14:15], v[17:18], s[4:5]
	s_mov_b32 s4, 0x55555511
	s_mov_b32 s5, 0x3fc55555
	s_delay_alu instid0(VALU_DEP_1) | instid1(SALU_CYCLE_1)
	v_fma_f64 v[17:18], v[14:15], v[17:18], s[4:5]
	s_mov_b32 s4, 11
	s_mov_b32 s5, 0x3fe00000
	s_delay_alu instid0(VALU_DEP_1) | instid1(SALU_CYCLE_1)
	v_fma_f64 v[17:18], v[14:15], v[17:18], s[4:5]
	s_delay_alu instid0(VALU_DEP_1) | instskip(NEXT) | instid1(VALU_DEP_1)
	v_fma_f64 v[17:18], v[14:15], v[17:18], 1.0
	v_fma_f64 v[8:9], v[14:15], v[17:18], 1.0
	s_delay_alu instid0(VALU_DEP_1) | instskip(NEXT) | instid1(VALU_DEP_1)
	v_ldexp_f64 v[8:9], v[8:9], v19
	v_cndmask_b32_e32 v9, 0x7ff00000, v9, vcc_lo
	s_delay_alu instid0(VALU_DEP_2) | instskip(NEXT) | instid1(VALU_DEP_1)
	v_cndmask_b32_e32 v8, 0, v8, vcc_lo
	v_mul_f64 v[8:9], v[8:9], v[10:11]
                                        ; implicit-def: $vgpr10_vgpr11
.LBB1_15:
	s_and_not1_saveexec_b32 s3, s3
	s_cbranch_execz .LBB1_17
; %bb.16:
	s_mov_b32 s4, 0x652b82fe
	s_mov_b32 s5, 0x3ff71547
	;; [unrolled: 1-line block ×3, first 2 shown]
	v_mul_f64 v[8:9], |v[10:11]|, s[4:5]
	s_mov_b32 s4, 0xfefa39ef
	s_mov_b32 s5, 0xbfe62e42
	;; [unrolled: 1-line block ×3, first 2 shown]
	s_delay_alu instid0(VALU_DEP_3) | instskip(SKIP_1) | instid1(VALU_DEP_3)
	v_mul_f64 v[12:13], v[12:13], -0.5
	v_cmp_nlt_f64_e64 vcc_lo, 0x40900000, |v[10:11]|
	v_rndne_f64_e32 v[8:9], v[8:9]
	s_delay_alu instid0(VALU_DEP_1) | instskip(SKIP_4) | instid1(VALU_DEP_3)
	v_fma_f64 v[14:15], v[8:9], s[4:5], |v[10:11]|
	s_mov_b32 s4, 0x3b39803f
	s_mov_b32 s5, 0xbc7abc9e
	v_cvt_i32_f64_e32 v19, v[8:9]
	v_mul_f64 v[10:11], |v[10:11]|, v[12:13]
	v_fma_f64 v[14:15], v[8:9], s[4:5], v[14:15]
	s_mov_b32 s4, 0xfca7ab0c
	s_mov_b32 s5, 0x3e928af3
	s_delay_alu instid0(VALU_DEP_1) | instid1(SALU_CYCLE_1)
	v_fma_f64 v[17:18], v[14:15], s[6:7], s[4:5]
	s_mov_b32 s4, 0x623fde64
	s_mov_b32 s5, 0x3ec71dee
	s_delay_alu instid0(VALU_DEP_1) | instid1(SALU_CYCLE_1)
	;; [unrolled: 4-line block ×9, first 2 shown]
	v_fma_f64 v[17:18], v[14:15], v[17:18], s[4:5]
	s_delay_alu instid0(VALU_DEP_1) | instskip(NEXT) | instid1(VALU_DEP_1)
	v_fma_f64 v[17:18], v[14:15], v[17:18], 1.0
	v_fma_f64 v[8:9], v[14:15], v[17:18], 1.0
	s_delay_alu instid0(VALU_DEP_1) | instskip(NEXT) | instid1(VALU_DEP_1)
	v_ldexp_f64 v[8:9], v[8:9], v19
	v_cndmask_b32_e32 v9, 0x7ff00000, v9, vcc_lo
	s_delay_alu instid0(VALU_DEP_2) | instskip(NEXT) | instid1(VALU_DEP_1)
	v_cndmask_b32_e32 v8, 0, v8, vcc_lo
	v_mul_f64 v[8:9], v[8:9], v[10:11]
.LBB1_17:
	s_or_b32 exec_lo, exec_lo, s3
                                        ; implicit-def: $vgpr10_vgpr11
.LBB1_18:
	s_and_not1_saveexec_b32 s2, s2
	s_cbranch_execz .LBB1_24
; %bb.19:
	v_dual_mov_b32 v8, v10 :: v_dual_and_b32 v9, 0x7fffffff, v11
	s_mov_b32 s4, 0xea87b950
	s_mov_b32 s5, 0x3c545b8a
	;; [unrolled: 1-line block ×4, first 2 shown]
	v_div_scale_f64 v[12:13], null, v[8:9], v[8:9], 0x40400000
	v_div_scale_f64 v[8:9], vcc_lo, 0x40400000, v[8:9], 0x40400000
	s_mov_b32 s8, 0x2e9e5443
	s_mov_b32 s9, 0xbe90dbfd
	s_mov_b32 s3, exec_lo
	s_delay_alu instid0(VALU_DEP_2) | instskip(SKIP_2) | instid1(VALU_DEP_1)
	v_rcp_f64_e32 v[14:15], v[12:13]
	s_waitcnt_depctr 0xfff
	v_fma_f64 v[17:18], -v[12:13], v[14:15], 1.0
	v_fma_f64 v[14:15], v[14:15], v[17:18], v[14:15]
	s_delay_alu instid0(VALU_DEP_1) | instskip(NEXT) | instid1(VALU_DEP_1)
	v_fma_f64 v[17:18], -v[12:13], v[14:15], 1.0
	v_fma_f64 v[14:15], v[14:15], v[17:18], v[14:15]
	s_delay_alu instid0(VALU_DEP_1) | instskip(NEXT) | instid1(VALU_DEP_1)
	v_mul_f64 v[17:18], v[8:9], v[14:15]
	v_fma_f64 v[8:9], -v[12:13], v[17:18], v[8:9]
	s_delay_alu instid0(VALU_DEP_1) | instskip(NEXT) | instid1(VALU_DEP_1)
	v_div_fmas_f64 v[8:9], v[8:9], v[14:15], v[17:18]
	v_div_fixup_f64 v[8:9], v[8:9], |v[10:11]|, 0x40400000
	s_delay_alu instid0(VALU_DEP_1) | instskip(NEXT) | instid1(VALU_DEP_1)
	v_add_f64 v[8:9], v[8:9], -2.0
	v_fma_f64 v[12:13], v[8:9], s[6:7], s[4:5]
	s_mov_b32 s7, 0xbc61556d
	s_mov_b32 s4, 0xb2532277
	;; [unrolled: 1-line block ×3, first 2 shown]
	s_delay_alu instid0(VALU_DEP_1) | instskip(SKIP_2) | instid1(VALU_DEP_1)
	v_fma_f64 v[14:15], v[8:9], v[12:13], s[6:7]
	s_mov_b32 s6, 0x9ad53528
	s_mov_b32 s7, 0xbe30790b
	v_add_f64 v[14:15], v[14:15], s[4:5]
	s_mov_b32 s4, 0x9c773320
	s_mov_b32 s5, 0xbc82806c
	s_delay_alu instid0(VALU_DEP_1) | instskip(NEXT) | instid1(VALU_DEP_1)
	v_fma_f64 v[12:13], v[8:9], v[14:15], -v[12:13]
	v_add_f64 v[12:13], v[12:13], s[4:5]
	s_mov_b32 s4, 0xfceb588a
	s_mov_b32 s5, 0x3cb55915
	s_delay_alu instid0(VALU_DEP_1) | instskip(NEXT) | instid1(VALU_DEP_1)
	v_fma_f64 v[14:15], v[8:9], v[12:13], -v[14:15]
	;; [unrolled: 5-line block ×15, first 2 shown]
	v_add_f64 v[12:13], v[12:13], s[4:5]
	s_mov_b32 s4, 0x652b82fe
	s_mov_b32 s5, 0x3ff71547
	s_delay_alu instid0(SALU_CYCLE_1) | instskip(SKIP_2) | instid1(VALU_DEP_2)
	v_mul_f64 v[17:18], |v[10:11]|, s[4:5]
	s_mov_b32 s4, 0xfefa39ef
	s_mov_b32 s5, 0xbfe62e42
	v_fma_f64 v[14:15], v[8:9], v[12:13], -v[14:15]
	s_delay_alu instid0(VALU_DEP_2) | instskip(NEXT) | instid1(VALU_DEP_2)
	v_rndne_f64_e32 v[17:18], v[17:18]
	v_add_f64 v[14:15], v[14:15], s[6:7]
	s_mov_b32 s6, 0x94bb46c1
	s_mov_b32 s7, 0xbe5c4153
	s_delay_alu instid0(VALU_DEP_2) | instskip(SKIP_2) | instid1(VALU_DEP_2)
	v_fma_f64 v[19:20], v[17:18], s[4:5], |v[10:11]|
	s_mov_b32 s4, 0x3b39803f
	s_mov_b32 s5, 0xbc7abc9e
	v_fma_f64 v[12:13], v[8:9], v[14:15], -v[12:13]
	s_delay_alu instid0(VALU_DEP_2) | instskip(SKIP_3) | instid1(VALU_DEP_3)
	v_fma_f64 v[19:20], v[17:18], s[4:5], v[19:20]
	s_mov_b32 s4, 0xfca7ab0c
	s_mov_b32 s5, 0x3e928af3
	v_cvt_i32_f64_e32 v17, v[17:18]
	v_add_f64 v[12:13], v[12:13], s[6:7]
	s_mov_b32 s6, 0x6a5dcb37
	s_mov_b32 s7, 0x3e5ade15
	s_delay_alu instid0(VALU_DEP_3) | instid1(SALU_CYCLE_1)
	v_fma_f64 v[21:22], v[19:20], s[6:7], s[4:5]
	s_mov_b32 s4, 0x623fde64
	s_mov_b32 s5, 0x3ec71dee
	;; [unrolled: 1-line block ×4, first 2 shown]
	s_delay_alu instid0(VALU_DEP_2) | instskip(NEXT) | instid1(VALU_DEP_2)
	v_fma_f64 v[14:15], v[8:9], v[12:13], -v[14:15]
	v_fma_f64 v[21:22], v[19:20], v[21:22], s[4:5]
	s_mov_b32 s4, 0x7c89e6b0
	s_mov_b32 s5, 0x3efa0199
	s_delay_alu instid0(VALU_DEP_2) | instskip(NEXT) | instid1(VALU_DEP_2)
	v_add_f64 v[14:15], v[14:15], s[8:9]
	v_fma_f64 v[21:22], v[19:20], v[21:22], s[4:5]
	s_mov_b32 s4, 0x14761f6e
	s_mov_b32 s5, 0x3f2a01a0
	s_delay_alu instid0(VALU_DEP_2) | instskip(NEXT) | instid1(VALU_DEP_2)
	v_fma_f64 v[12:13], v[8:9], v[14:15], -v[12:13]
	v_fma_f64 v[21:22], v[19:20], v[21:22], s[4:5]
	s_mov_b32 s4, 0x1852b7b0
	s_mov_b32 s5, 0x3f56c16c
	s_delay_alu instid0(VALU_DEP_2) | instskip(SKIP_2) | instid1(VALU_DEP_2)
	v_add_f64 v[12:13], v[12:13], s[6:7]
	s_mov_b32 s6, 0x804aa9a6
	s_mov_b32 s7, 0xbf1cfd7f
	v_fma_f64 v[21:22], v[19:20], v[21:22], s[4:5]
	s_mov_b32 s4, 0x11122322
	s_mov_b32 s5, 0x3f811111
	s_delay_alu instid0(VALU_DEP_2) | instskip(NEXT) | instid1(VALU_DEP_2)
	v_fma_f64 v[14:15], v[8:9], v[12:13], -v[14:15]
	v_fma_f64 v[21:22], v[19:20], v[21:22], s[4:5]
	s_mov_b32 s4, 0x555502a1
	s_mov_b32 s5, 0x3fa55555
	s_delay_alu instid0(VALU_DEP_2) | instskip(SKIP_2) | instid1(VALU_DEP_2)
	v_add_f64 v[14:15], v[14:15], s[6:7]
	s_mov_b32 s6, 0x53fcdb4c
	s_mov_b32 s7, 0xbf83fda0
	v_fma_f64 v[21:22], v[19:20], v[21:22], s[4:5]
	s_mov_b32 s4, 0x55555511
	s_mov_b32 s5, 0x3fc55555
	s_delay_alu instid0(VALU_DEP_2) | instskip(NEXT) | instid1(VALU_DEP_2)
	v_fma_f64 v[12:13], v[8:9], v[14:15], -v[12:13]
	v_fma_f64 v[21:22], v[19:20], v[21:22], s[4:5]
	s_mov_b32 s4, 11
	s_mov_b32 s5, 0x3fe00000
	s_delay_alu instid0(VALU_DEP_2) | instskip(SKIP_2) | instid1(VALU_DEP_1)
	v_add_f64 v[12:13], v[12:13], s[6:7]
	s_mov_b32 s6, 0xb55b1514
	s_mov_b32 s7, 0x3fe8ea18
	v_fma_f64 v[8:9], v[8:9], v[12:13], -v[14:15]
	s_delay_alu instid0(VALU_DEP_3) | instskip(NEXT) | instid1(VALU_DEP_2)
	v_fma_f64 v[12:13], v[19:20], v[21:22], s[4:5]
	v_add_f64 v[8:9], v[8:9], s[6:7]
	s_delay_alu instid0(VALU_DEP_2) | instskip(NEXT) | instid1(VALU_DEP_2)
	v_fma_f64 v[12:13], v[19:20], v[12:13], 1.0
	v_add_f64 v[8:9], v[8:9], -v[14:15]
	s_delay_alu instid0(VALU_DEP_2) | instskip(NEXT) | instid1(VALU_DEP_2)
	v_fma_f64 v[14:15], v[19:20], v[12:13], 1.0
	v_mul_f64 v[12:13], v[8:9], 0.5
	v_cmpx_ngt_f64_e32 0, v[10:11]
	s_xor_b32 s3, exec_lo, s3
	s_cbranch_execz .LBB1_21
; %bb.20:
	v_cmp_gt_f64_e64 s4, 0x10000000, |v[10:11]|
	s_delay_alu instid0(VALU_DEP_4) | instskip(SKIP_1) | instid1(VALU_DEP_3)
	v_ldexp_f64 v[14:15], v[14:15], v17
	v_cmp_nlt_f64_e64 vcc_lo, 0x40900000, |v[10:11]|
	v_cndmask_b32_e64 v8, 0, 1, s4
	v_cndmask_b32_e64 v17, 0, 0xffffff80, s4
	s_delay_alu instid0(VALU_DEP_2) | instskip(NEXT) | instid1(VALU_DEP_1)
	v_dual_cndmask_b32 v15, 0x7ff00000, v15 :: v_dual_lshlrev_b32 v8, 8, v8
	v_ldexp_f64 v[8:9], |v[10:11]|, v8
	s_delay_alu instid0(VALU_DEP_1) | instskip(SKIP_3) | instid1(VALU_DEP_1)
	v_rsq_f64_e32 v[18:19], v[8:9]
	s_waitcnt_depctr 0xfff
	v_mul_f64 v[20:21], v[8:9], v[18:19]
	v_mul_f64 v[18:19], v[18:19], 0.5
	v_fma_f64 v[22:23], -v[18:19], v[20:21], 0.5
	s_delay_alu instid0(VALU_DEP_1) | instskip(SKIP_1) | instid1(VALU_DEP_2)
	v_fma_f64 v[20:21], v[20:21], v[22:23], v[20:21]
	v_fma_f64 v[18:19], v[18:19], v[22:23], v[18:19]
	v_fma_f64 v[22:23], -v[20:21], v[20:21], v[8:9]
	s_delay_alu instid0(VALU_DEP_1) | instskip(NEXT) | instid1(VALU_DEP_1)
	v_fma_f64 v[20:21], v[22:23], v[18:19], v[20:21]
	v_fma_f64 v[22:23], -v[20:21], v[20:21], v[8:9]
	s_delay_alu instid0(VALU_DEP_1) | instskip(NEXT) | instid1(VALU_DEP_1)
	v_fma_f64 v[10:11], v[22:23], v[18:19], v[20:21]
	v_ldexp_f64 v[10:11], v[10:11], v17
	v_cndmask_b32_e32 v14, 0, v14, vcc_lo
	v_cmp_class_f64_e64 vcc_lo, v[8:9], 0x260
	s_delay_alu instid0(VALU_DEP_3) | instskip(NEXT) | instid1(VALU_DEP_3)
	v_cndmask_b32_e32 v9, v11, v9, vcc_lo
	v_mul_f64 v[12:13], v[14:15], v[12:13]
	v_cndmask_b32_e32 v8, v10, v8, vcc_lo
	s_delay_alu instid0(VALU_DEP_1) | instskip(NEXT) | instid1(VALU_DEP_1)
	v_div_scale_f64 v[10:11], null, v[8:9], v[8:9], v[12:13]
	v_rcp_f64_e32 v[14:15], v[10:11]
	s_waitcnt_depctr 0xfff
	v_fma_f64 v[17:18], -v[10:11], v[14:15], 1.0
	s_delay_alu instid0(VALU_DEP_1) | instskip(NEXT) | instid1(VALU_DEP_1)
	v_fma_f64 v[14:15], v[14:15], v[17:18], v[14:15]
	v_fma_f64 v[17:18], -v[10:11], v[14:15], 1.0
	s_delay_alu instid0(VALU_DEP_1) | instskip(SKIP_1) | instid1(VALU_DEP_1)
	v_fma_f64 v[14:15], v[14:15], v[17:18], v[14:15]
	v_div_scale_f64 v[17:18], vcc_lo, v[12:13], v[8:9], v[12:13]
	v_mul_f64 v[19:20], v[17:18], v[14:15]
	s_delay_alu instid0(VALU_DEP_1) | instskip(NEXT) | instid1(VALU_DEP_1)
	v_fma_f64 v[10:11], -v[10:11], v[19:20], v[17:18]
                                        ; implicit-def: $vgpr17
	v_div_fmas_f64 v[10:11], v[10:11], v[14:15], v[19:20]
                                        ; implicit-def: $vgpr14_vgpr15
	s_delay_alu instid0(VALU_DEP_1)
	v_div_fixup_f64 v[8:9], v[10:11], v[8:9], v[12:13]
                                        ; implicit-def: $vgpr10_vgpr11
                                        ; implicit-def: $vgpr12_vgpr13
.LBB1_21:
	s_and_not1_saveexec_b32 s3, s3
	s_cbranch_execz .LBB1_23
; %bb.22:
	v_cmp_gt_f64_e64 s4, 0x10000000, |v[10:11]|
	s_delay_alu instid0(VALU_DEP_4) | instskip(SKIP_1) | instid1(VALU_DEP_3)
	v_ldexp_f64 v[14:15], -v[14:15], v17
	v_cmp_nlt_f64_e64 vcc_lo, 0x40900000, |v[10:11]|
	v_cndmask_b32_e64 v8, 0, 1, s4
	v_cndmask_b32_e64 v17, 0, 0xffffff80, s4
	s_delay_alu instid0(VALU_DEP_2) | instskip(NEXT) | instid1(VALU_DEP_1)
	v_dual_cndmask_b32 v15, 0xfff00000, v15 :: v_dual_lshlrev_b32 v8, 8, v8
	v_ldexp_f64 v[8:9], |v[10:11]|, v8
	s_delay_alu instid0(VALU_DEP_1) | instskip(SKIP_3) | instid1(VALU_DEP_1)
	v_rsq_f64_e32 v[18:19], v[8:9]
	s_waitcnt_depctr 0xfff
	v_mul_f64 v[20:21], v[8:9], v[18:19]
	v_mul_f64 v[18:19], v[18:19], 0.5
	v_fma_f64 v[22:23], -v[18:19], v[20:21], 0.5
	s_delay_alu instid0(VALU_DEP_1) | instskip(SKIP_1) | instid1(VALU_DEP_2)
	v_fma_f64 v[20:21], v[20:21], v[22:23], v[20:21]
	v_fma_f64 v[18:19], v[18:19], v[22:23], v[18:19]
	v_fma_f64 v[22:23], -v[20:21], v[20:21], v[8:9]
	s_delay_alu instid0(VALU_DEP_1) | instskip(NEXT) | instid1(VALU_DEP_1)
	v_fma_f64 v[20:21], v[22:23], v[18:19], v[20:21]
	v_fma_f64 v[22:23], -v[20:21], v[20:21], v[8:9]
	s_delay_alu instid0(VALU_DEP_1) | instskip(NEXT) | instid1(VALU_DEP_1)
	v_fma_f64 v[10:11], v[22:23], v[18:19], v[20:21]
	v_ldexp_f64 v[10:11], v[10:11], v17
	v_cndmask_b32_e32 v14, 0, v14, vcc_lo
	v_cmp_class_f64_e64 vcc_lo, v[8:9], 0x260
	s_delay_alu instid0(VALU_DEP_3) | instskip(NEXT) | instid1(VALU_DEP_3)
	v_cndmask_b32_e32 v9, v11, v9, vcc_lo
	v_mul_f64 v[12:13], v[14:15], v[12:13]
	v_cndmask_b32_e32 v8, v10, v8, vcc_lo
	s_delay_alu instid0(VALU_DEP_1) | instskip(NEXT) | instid1(VALU_DEP_1)
	v_div_scale_f64 v[10:11], null, v[8:9], v[8:9], v[12:13]
	v_rcp_f64_e32 v[14:15], v[10:11]
	s_waitcnt_depctr 0xfff
	v_fma_f64 v[17:18], -v[10:11], v[14:15], 1.0
	s_delay_alu instid0(VALU_DEP_1) | instskip(NEXT) | instid1(VALU_DEP_1)
	v_fma_f64 v[14:15], v[14:15], v[17:18], v[14:15]
	v_fma_f64 v[17:18], -v[10:11], v[14:15], 1.0
	s_delay_alu instid0(VALU_DEP_1) | instskip(SKIP_1) | instid1(VALU_DEP_1)
	v_fma_f64 v[14:15], v[14:15], v[17:18], v[14:15]
	v_div_scale_f64 v[17:18], vcc_lo, v[12:13], v[8:9], v[12:13]
	v_mul_f64 v[19:20], v[17:18], v[14:15]
	s_delay_alu instid0(VALU_DEP_1) | instskip(NEXT) | instid1(VALU_DEP_1)
	v_fma_f64 v[10:11], -v[10:11], v[19:20], v[17:18]
	v_div_fmas_f64 v[10:11], v[10:11], v[14:15], v[19:20]
	s_delay_alu instid0(VALU_DEP_1)
	v_div_fixup_f64 v[8:9], v[10:11], v[8:9], v[12:13]
.LBB1_23:
	s_or_b32 exec_lo, exec_lo, s3
.LBB1_24:
	s_delay_alu instid0(SALU_CYCLE_1) | instskip(SKIP_2) | instid1(VALU_DEP_1)
	s_or_b32 exec_lo, exec_lo, s2
	s_waitcnt vmcnt(0) lgkmcnt(0)
	v_cmp_ge_f64_e64 s2, 0x40200000, |v[2:3]|
                                        ; implicit-def: $vgpr10_vgpr11
	s_and_saveexec_b32 s3, s2
	s_delay_alu instid0(SALU_CYCLE_1)
	s_xor_b32 s2, exec_lo, s3
	s_cbranch_execz .LBB1_30
; %bb.25:
	v_fma_f64 v[10:11], |v[2:3]|, 0.5, -2.0
	s_mov_b32 s4, 0xc38a0576
	s_mov_b32 s5, 0xbc7857d0
	;; [unrolled: 1-line block ×4, first 2 shown]
	s_mov_b32 s3, exec_lo
	s_delay_alu instid0(VALU_DEP_1) | instskip(SKIP_3) | instid1(VALU_DEP_1)
	v_fma_f64 v[12:13], v[10:11], s[6:7], s[4:5]
	s_mov_b32 s7, 0xbc499f2a
	s_mov_b32 s4, 0xe593bfac
	;; [unrolled: 1-line block ×3, first 2 shown]
	v_fma_f64 v[14:15], v[10:11], v[12:13], s[6:7]
	s_delay_alu instid0(VALU_DEP_1) | instskip(SKIP_2) | instid1(VALU_DEP_1)
	v_add_f64 v[14:15], v[14:15], s[4:5]
	s_mov_b32 s4, 0x7e0d1573
	s_mov_b32 s5, 0xbcd3eaaa
	v_fma_f64 v[12:13], v[10:11], v[14:15], -v[12:13]
	s_delay_alu instid0(VALU_DEP_1) | instskip(SKIP_2) | instid1(VALU_DEP_1)
	v_add_f64 v[12:13], v[12:13], s[4:5]
	s_mov_b32 s4, 0x615290c
	s_mov_b32 s5, 0x3d011d7f
	v_fma_f64 v[14:15], v[10:11], v[12:13], -v[14:15]
	;; [unrolled: 5-line block ×26, first 2 shown]
	s_delay_alu instid0(VALU_DEP_1) | instskip(NEXT) | instid1(VALU_DEP_1)
	v_add_f64 v[10:11], v[10:11], s[4:5]
	v_add_f64 v[12:13], v[10:11], -v[14:15]
                                        ; implicit-def: $vgpr10_vgpr11
	v_cmpx_ngt_f64_e32 0, v[2:3]
	s_xor_b32 s3, exec_lo, s3
	s_cbranch_execz .LBB1_27
; %bb.26:
	s_mov_b32 s4, 0x652b82fe
	s_mov_b32 s5, 0x3ff71547
	;; [unrolled: 1-line block ×3, first 2 shown]
	v_mul_f64 v[10:11], |v[2:3]|, s[4:5]
	s_mov_b32 s4, 0xfefa39ef
	s_mov_b32 s5, 0xbfe62e42
	s_mov_b32 s7, 0x3e5ade15
	s_delay_alu instid0(VALU_DEP_3) | instskip(SKIP_1) | instid1(VALU_DEP_3)
	v_mul_f64 v[12:13], v[12:13], 0.5
	v_cmp_nlt_f64_e64 vcc_lo, 0x40900000, |v[2:3]|
	v_rndne_f64_e32 v[10:11], v[10:11]
	s_delay_alu instid0(VALU_DEP_1) | instskip(SKIP_4) | instid1(VALU_DEP_3)
	v_fma_f64 v[14:15], v[10:11], s[4:5], |v[2:3]|
	s_mov_b32 s4, 0x3b39803f
	s_mov_b32 s5, 0xbc7abc9e
	v_cvt_i32_f64_e32 v19, v[10:11]
	v_mul_f64 v[2:3], |v[2:3]|, v[12:13]
                                        ; implicit-def: $vgpr12_vgpr13
	v_fma_f64 v[14:15], v[10:11], s[4:5], v[14:15]
	s_mov_b32 s4, 0xfca7ab0c
	s_mov_b32 s5, 0x3e928af3
	s_delay_alu instid0(VALU_DEP_1) | instid1(SALU_CYCLE_1)
	v_fma_f64 v[17:18], v[14:15], s[6:7], s[4:5]
	s_mov_b32 s4, 0x623fde64
	s_mov_b32 s5, 0x3ec71dee
	s_delay_alu instid0(VALU_DEP_1) | instid1(SALU_CYCLE_1)
	;; [unrolled: 4-line block ×9, first 2 shown]
	v_fma_f64 v[17:18], v[14:15], v[17:18], s[4:5]
	s_delay_alu instid0(VALU_DEP_1) | instskip(NEXT) | instid1(VALU_DEP_1)
	v_fma_f64 v[17:18], v[14:15], v[17:18], 1.0
	v_fma_f64 v[10:11], v[14:15], v[17:18], 1.0
	s_delay_alu instid0(VALU_DEP_1) | instskip(NEXT) | instid1(VALU_DEP_1)
	v_ldexp_f64 v[10:11], v[10:11], v19
	v_cndmask_b32_e32 v11, 0x7ff00000, v11, vcc_lo
	s_delay_alu instid0(VALU_DEP_2) | instskip(NEXT) | instid1(VALU_DEP_1)
	v_cndmask_b32_e32 v10, 0, v10, vcc_lo
	v_mul_f64 v[10:11], v[10:11], v[2:3]
.LBB1_27:
	s_and_not1_saveexec_b32 s3, s3
	s_cbranch_execz .LBB1_29
; %bb.28:
	s_mov_b32 s4, 0x652b82fe
	s_mov_b32 s5, 0x3ff71547
	;; [unrolled: 1-line block ×3, first 2 shown]
	v_mul_f64 v[10:11], |v[2:3]|, s[4:5]
	s_mov_b32 s4, 0xfefa39ef
	s_mov_b32 s5, 0xbfe62e42
	s_mov_b32 s7, 0x3e5ade15
	s_delay_alu instid0(VALU_DEP_3) | instskip(SKIP_1) | instid1(VALU_DEP_3)
	v_mul_f64 v[12:13], v[12:13], -0.5
	v_cmp_nlt_f64_e64 vcc_lo, 0x40900000, |v[2:3]|
	v_rndne_f64_e32 v[10:11], v[10:11]
	s_delay_alu instid0(VALU_DEP_1) | instskip(SKIP_4) | instid1(VALU_DEP_3)
	v_fma_f64 v[14:15], v[10:11], s[4:5], |v[2:3]|
	s_mov_b32 s4, 0x3b39803f
	s_mov_b32 s5, 0xbc7abc9e
	v_cvt_i32_f64_e32 v19, v[10:11]
	v_mul_f64 v[2:3], |v[2:3]|, v[12:13]
	v_fma_f64 v[14:15], v[10:11], s[4:5], v[14:15]
	s_mov_b32 s4, 0xfca7ab0c
	s_mov_b32 s5, 0x3e928af3
	s_delay_alu instid0(VALU_DEP_1) | instid1(SALU_CYCLE_1)
	v_fma_f64 v[17:18], v[14:15], s[6:7], s[4:5]
	s_mov_b32 s4, 0x623fde64
	s_mov_b32 s5, 0x3ec71dee
	s_delay_alu instid0(VALU_DEP_1) | instid1(SALU_CYCLE_1)
	;; [unrolled: 4-line block ×9, first 2 shown]
	v_fma_f64 v[17:18], v[14:15], v[17:18], s[4:5]
	s_delay_alu instid0(VALU_DEP_1) | instskip(NEXT) | instid1(VALU_DEP_1)
	v_fma_f64 v[17:18], v[14:15], v[17:18], 1.0
	v_fma_f64 v[10:11], v[14:15], v[17:18], 1.0
	s_delay_alu instid0(VALU_DEP_1) | instskip(NEXT) | instid1(VALU_DEP_1)
	v_ldexp_f64 v[10:11], v[10:11], v19
	v_cndmask_b32_e32 v11, 0x7ff00000, v11, vcc_lo
	s_delay_alu instid0(VALU_DEP_2) | instskip(NEXT) | instid1(VALU_DEP_1)
	v_cndmask_b32_e32 v10, 0, v10, vcc_lo
	v_mul_f64 v[10:11], v[10:11], v[2:3]
.LBB1_29:
	s_or_b32 exec_lo, exec_lo, s3
.LBB1_30:
	s_and_not1_saveexec_b32 s2, s2
	s_cbranch_execz .LBB1_36
; %bb.31:
	v_dual_mov_b32 v10, v2 :: v_dual_and_b32 v11, 0x7fffffff, v3
	s_mov_b32 s4, 0xea87b950
	s_mov_b32 s5, 0x3c545b8a
	;; [unrolled: 1-line block ×4, first 2 shown]
	v_div_scale_f64 v[12:13], null, v[10:11], v[10:11], 0x40400000
	v_div_scale_f64 v[10:11], vcc_lo, 0x40400000, v[10:11], 0x40400000
	s_mov_b32 s8, 0x2e9e5443
	s_mov_b32 s9, 0xbe90dbfd
	s_mov_b32 s3, exec_lo
	s_delay_alu instid0(VALU_DEP_2) | instskip(SKIP_2) | instid1(VALU_DEP_1)
	v_rcp_f64_e32 v[14:15], v[12:13]
	s_waitcnt_depctr 0xfff
	v_fma_f64 v[17:18], -v[12:13], v[14:15], 1.0
	v_fma_f64 v[14:15], v[14:15], v[17:18], v[14:15]
	s_delay_alu instid0(VALU_DEP_1) | instskip(NEXT) | instid1(VALU_DEP_1)
	v_fma_f64 v[17:18], -v[12:13], v[14:15], 1.0
	v_fma_f64 v[14:15], v[14:15], v[17:18], v[14:15]
	s_delay_alu instid0(VALU_DEP_1) | instskip(NEXT) | instid1(VALU_DEP_1)
	v_mul_f64 v[17:18], v[10:11], v[14:15]
	v_fma_f64 v[10:11], -v[12:13], v[17:18], v[10:11]
	s_delay_alu instid0(VALU_DEP_1) | instskip(NEXT) | instid1(VALU_DEP_1)
	v_div_fmas_f64 v[10:11], v[10:11], v[14:15], v[17:18]
	v_div_fixup_f64 v[10:11], v[10:11], |v[2:3]|, 0x40400000
	s_delay_alu instid0(VALU_DEP_1) | instskip(NEXT) | instid1(VALU_DEP_1)
	v_add_f64 v[10:11], v[10:11], -2.0
	v_fma_f64 v[12:13], v[10:11], s[6:7], s[4:5]
	s_mov_b32 s7, 0xbc61556d
	s_mov_b32 s4, 0xb2532277
	;; [unrolled: 1-line block ×3, first 2 shown]
	s_delay_alu instid0(VALU_DEP_1) | instskip(SKIP_2) | instid1(VALU_DEP_1)
	v_fma_f64 v[14:15], v[10:11], v[12:13], s[6:7]
	s_mov_b32 s6, 0x9ad53528
	s_mov_b32 s7, 0xbe30790b
	v_add_f64 v[14:15], v[14:15], s[4:5]
	s_mov_b32 s4, 0x9c773320
	s_mov_b32 s5, 0xbc82806c
	s_delay_alu instid0(VALU_DEP_1) | instskip(NEXT) | instid1(VALU_DEP_1)
	v_fma_f64 v[12:13], v[10:11], v[14:15], -v[12:13]
	v_add_f64 v[12:13], v[12:13], s[4:5]
	s_mov_b32 s4, 0xfceb588a
	s_mov_b32 s5, 0x3cb55915
	s_delay_alu instid0(VALU_DEP_1) | instskip(NEXT) | instid1(VALU_DEP_1)
	v_fma_f64 v[14:15], v[10:11], v[12:13], -v[14:15]
	v_add_f64 v[14:15], v[14:15], s[4:5]
	s_mov_b32 s4, 0x5f04a2d1
	s_mov_b32 s5, 0x3cb7d68e
	s_delay_alu instid0(VALU_DEP_1) | instskip(NEXT) | instid1(VALU_DEP_1)
	v_fma_f64 v[12:13], v[10:11], v[14:15], -v[12:13]
	v_add_f64 v[12:13], v[12:13], s[4:5]
	s_mov_b32 s4, 0x8bc4d22a
	s_mov_b32 s5, 0xbce0efcd
	s_delay_alu instid0(VALU_DEP_1) | instskip(NEXT) | instid1(VALU_DEP_1)
	v_fma_f64 v[14:15], v[10:11], v[12:13], -v[14:15]
	v_add_f64 v[14:15], v[14:15], s[4:5]
	s_mov_b32 s4, 0x138afbc7
	s_mov_b32 s5, 0xbcf12db5
	s_delay_alu instid0(VALU_DEP_1) | instskip(NEXT) | instid1(VALU_DEP_1)
	v_fma_f64 v[12:13], v[10:11], v[14:15], -v[12:13]
	v_add_f64 v[12:13], v[12:13], s[4:5]
	s_mov_b32 s4, 0x762d31e8
	s_mov_b32 s5, 0x3d0776e1
	s_delay_alu instid0(VALU_DEP_1) | instskip(NEXT) | instid1(VALU_DEP_1)
	v_fma_f64 v[14:15], v[10:11], v[12:13], -v[14:15]
	v_add_f64 v[14:15], v[14:15], s[4:5]
	s_mov_b32 s4, 0x26b3281e
	s_mov_b32 s5, 0x3d280d3c
	s_delay_alu instid0(VALU_DEP_1) | instskip(NEXT) | instid1(VALU_DEP_1)
	v_fma_f64 v[12:13], v[10:11], v[14:15], -v[12:13]
	v_add_f64 v[12:13], v[12:13], s[4:5]
	s_mov_b32 s4, 0x2e6d22a0
	s_mov_b32 s5, 0xbd17a948
	s_delay_alu instid0(VALU_DEP_1) | instskip(NEXT) | instid1(VALU_DEP_1)
	v_fma_f64 v[14:15], v[10:11], v[12:13], -v[14:15]
	v_add_f64 v[14:15], v[14:15], s[4:5]
	s_mov_b32 s4, 0x8e73e255
	s_mov_b32 s5, 0xbd5cbc45
	s_delay_alu instid0(VALU_DEP_1) | instskip(NEXT) | instid1(VALU_DEP_1)
	v_fma_f64 v[12:13], v[10:11], v[14:15], -v[12:13]
	v_add_f64 v[12:13], v[12:13], s[4:5]
	s_mov_b32 s4, 0x76ab493
	s_mov_b32 s5, 0xbd6953e1
	s_delay_alu instid0(VALU_DEP_1) | instskip(NEXT) | instid1(VALU_DEP_1)
	v_fma_f64 v[14:15], v[10:11], v[12:13], -v[14:15]
	v_add_f64 v[14:15], v[14:15], s[4:5]
	s_mov_b32 s4, 0xf6439fa3
	s_mov_b32 s5, 0x3d81e7d3
	s_delay_alu instid0(VALU_DEP_1) | instskip(NEXT) | instid1(VALU_DEP_1)
	v_fma_f64 v[12:13], v[10:11], v[14:15], -v[12:13]
	v_add_f64 v[12:13], v[12:13], s[4:5]
	s_mov_b32 s4, 0x653c457b
	s_mov_b32 s5, 0x3daf101f
	s_delay_alu instid0(VALU_DEP_1) | instskip(NEXT) | instid1(VALU_DEP_1)
	v_fma_f64 v[14:15], v[10:11], v[12:13], -v[14:15]
	v_add_f64 v[14:15], v[14:15], s[4:5]
	s_mov_b32 s4, 0xf1587865
	s_mov_b32 s5, 0x3dc1e1a1
	s_delay_alu instid0(VALU_DEP_1) | instskip(NEXT) | instid1(VALU_DEP_1)
	v_fma_f64 v[12:13], v[10:11], v[14:15], -v[12:13]
	v_add_f64 v[12:13], v[12:13], s[4:5]
	s_mov_b32 s4, 0xd4504c0c
	s_mov_b32 s5, 0xbdb4dcf9
	s_delay_alu instid0(VALU_DEP_1) | instskip(NEXT) | instid1(VALU_DEP_1)
	v_fma_f64 v[14:15], v[10:11], v[12:13], -v[14:15]
	v_add_f64 v[14:15], v[14:15], s[4:5]
	s_mov_b32 s4, 0x5423dd80
	s_mov_b32 s5, 0xbe0334ca
	s_delay_alu instid0(VALU_DEP_1) | instskip(NEXT) | instid1(VALU_DEP_1)
	v_fma_f64 v[12:13], v[10:11], v[14:15], -v[12:13]
	v_add_f64 v[12:13], v[12:13], s[4:5]
	s_mov_b32 s4, 0x652b82fe
	s_mov_b32 s5, 0x3ff71547
	s_delay_alu instid0(SALU_CYCLE_1) | instskip(SKIP_2) | instid1(VALU_DEP_2)
	v_mul_f64 v[17:18], |v[2:3]|, s[4:5]
	s_mov_b32 s4, 0xfefa39ef
	s_mov_b32 s5, 0xbfe62e42
	v_fma_f64 v[14:15], v[10:11], v[12:13], -v[14:15]
	s_delay_alu instid0(VALU_DEP_2) | instskip(NEXT) | instid1(VALU_DEP_2)
	v_rndne_f64_e32 v[17:18], v[17:18]
	v_add_f64 v[14:15], v[14:15], s[6:7]
	s_mov_b32 s6, 0x94bb46c1
	s_mov_b32 s7, 0xbe5c4153
	s_delay_alu instid0(VALU_DEP_2) | instskip(SKIP_2) | instid1(VALU_DEP_2)
	v_fma_f64 v[19:20], v[17:18], s[4:5], |v[2:3]|
	s_mov_b32 s4, 0x3b39803f
	s_mov_b32 s5, 0xbc7abc9e
	v_fma_f64 v[12:13], v[10:11], v[14:15], -v[12:13]
	s_delay_alu instid0(VALU_DEP_2) | instskip(SKIP_3) | instid1(VALU_DEP_3)
	v_fma_f64 v[19:20], v[17:18], s[4:5], v[19:20]
	s_mov_b32 s4, 0xfca7ab0c
	s_mov_b32 s5, 0x3e928af3
	v_cvt_i32_f64_e32 v17, v[17:18]
	v_add_f64 v[12:13], v[12:13], s[6:7]
	s_mov_b32 s6, 0x6a5dcb37
	s_mov_b32 s7, 0x3e5ade15
	s_delay_alu instid0(VALU_DEP_3) | instid1(SALU_CYCLE_1)
	v_fma_f64 v[21:22], v[19:20], s[6:7], s[4:5]
	s_mov_b32 s4, 0x623fde64
	s_mov_b32 s5, 0x3ec71dee
	;; [unrolled: 1-line block ×4, first 2 shown]
	s_delay_alu instid0(VALU_DEP_2) | instskip(NEXT) | instid1(VALU_DEP_2)
	v_fma_f64 v[14:15], v[10:11], v[12:13], -v[14:15]
	v_fma_f64 v[21:22], v[19:20], v[21:22], s[4:5]
	s_mov_b32 s4, 0x7c89e6b0
	s_mov_b32 s5, 0x3efa0199
	s_delay_alu instid0(VALU_DEP_2) | instskip(NEXT) | instid1(VALU_DEP_2)
	v_add_f64 v[14:15], v[14:15], s[8:9]
	v_fma_f64 v[21:22], v[19:20], v[21:22], s[4:5]
	s_mov_b32 s4, 0x14761f6e
	s_mov_b32 s5, 0x3f2a01a0
	s_delay_alu instid0(VALU_DEP_2) | instskip(NEXT) | instid1(VALU_DEP_2)
	v_fma_f64 v[12:13], v[10:11], v[14:15], -v[12:13]
	v_fma_f64 v[21:22], v[19:20], v[21:22], s[4:5]
	s_mov_b32 s4, 0x1852b7b0
	s_mov_b32 s5, 0x3f56c16c
	s_delay_alu instid0(VALU_DEP_2) | instskip(SKIP_2) | instid1(VALU_DEP_2)
	v_add_f64 v[12:13], v[12:13], s[6:7]
	s_mov_b32 s6, 0x804aa9a6
	s_mov_b32 s7, 0xbf1cfd7f
	v_fma_f64 v[21:22], v[19:20], v[21:22], s[4:5]
	s_mov_b32 s4, 0x11122322
	s_mov_b32 s5, 0x3f811111
	s_delay_alu instid0(VALU_DEP_2) | instskip(NEXT) | instid1(VALU_DEP_2)
	v_fma_f64 v[14:15], v[10:11], v[12:13], -v[14:15]
	v_fma_f64 v[21:22], v[19:20], v[21:22], s[4:5]
	s_mov_b32 s4, 0x555502a1
	s_mov_b32 s5, 0x3fa55555
	s_delay_alu instid0(VALU_DEP_2) | instskip(SKIP_2) | instid1(VALU_DEP_2)
	v_add_f64 v[14:15], v[14:15], s[6:7]
	s_mov_b32 s6, 0x53fcdb4c
	s_mov_b32 s7, 0xbf83fda0
	v_fma_f64 v[21:22], v[19:20], v[21:22], s[4:5]
	s_mov_b32 s4, 0x55555511
	s_mov_b32 s5, 0x3fc55555
	s_delay_alu instid0(VALU_DEP_2) | instskip(NEXT) | instid1(VALU_DEP_2)
	v_fma_f64 v[12:13], v[10:11], v[14:15], -v[12:13]
	v_fma_f64 v[21:22], v[19:20], v[21:22], s[4:5]
	s_mov_b32 s4, 11
	s_mov_b32 s5, 0x3fe00000
	s_delay_alu instid0(VALU_DEP_2) | instskip(SKIP_2) | instid1(VALU_DEP_1)
	v_add_f64 v[12:13], v[12:13], s[6:7]
	s_mov_b32 s6, 0xb55b1514
	s_mov_b32 s7, 0x3fe8ea18
	v_fma_f64 v[10:11], v[10:11], v[12:13], -v[14:15]
	s_delay_alu instid0(VALU_DEP_3) | instskip(NEXT) | instid1(VALU_DEP_2)
	v_fma_f64 v[12:13], v[19:20], v[21:22], s[4:5]
	v_add_f64 v[10:11], v[10:11], s[6:7]
	s_delay_alu instid0(VALU_DEP_2) | instskip(NEXT) | instid1(VALU_DEP_2)
	v_fma_f64 v[12:13], v[19:20], v[12:13], 1.0
	v_add_f64 v[10:11], v[10:11], -v[14:15]
	s_delay_alu instid0(VALU_DEP_2) | instskip(NEXT) | instid1(VALU_DEP_2)
	v_fma_f64 v[14:15], v[19:20], v[12:13], 1.0
	v_mul_f64 v[12:13], v[10:11], 0.5
                                        ; implicit-def: $vgpr10_vgpr11
	v_cmpx_ngt_f64_e32 0, v[2:3]
	s_xor_b32 s3, exec_lo, s3
	s_cbranch_execz .LBB1_33
; %bb.32:
	v_cmp_gt_f64_e64 s4, 0x10000000, |v[2:3]|
	s_delay_alu instid0(VALU_DEP_4) | instskip(SKIP_1) | instid1(VALU_DEP_3)
	v_ldexp_f64 v[14:15], v[14:15], v17
	v_cmp_nlt_f64_e64 vcc_lo, 0x40900000, |v[2:3]|
	v_cndmask_b32_e64 v10, 0, 1, s4
	v_cndmask_b32_e64 v17, 0, 0xffffff80, s4
	s_delay_alu instid0(VALU_DEP_2) | instskip(NEXT) | instid1(VALU_DEP_1)
	v_dual_cndmask_b32 v15, 0x7ff00000, v15 :: v_dual_lshlrev_b32 v10, 8, v10
	v_ldexp_f64 v[10:11], |v[2:3]|, v10
	s_delay_alu instid0(VALU_DEP_1) | instskip(SKIP_3) | instid1(VALU_DEP_1)
	v_rsq_f64_e32 v[18:19], v[10:11]
	s_waitcnt_depctr 0xfff
	v_mul_f64 v[20:21], v[10:11], v[18:19]
	v_mul_f64 v[18:19], v[18:19], 0.5
	v_fma_f64 v[22:23], -v[18:19], v[20:21], 0.5
	s_delay_alu instid0(VALU_DEP_1) | instskip(SKIP_1) | instid1(VALU_DEP_2)
	v_fma_f64 v[20:21], v[20:21], v[22:23], v[20:21]
	v_fma_f64 v[18:19], v[18:19], v[22:23], v[18:19]
	v_fma_f64 v[22:23], -v[20:21], v[20:21], v[10:11]
	s_delay_alu instid0(VALU_DEP_1) | instskip(NEXT) | instid1(VALU_DEP_1)
	v_fma_f64 v[20:21], v[22:23], v[18:19], v[20:21]
	v_fma_f64 v[22:23], -v[20:21], v[20:21], v[10:11]
	s_delay_alu instid0(VALU_DEP_1) | instskip(NEXT) | instid1(VALU_DEP_1)
	v_fma_f64 v[2:3], v[22:23], v[18:19], v[20:21]
	v_ldexp_f64 v[2:3], v[2:3], v17
	v_cndmask_b32_e32 v14, 0, v14, vcc_lo
	v_cmp_class_f64_e64 vcc_lo, v[10:11], 0x260
	s_delay_alu instid0(VALU_DEP_3) | instskip(NEXT) | instid1(VALU_DEP_3)
	v_cndmask_b32_e32 v3, v3, v11, vcc_lo
	v_mul_f64 v[12:13], v[14:15], v[12:13]
	v_cndmask_b32_e32 v2, v2, v10, vcc_lo
	s_delay_alu instid0(VALU_DEP_1) | instskip(NEXT) | instid1(VALU_DEP_1)
	v_div_scale_f64 v[10:11], null, v[2:3], v[2:3], v[12:13]
	v_rcp_f64_e32 v[14:15], v[10:11]
	s_waitcnt_depctr 0xfff
	v_fma_f64 v[17:18], -v[10:11], v[14:15], 1.0
	s_delay_alu instid0(VALU_DEP_1) | instskip(NEXT) | instid1(VALU_DEP_1)
	v_fma_f64 v[14:15], v[14:15], v[17:18], v[14:15]
	v_fma_f64 v[17:18], -v[10:11], v[14:15], 1.0
	s_delay_alu instid0(VALU_DEP_1) | instskip(SKIP_1) | instid1(VALU_DEP_1)
	v_fma_f64 v[14:15], v[14:15], v[17:18], v[14:15]
	v_div_scale_f64 v[17:18], vcc_lo, v[12:13], v[2:3], v[12:13]
	v_mul_f64 v[19:20], v[17:18], v[14:15]
	s_delay_alu instid0(VALU_DEP_1) | instskip(NEXT) | instid1(VALU_DEP_1)
	v_fma_f64 v[10:11], -v[10:11], v[19:20], v[17:18]
                                        ; implicit-def: $vgpr17
	v_div_fmas_f64 v[10:11], v[10:11], v[14:15], v[19:20]
                                        ; implicit-def: $vgpr14_vgpr15
	s_delay_alu instid0(VALU_DEP_1)
	v_div_fixup_f64 v[10:11], v[10:11], v[2:3], v[12:13]
                                        ; implicit-def: $vgpr12_vgpr13
.LBB1_33:
	s_and_not1_saveexec_b32 s3, s3
	s_cbranch_execz .LBB1_35
; %bb.34:
	v_cmp_gt_f64_e64 s4, 0x10000000, |v[2:3]|
	s_delay_alu instid0(VALU_DEP_4) | instskip(SKIP_1) | instid1(VALU_DEP_3)
	v_ldexp_f64 v[14:15], -v[14:15], v17
	v_cmp_nlt_f64_e64 vcc_lo, 0x40900000, |v[2:3]|
	v_cndmask_b32_e64 v10, 0, 1, s4
	v_cndmask_b32_e64 v17, 0, 0xffffff80, s4
	s_delay_alu instid0(VALU_DEP_2) | instskip(NEXT) | instid1(VALU_DEP_1)
	v_dual_cndmask_b32 v15, 0xfff00000, v15 :: v_dual_lshlrev_b32 v10, 8, v10
	v_ldexp_f64 v[10:11], |v[2:3]|, v10
	s_delay_alu instid0(VALU_DEP_1) | instskip(SKIP_3) | instid1(VALU_DEP_1)
	v_rsq_f64_e32 v[18:19], v[10:11]
	s_waitcnt_depctr 0xfff
	v_mul_f64 v[20:21], v[10:11], v[18:19]
	v_mul_f64 v[18:19], v[18:19], 0.5
	v_fma_f64 v[22:23], -v[18:19], v[20:21], 0.5
	s_delay_alu instid0(VALU_DEP_1) | instskip(SKIP_1) | instid1(VALU_DEP_2)
	v_fma_f64 v[20:21], v[20:21], v[22:23], v[20:21]
	v_fma_f64 v[18:19], v[18:19], v[22:23], v[18:19]
	v_fma_f64 v[22:23], -v[20:21], v[20:21], v[10:11]
	s_delay_alu instid0(VALU_DEP_1) | instskip(NEXT) | instid1(VALU_DEP_1)
	v_fma_f64 v[20:21], v[22:23], v[18:19], v[20:21]
	v_fma_f64 v[22:23], -v[20:21], v[20:21], v[10:11]
	s_delay_alu instid0(VALU_DEP_1) | instskip(NEXT) | instid1(VALU_DEP_1)
	v_fma_f64 v[2:3], v[22:23], v[18:19], v[20:21]
	v_ldexp_f64 v[2:3], v[2:3], v17
	v_cndmask_b32_e32 v14, 0, v14, vcc_lo
	v_cmp_class_f64_e64 vcc_lo, v[10:11], 0x260
	s_delay_alu instid0(VALU_DEP_3) | instskip(NEXT) | instid1(VALU_DEP_3)
	v_cndmask_b32_e32 v3, v3, v11, vcc_lo
	v_mul_f64 v[12:13], v[14:15], v[12:13]
	v_cndmask_b32_e32 v2, v2, v10, vcc_lo
	s_delay_alu instid0(VALU_DEP_1) | instskip(NEXT) | instid1(VALU_DEP_1)
	v_div_scale_f64 v[10:11], null, v[2:3], v[2:3], v[12:13]
	v_rcp_f64_e32 v[14:15], v[10:11]
	s_waitcnt_depctr 0xfff
	v_fma_f64 v[17:18], -v[10:11], v[14:15], 1.0
	s_delay_alu instid0(VALU_DEP_1) | instskip(NEXT) | instid1(VALU_DEP_1)
	v_fma_f64 v[14:15], v[14:15], v[17:18], v[14:15]
	v_fma_f64 v[17:18], -v[10:11], v[14:15], 1.0
	s_delay_alu instid0(VALU_DEP_1) | instskip(SKIP_1) | instid1(VALU_DEP_1)
	v_fma_f64 v[14:15], v[14:15], v[17:18], v[14:15]
	v_div_scale_f64 v[17:18], vcc_lo, v[12:13], v[2:3], v[12:13]
	v_mul_f64 v[19:20], v[17:18], v[14:15]
	s_delay_alu instid0(VALU_DEP_1) | instskip(NEXT) | instid1(VALU_DEP_1)
	v_fma_f64 v[10:11], -v[10:11], v[19:20], v[17:18]
	v_div_fmas_f64 v[10:11], v[10:11], v[14:15], v[19:20]
	s_delay_alu instid0(VALU_DEP_1)
	v_div_fixup_f64 v[10:11], v[10:11], v[2:3], v[12:13]
.LBB1_35:
	s_or_b32 exec_lo, exec_lo, s3
.LBB1_36:
	s_delay_alu instid0(SALU_CYCLE_1) | instskip(SKIP_1) | instid1(VALU_DEP_1)
	s_or_b32 exec_lo, exec_lo, s2
	v_cmp_ge_f64_e64 s2, 0x40200000, |v[4:5]|
	s_and_saveexec_b32 s3, s2
	s_delay_alu instid0(SALU_CYCLE_1)
	s_xor_b32 s2, exec_lo, s3
	s_cbranch_execz .LBB1_42
; %bb.37:
	v_fma_f64 v[2:3], |v[4:5]|, 0.5, -2.0
	s_mov_b32 s4, 0xc38a0576
	s_mov_b32 s5, 0xbc7857d0
	;; [unrolled: 1-line block ×4, first 2 shown]
	s_mov_b32 s3, exec_lo
	s_delay_alu instid0(VALU_DEP_1) | instskip(SKIP_3) | instid1(VALU_DEP_1)
	v_fma_f64 v[12:13], v[2:3], s[6:7], s[4:5]
	s_mov_b32 s7, 0xbc499f2a
	s_mov_b32 s4, 0xe593bfac
	;; [unrolled: 1-line block ×3, first 2 shown]
	v_fma_f64 v[14:15], v[2:3], v[12:13], s[6:7]
	s_delay_alu instid0(VALU_DEP_1) | instskip(SKIP_2) | instid1(VALU_DEP_1)
	v_add_f64 v[14:15], v[14:15], s[4:5]
	s_mov_b32 s4, 0x7e0d1573
	s_mov_b32 s5, 0xbcd3eaaa
	v_fma_f64 v[12:13], v[2:3], v[14:15], -v[12:13]
	s_delay_alu instid0(VALU_DEP_1) | instskip(SKIP_2) | instid1(VALU_DEP_1)
	v_add_f64 v[12:13], v[12:13], s[4:5]
	s_mov_b32 s4, 0x615290c
	s_mov_b32 s5, 0x3d011d7f
	v_fma_f64 v[14:15], v[2:3], v[12:13], -v[14:15]
	;; [unrolled: 5-line block ×26, first 2 shown]
	s_delay_alu instid0(VALU_DEP_1) | instskip(NEXT) | instid1(VALU_DEP_1)
	v_add_f64 v[2:3], v[2:3], s[4:5]
	v_add_f64 v[2:3], v[2:3], -v[14:15]
	v_cmpx_ngt_f64_e32 0, v[4:5]
	s_xor_b32 s3, exec_lo, s3
	s_cbranch_execz .LBB1_39
; %bb.38:
	s_mov_b32 s4, 0x652b82fe
	s_mov_b32 s5, 0x3ff71547
	;; [unrolled: 1-line block ×3, first 2 shown]
	v_mul_f64 v[12:13], |v[4:5]|, s[4:5]
	s_mov_b32 s4, 0xfefa39ef
	s_mov_b32 s5, 0xbfe62e42
	;; [unrolled: 1-line block ×3, first 2 shown]
	s_delay_alu instid0(VALU_DEP_3) | instskip(SKIP_1) | instid1(VALU_DEP_3)
	v_mul_f64 v[2:3], v[2:3], 0.5
	v_cmp_nlt_f64_e64 vcc_lo, 0x40900000, |v[4:5]|
	v_rndne_f64_e32 v[12:13], v[12:13]
	s_delay_alu instid0(VALU_DEP_3) | instskip(NEXT) | instid1(VALU_DEP_2)
	v_mul_f64 v[2:3], |v[4:5]|, v[2:3]
	v_fma_f64 v[14:15], v[12:13], s[4:5], |v[4:5]|
	s_mov_b32 s4, 0x3b39803f
	s_mov_b32 s5, 0xbc7abc9e
	v_cvt_i32_f64_e32 v19, v[12:13]
	s_delay_alu instid0(VALU_DEP_2)
	v_fma_f64 v[14:15], v[12:13], s[4:5], v[14:15]
	s_mov_b32 s4, 0xfca7ab0c
	s_mov_b32 s5, 0x3e928af3
	s_delay_alu instid0(VALU_DEP_1) | instid1(SALU_CYCLE_1)
	v_fma_f64 v[17:18], v[14:15], s[6:7], s[4:5]
	s_mov_b32 s4, 0x623fde64
	s_mov_b32 s5, 0x3ec71dee
	s_delay_alu instid0(VALU_DEP_1) | instid1(SALU_CYCLE_1)
	;; [unrolled: 4-line block ×9, first 2 shown]
	v_fma_f64 v[17:18], v[14:15], v[17:18], s[4:5]
	s_delay_alu instid0(VALU_DEP_1) | instskip(NEXT) | instid1(VALU_DEP_1)
	v_fma_f64 v[17:18], v[14:15], v[17:18], 1.0
	v_fma_f64 v[12:13], v[14:15], v[17:18], 1.0
	s_delay_alu instid0(VALU_DEP_1) | instskip(NEXT) | instid1(VALU_DEP_1)
	v_ldexp_f64 v[12:13], v[12:13], v19
	v_cndmask_b32_e32 v5, 0x7ff00000, v13, vcc_lo
	s_delay_alu instid0(VALU_DEP_2) | instskip(NEXT) | instid1(VALU_DEP_1)
	v_cndmask_b32_e32 v4, 0, v12, vcc_lo
	v_mul_f64 v[12:13], v[4:5], v[2:3]
                                        ; implicit-def: $vgpr4_vgpr5
                                        ; implicit-def: $vgpr2_vgpr3
.LBB1_39:
	s_and_not1_saveexec_b32 s3, s3
	s_cbranch_execz .LBB1_41
; %bb.40:
	s_mov_b32 s4, 0x652b82fe
	s_mov_b32 s5, 0x3ff71547
	;; [unrolled: 1-line block ×3, first 2 shown]
	v_mul_f64 v[12:13], |v[4:5]|, s[4:5]
	s_mov_b32 s4, 0xfefa39ef
	s_mov_b32 s5, 0xbfe62e42
	;; [unrolled: 1-line block ×3, first 2 shown]
	s_delay_alu instid0(VALU_DEP_3) | instskip(SKIP_1) | instid1(VALU_DEP_3)
	v_mul_f64 v[2:3], v[2:3], -0.5
	v_cmp_nlt_f64_e64 vcc_lo, 0x40900000, |v[4:5]|
	v_rndne_f64_e32 v[12:13], v[12:13]
	s_delay_alu instid0(VALU_DEP_3) | instskip(NEXT) | instid1(VALU_DEP_2)
	v_mul_f64 v[2:3], |v[4:5]|, v[2:3]
	v_fma_f64 v[14:15], v[12:13], s[4:5], |v[4:5]|
	s_mov_b32 s4, 0x3b39803f
	s_mov_b32 s5, 0xbc7abc9e
	v_cvt_i32_f64_e32 v19, v[12:13]
	s_delay_alu instid0(VALU_DEP_2)
	v_fma_f64 v[14:15], v[12:13], s[4:5], v[14:15]
	s_mov_b32 s4, 0xfca7ab0c
	s_mov_b32 s5, 0x3e928af3
	s_delay_alu instid0(VALU_DEP_1) | instid1(SALU_CYCLE_1)
	v_fma_f64 v[17:18], v[14:15], s[6:7], s[4:5]
	s_mov_b32 s4, 0x623fde64
	s_mov_b32 s5, 0x3ec71dee
	s_delay_alu instid0(VALU_DEP_1) | instid1(SALU_CYCLE_1)
	;; [unrolled: 4-line block ×9, first 2 shown]
	v_fma_f64 v[17:18], v[14:15], v[17:18], s[4:5]
	s_delay_alu instid0(VALU_DEP_1) | instskip(NEXT) | instid1(VALU_DEP_1)
	v_fma_f64 v[17:18], v[14:15], v[17:18], 1.0
	v_fma_f64 v[12:13], v[14:15], v[17:18], 1.0
	s_delay_alu instid0(VALU_DEP_1) | instskip(NEXT) | instid1(VALU_DEP_1)
	v_ldexp_f64 v[12:13], v[12:13], v19
	v_cndmask_b32_e32 v5, 0x7ff00000, v13, vcc_lo
	s_delay_alu instid0(VALU_DEP_2) | instskip(NEXT) | instid1(VALU_DEP_1)
	v_cndmask_b32_e32 v4, 0, v12, vcc_lo
	v_mul_f64 v[12:13], v[4:5], v[2:3]
.LBB1_41:
	s_or_b32 exec_lo, exec_lo, s3
                                        ; implicit-def: $vgpr4_vgpr5
.LBB1_42:
	s_and_not1_saveexec_b32 s2, s2
	s_cbranch_execz .LBB1_48
; %bb.43:
	v_dual_mov_b32 v2, v4 :: v_dual_and_b32 v3, 0x7fffffff, v5
	s_mov_b32 s4, 0xea87b950
	s_mov_b32 s5, 0x3c545b8a
	;; [unrolled: 1-line block ×4, first 2 shown]
	v_div_scale_f64 v[12:13], null, v[2:3], v[2:3], 0x40400000
	v_div_scale_f64 v[2:3], vcc_lo, 0x40400000, v[2:3], 0x40400000
	s_mov_b32 s8, 0x2e9e5443
	s_mov_b32 s9, 0xbe90dbfd
	s_mov_b32 s3, exec_lo
	s_delay_alu instid0(VALU_DEP_2) | instskip(SKIP_2) | instid1(VALU_DEP_1)
	v_rcp_f64_e32 v[14:15], v[12:13]
	s_waitcnt_depctr 0xfff
	v_fma_f64 v[17:18], -v[12:13], v[14:15], 1.0
	v_fma_f64 v[14:15], v[14:15], v[17:18], v[14:15]
	s_delay_alu instid0(VALU_DEP_1) | instskip(NEXT) | instid1(VALU_DEP_1)
	v_fma_f64 v[17:18], -v[12:13], v[14:15], 1.0
	v_fma_f64 v[14:15], v[14:15], v[17:18], v[14:15]
	s_delay_alu instid0(VALU_DEP_1) | instskip(NEXT) | instid1(VALU_DEP_1)
	v_mul_f64 v[17:18], v[2:3], v[14:15]
	v_fma_f64 v[2:3], -v[12:13], v[17:18], v[2:3]
	s_delay_alu instid0(VALU_DEP_1) | instskip(NEXT) | instid1(VALU_DEP_1)
	v_div_fmas_f64 v[2:3], v[2:3], v[14:15], v[17:18]
	v_div_fixup_f64 v[2:3], v[2:3], |v[4:5]|, 0x40400000
	s_delay_alu instid0(VALU_DEP_1) | instskip(NEXT) | instid1(VALU_DEP_1)
	v_add_f64 v[2:3], v[2:3], -2.0
	v_fma_f64 v[12:13], v[2:3], s[6:7], s[4:5]
	s_mov_b32 s7, 0xbc61556d
	s_mov_b32 s4, 0xb2532277
	;; [unrolled: 1-line block ×3, first 2 shown]
	s_delay_alu instid0(VALU_DEP_1) | instskip(SKIP_2) | instid1(VALU_DEP_1)
	v_fma_f64 v[14:15], v[2:3], v[12:13], s[6:7]
	s_mov_b32 s6, 0x9ad53528
	s_mov_b32 s7, 0xbe30790b
	v_add_f64 v[14:15], v[14:15], s[4:5]
	s_mov_b32 s4, 0x9c773320
	s_mov_b32 s5, 0xbc82806c
	s_delay_alu instid0(VALU_DEP_1) | instskip(NEXT) | instid1(VALU_DEP_1)
	v_fma_f64 v[12:13], v[2:3], v[14:15], -v[12:13]
	v_add_f64 v[12:13], v[12:13], s[4:5]
	s_mov_b32 s4, 0xfceb588a
	s_mov_b32 s5, 0x3cb55915
	s_delay_alu instid0(VALU_DEP_1) | instskip(NEXT) | instid1(VALU_DEP_1)
	v_fma_f64 v[14:15], v[2:3], v[12:13], -v[14:15]
	;; [unrolled: 5-line block ×15, first 2 shown]
	v_add_f64 v[12:13], v[12:13], s[4:5]
	s_mov_b32 s4, 0x652b82fe
	s_mov_b32 s5, 0x3ff71547
	s_delay_alu instid0(SALU_CYCLE_1) | instskip(SKIP_2) | instid1(VALU_DEP_2)
	v_mul_f64 v[17:18], |v[4:5]|, s[4:5]
	s_mov_b32 s4, 0xfefa39ef
	s_mov_b32 s5, 0xbfe62e42
	v_fma_f64 v[14:15], v[2:3], v[12:13], -v[14:15]
	s_delay_alu instid0(VALU_DEP_2) | instskip(NEXT) | instid1(VALU_DEP_2)
	v_rndne_f64_e32 v[17:18], v[17:18]
	v_add_f64 v[14:15], v[14:15], s[6:7]
	s_mov_b32 s6, 0x94bb46c1
	s_mov_b32 s7, 0xbe5c4153
	s_delay_alu instid0(VALU_DEP_2) | instskip(SKIP_2) | instid1(VALU_DEP_2)
	v_fma_f64 v[19:20], v[17:18], s[4:5], |v[4:5]|
	s_mov_b32 s4, 0x3b39803f
	s_mov_b32 s5, 0xbc7abc9e
	v_fma_f64 v[12:13], v[2:3], v[14:15], -v[12:13]
	s_delay_alu instid0(VALU_DEP_2) | instskip(SKIP_3) | instid1(VALU_DEP_3)
	v_fma_f64 v[19:20], v[17:18], s[4:5], v[19:20]
	s_mov_b32 s4, 0xfca7ab0c
	s_mov_b32 s5, 0x3e928af3
	v_cvt_i32_f64_e32 v17, v[17:18]
	v_add_f64 v[12:13], v[12:13], s[6:7]
	s_mov_b32 s6, 0x6a5dcb37
	s_mov_b32 s7, 0x3e5ade15
	s_delay_alu instid0(VALU_DEP_3) | instid1(SALU_CYCLE_1)
	v_fma_f64 v[21:22], v[19:20], s[6:7], s[4:5]
	s_mov_b32 s4, 0x623fde64
	s_mov_b32 s5, 0x3ec71dee
	;; [unrolled: 1-line block ×4, first 2 shown]
	s_delay_alu instid0(VALU_DEP_2) | instskip(NEXT) | instid1(VALU_DEP_2)
	v_fma_f64 v[14:15], v[2:3], v[12:13], -v[14:15]
	v_fma_f64 v[21:22], v[19:20], v[21:22], s[4:5]
	s_mov_b32 s4, 0x7c89e6b0
	s_mov_b32 s5, 0x3efa0199
	s_delay_alu instid0(VALU_DEP_2) | instskip(NEXT) | instid1(VALU_DEP_2)
	v_add_f64 v[14:15], v[14:15], s[8:9]
	v_fma_f64 v[21:22], v[19:20], v[21:22], s[4:5]
	s_mov_b32 s4, 0x14761f6e
	s_mov_b32 s5, 0x3f2a01a0
	s_delay_alu instid0(VALU_DEP_2) | instskip(NEXT) | instid1(VALU_DEP_2)
	v_fma_f64 v[12:13], v[2:3], v[14:15], -v[12:13]
	v_fma_f64 v[21:22], v[19:20], v[21:22], s[4:5]
	s_mov_b32 s4, 0x1852b7b0
	s_mov_b32 s5, 0x3f56c16c
	s_delay_alu instid0(VALU_DEP_2) | instskip(SKIP_2) | instid1(VALU_DEP_2)
	v_add_f64 v[12:13], v[12:13], s[6:7]
	s_mov_b32 s6, 0x804aa9a6
	s_mov_b32 s7, 0xbf1cfd7f
	v_fma_f64 v[21:22], v[19:20], v[21:22], s[4:5]
	s_mov_b32 s4, 0x11122322
	s_mov_b32 s5, 0x3f811111
	s_delay_alu instid0(VALU_DEP_2) | instskip(NEXT) | instid1(VALU_DEP_2)
	v_fma_f64 v[14:15], v[2:3], v[12:13], -v[14:15]
	v_fma_f64 v[21:22], v[19:20], v[21:22], s[4:5]
	s_mov_b32 s4, 0x555502a1
	s_mov_b32 s5, 0x3fa55555
	s_delay_alu instid0(VALU_DEP_2) | instskip(SKIP_2) | instid1(VALU_DEP_2)
	v_add_f64 v[14:15], v[14:15], s[6:7]
	s_mov_b32 s6, 0x53fcdb4c
	s_mov_b32 s7, 0xbf83fda0
	v_fma_f64 v[21:22], v[19:20], v[21:22], s[4:5]
	s_mov_b32 s4, 0x55555511
	s_mov_b32 s5, 0x3fc55555
	s_delay_alu instid0(VALU_DEP_2) | instskip(NEXT) | instid1(VALU_DEP_2)
	v_fma_f64 v[12:13], v[2:3], v[14:15], -v[12:13]
	v_fma_f64 v[21:22], v[19:20], v[21:22], s[4:5]
	s_mov_b32 s4, 11
	s_mov_b32 s5, 0x3fe00000
	s_delay_alu instid0(VALU_DEP_2) | instskip(SKIP_2) | instid1(VALU_DEP_1)
	v_add_f64 v[12:13], v[12:13], s[6:7]
	s_mov_b32 s6, 0xb55b1514
	s_mov_b32 s7, 0x3fe8ea18
	v_fma_f64 v[2:3], v[2:3], v[12:13], -v[14:15]
	s_delay_alu instid0(VALU_DEP_3) | instskip(NEXT) | instid1(VALU_DEP_2)
	v_fma_f64 v[12:13], v[19:20], v[21:22], s[4:5]
	v_add_f64 v[2:3], v[2:3], s[6:7]
	s_delay_alu instid0(VALU_DEP_2) | instskip(NEXT) | instid1(VALU_DEP_2)
	v_fma_f64 v[12:13], v[19:20], v[12:13], 1.0
	v_add_f64 v[2:3], v[2:3], -v[14:15]
	s_delay_alu instid0(VALU_DEP_2) | instskip(NEXT) | instid1(VALU_DEP_2)
	v_fma_f64 v[14:15], v[19:20], v[12:13], 1.0
	v_mul_f64 v[2:3], v[2:3], 0.5
	v_cmpx_ngt_f64_e32 0, v[4:5]
	s_xor_b32 s3, exec_lo, s3
	s_cbranch_execz .LBB1_45
; %bb.44:
	v_cmp_gt_f64_e64 s4, 0x10000000, |v[4:5]|
	s_delay_alu instid0(VALU_DEP_4) | instskip(SKIP_1) | instid1(VALU_DEP_3)
	v_ldexp_f64 v[14:15], v[14:15], v17
	v_cmp_nlt_f64_e64 vcc_lo, 0x40900000, |v[4:5]|
	v_cndmask_b32_e64 v12, 0, 1, s4
	v_cndmask_b32_e64 v17, 0, 0xffffff80, s4
	s_delay_alu instid0(VALU_DEP_2) | instskip(NEXT) | instid1(VALU_DEP_1)
	v_dual_cndmask_b32 v15, 0x7ff00000, v15 :: v_dual_lshlrev_b32 v12, 8, v12
	v_ldexp_f64 v[12:13], |v[4:5]|, v12
	s_delay_alu instid0(VALU_DEP_1) | instskip(SKIP_3) | instid1(VALU_DEP_1)
	v_rsq_f64_e32 v[18:19], v[12:13]
	s_waitcnt_depctr 0xfff
	v_mul_f64 v[20:21], v[12:13], v[18:19]
	v_mul_f64 v[18:19], v[18:19], 0.5
	v_fma_f64 v[22:23], -v[18:19], v[20:21], 0.5
	s_delay_alu instid0(VALU_DEP_1) | instskip(SKIP_1) | instid1(VALU_DEP_2)
	v_fma_f64 v[20:21], v[20:21], v[22:23], v[20:21]
	v_fma_f64 v[18:19], v[18:19], v[22:23], v[18:19]
	v_fma_f64 v[22:23], -v[20:21], v[20:21], v[12:13]
	s_delay_alu instid0(VALU_DEP_1) | instskip(NEXT) | instid1(VALU_DEP_1)
	v_fma_f64 v[20:21], v[22:23], v[18:19], v[20:21]
	v_fma_f64 v[22:23], -v[20:21], v[20:21], v[12:13]
	s_delay_alu instid0(VALU_DEP_1) | instskip(NEXT) | instid1(VALU_DEP_1)
	v_fma_f64 v[4:5], v[22:23], v[18:19], v[20:21]
	v_ldexp_f64 v[4:5], v[4:5], v17
	v_cndmask_b32_e32 v14, 0, v14, vcc_lo
	v_cmp_class_f64_e64 vcc_lo, v[12:13], 0x260
	s_delay_alu instid0(VALU_DEP_3) | instskip(NEXT) | instid1(VALU_DEP_3)
	v_cndmask_b32_e32 v5, v5, v13, vcc_lo
	v_mul_f64 v[2:3], v[14:15], v[2:3]
	v_cndmask_b32_e32 v4, v4, v12, vcc_lo
	s_delay_alu instid0(VALU_DEP_1) | instskip(NEXT) | instid1(VALU_DEP_1)
	v_div_scale_f64 v[12:13], null, v[4:5], v[4:5], v[2:3]
	v_rcp_f64_e32 v[14:15], v[12:13]
	s_waitcnt_depctr 0xfff
	v_fma_f64 v[17:18], -v[12:13], v[14:15], 1.0
	s_delay_alu instid0(VALU_DEP_1) | instskip(NEXT) | instid1(VALU_DEP_1)
	v_fma_f64 v[14:15], v[14:15], v[17:18], v[14:15]
	v_fma_f64 v[17:18], -v[12:13], v[14:15], 1.0
	s_delay_alu instid0(VALU_DEP_1) | instskip(SKIP_1) | instid1(VALU_DEP_1)
	v_fma_f64 v[14:15], v[14:15], v[17:18], v[14:15]
	v_div_scale_f64 v[17:18], vcc_lo, v[2:3], v[4:5], v[2:3]
	v_mul_f64 v[19:20], v[17:18], v[14:15]
	s_delay_alu instid0(VALU_DEP_1) | instskip(NEXT) | instid1(VALU_DEP_1)
	v_fma_f64 v[12:13], -v[12:13], v[19:20], v[17:18]
                                        ; implicit-def: $vgpr17
	v_div_fmas_f64 v[12:13], v[12:13], v[14:15], v[19:20]
                                        ; implicit-def: $vgpr14_vgpr15
	s_delay_alu instid0(VALU_DEP_1)
	v_div_fixup_f64 v[12:13], v[12:13], v[4:5], v[2:3]
                                        ; implicit-def: $vgpr4_vgpr5
                                        ; implicit-def: $vgpr2_vgpr3
.LBB1_45:
	s_and_not1_saveexec_b32 s3, s3
	s_cbranch_execz .LBB1_47
; %bb.46:
	v_cmp_gt_f64_e64 s4, 0x10000000, |v[4:5]|
	s_delay_alu instid0(VALU_DEP_4) | instskip(SKIP_1) | instid1(VALU_DEP_3)
	v_ldexp_f64 v[14:15], -v[14:15], v17
	v_cmp_nlt_f64_e64 vcc_lo, 0x40900000, |v[4:5]|
	v_cndmask_b32_e64 v12, 0, 1, s4
	v_cndmask_b32_e64 v17, 0, 0xffffff80, s4
	s_delay_alu instid0(VALU_DEP_2) | instskip(NEXT) | instid1(VALU_DEP_1)
	v_dual_cndmask_b32 v15, 0xfff00000, v15 :: v_dual_lshlrev_b32 v12, 8, v12
	v_ldexp_f64 v[12:13], |v[4:5]|, v12
	s_delay_alu instid0(VALU_DEP_1) | instskip(SKIP_3) | instid1(VALU_DEP_1)
	v_rsq_f64_e32 v[18:19], v[12:13]
	s_waitcnt_depctr 0xfff
	v_mul_f64 v[20:21], v[12:13], v[18:19]
	v_mul_f64 v[18:19], v[18:19], 0.5
	v_fma_f64 v[22:23], -v[18:19], v[20:21], 0.5
	s_delay_alu instid0(VALU_DEP_1) | instskip(SKIP_1) | instid1(VALU_DEP_2)
	v_fma_f64 v[20:21], v[20:21], v[22:23], v[20:21]
	v_fma_f64 v[18:19], v[18:19], v[22:23], v[18:19]
	v_fma_f64 v[22:23], -v[20:21], v[20:21], v[12:13]
	s_delay_alu instid0(VALU_DEP_1) | instskip(NEXT) | instid1(VALU_DEP_1)
	v_fma_f64 v[20:21], v[22:23], v[18:19], v[20:21]
	v_fma_f64 v[22:23], -v[20:21], v[20:21], v[12:13]
	s_delay_alu instid0(VALU_DEP_1) | instskip(NEXT) | instid1(VALU_DEP_1)
	v_fma_f64 v[4:5], v[22:23], v[18:19], v[20:21]
	v_ldexp_f64 v[4:5], v[4:5], v17
	v_cndmask_b32_e32 v14, 0, v14, vcc_lo
	v_cmp_class_f64_e64 vcc_lo, v[12:13], 0x260
	s_delay_alu instid0(VALU_DEP_3) | instskip(NEXT) | instid1(VALU_DEP_3)
	v_cndmask_b32_e32 v5, v5, v13, vcc_lo
	v_mul_f64 v[2:3], v[14:15], v[2:3]
	v_cndmask_b32_e32 v4, v4, v12, vcc_lo
	s_delay_alu instid0(VALU_DEP_1) | instskip(NEXT) | instid1(VALU_DEP_1)
	v_div_scale_f64 v[12:13], null, v[4:5], v[4:5], v[2:3]
	v_rcp_f64_e32 v[14:15], v[12:13]
	s_waitcnt_depctr 0xfff
	v_fma_f64 v[17:18], -v[12:13], v[14:15], 1.0
	s_delay_alu instid0(VALU_DEP_1) | instskip(NEXT) | instid1(VALU_DEP_1)
	v_fma_f64 v[14:15], v[14:15], v[17:18], v[14:15]
	v_fma_f64 v[17:18], -v[12:13], v[14:15], 1.0
	s_delay_alu instid0(VALU_DEP_1) | instskip(SKIP_1) | instid1(VALU_DEP_1)
	v_fma_f64 v[14:15], v[14:15], v[17:18], v[14:15]
	v_div_scale_f64 v[17:18], vcc_lo, v[2:3], v[4:5], v[2:3]
	v_mul_f64 v[19:20], v[17:18], v[14:15]
	s_delay_alu instid0(VALU_DEP_1) | instskip(NEXT) | instid1(VALU_DEP_1)
	v_fma_f64 v[12:13], -v[12:13], v[19:20], v[17:18]
	v_div_fmas_f64 v[12:13], v[12:13], v[14:15], v[19:20]
	s_delay_alu instid0(VALU_DEP_1)
	v_div_fixup_f64 v[12:13], v[12:13], v[4:5], v[2:3]
.LBB1_47:
	s_or_b32 exec_lo, exec_lo, s3
.LBB1_48:
	s_delay_alu instid0(SALU_CYCLE_1) | instskip(SKIP_2) | instid1(VALU_DEP_2)
	s_or_b32 exec_lo, exec_lo, s2
	v_add_co_u32 v0, vcc_lo, v0, s0
	v_add_co_ci_u32_e32 v1, vcc_lo, s1, v1, vcc_lo
	v_add_co_u32 v0, vcc_lo, v0, v16
	s_delay_alu instid0(VALU_DEP_2)
	v_add_co_ci_u32_e32 v1, vcc_lo, 0, v1, vcc_lo
	s_clause 0x1
	flat_store_b128 v[0:1], v[6:9]
	flat_store_b128 v[0:1], v[10:13] offset:16
	s_waitcnt lgkmcnt(0)
	s_setpc_b64 s[30:31]
.Lfunc_end1:
	.size	_ZN2at6native25elementwise_kernel_helperILb0EZZZNS0_12_GLOBAL__N_130modified_bessel_i1_kernel_cudaERNS_18TensorIteratorBaseEENKUlvE_clEvENKUlvE_clEvEUldE_NS0_6memory8policies10vectorizedILi4ESt5arrayIPcLm2EELi4EEEEEvT0_T1_, .Lfunc_end1-_ZN2at6native25elementwise_kernel_helperILb0EZZZNS0_12_GLOBAL__N_130modified_bessel_i1_kernel_cudaERNS_18TensorIteratorBaseEENKUlvE_clEvENKUlvE_clEvEUldE_NS0_6memory8policies10vectorizedILi4ESt5arrayIPcLm2EELi4EEEEEvT0_T1_
                                        ; -- End function
	.section	.AMDGPU.csdata,"",@progbits
; Function info:
; codeLenInByte = 16392
; NumSgprs: 34
; NumVgprs: 32
; ScratchSize: 0
; MemoryBound: 0
	.section	.text._ZN2at6native29vectorized_elementwise_kernelILi16EZZZNS0_12_GLOBAL__N_130modified_bessel_i1_kernel_cudaERNS_18TensorIteratorBaseEENKUlvE_clEvENKUlvE_clEvEUldE_St5arrayIPcLm2EEEEviT0_T1_,"axG",@progbits,_ZN2at6native29vectorized_elementwise_kernelILi16EZZZNS0_12_GLOBAL__N_130modified_bessel_i1_kernel_cudaERNS_18TensorIteratorBaseEENKUlvE_clEvENKUlvE_clEvEUldE_St5arrayIPcLm2EEEEviT0_T1_,comdat
	.globl	_ZN2at6native29vectorized_elementwise_kernelILi16EZZZNS0_12_GLOBAL__N_130modified_bessel_i1_kernel_cudaERNS_18TensorIteratorBaseEENKUlvE_clEvENKUlvE_clEvEUldE_St5arrayIPcLm2EEEEviT0_T1_ ; -- Begin function _ZN2at6native29vectorized_elementwise_kernelILi16EZZZNS0_12_GLOBAL__N_130modified_bessel_i1_kernel_cudaERNS_18TensorIteratorBaseEENKUlvE_clEvENKUlvE_clEvEUldE_St5arrayIPcLm2EEEEviT0_T1_
	.p2align	8
	.type	_ZN2at6native29vectorized_elementwise_kernelILi16EZZZNS0_12_GLOBAL__N_130modified_bessel_i1_kernel_cudaERNS_18TensorIteratorBaseEENKUlvE_clEvENKUlvE_clEvEUldE_St5arrayIPcLm2EEEEviT0_T1_,@function
_ZN2at6native29vectorized_elementwise_kernelILi16EZZZNS0_12_GLOBAL__N_130modified_bessel_i1_kernel_cudaERNS_18TensorIteratorBaseEENKUlvE_clEvENKUlvE_clEvEUldE_St5arrayIPcLm2EEEEviT0_T1_: ; @_ZN2at6native29vectorized_elementwise_kernelILi16EZZZNS0_12_GLOBAL__N_130modified_bessel_i1_kernel_cudaERNS_18TensorIteratorBaseEENKUlvE_clEvENKUlvE_clEvEUldE_St5arrayIPcLm2EEEEviT0_T1_
; %bb.0:
	s_clause 0x1
	s_load_b32 s2, s[0:1], 0x0
	s_load_b128 s[16:19], s[0:1], 0x8
	s_lshl_b32 s0, s15, 10
	v_mov_b32_e32 v31, v0
	s_mov_b32 s12, s15
	s_mov_b32 s32, 0
	s_waitcnt lgkmcnt(0)
	s_sub_i32 s10, s2, s0
	s_mov_b32 s0, -1
	s_cmpk_gt_i32 s10, 0x3ff
	s_cbranch_scc1 .LBB2_3
; %bb.1:
	s_and_not1_b32 vcc_lo, exec_lo, s0
	s_cbranch_vccz .LBB2_4
.LBB2_2:
	s_endpgm
.LBB2_3:
	v_dual_mov_b32 v0, s16 :: v_dual_mov_b32 v1, s17
	v_dual_mov_b32 v2, s18 :: v_dual_mov_b32 v3, s19
	s_getpc_b64 s[0:1]
	s_add_u32 s0, s0, _ZN2at6native25elementwise_kernel_helperILb0EZZZNS0_12_GLOBAL__N_130modified_bessel_i1_kernel_cudaERNS_18TensorIteratorBaseEENKUlvE_clEvENKUlvE_clEvEUldE_NS0_6memory8policies10vectorizedILi4ESt5arrayIPcLm2EELi4EEEEEvT0_T1_@rel32@lo+4
	s_addc_u32 s1, s1, _ZN2at6native25elementwise_kernel_helperILb0EZZZNS0_12_GLOBAL__N_130modified_bessel_i1_kernel_cudaERNS_18TensorIteratorBaseEENKUlvE_clEvENKUlvE_clEvEUldE_NS0_6memory8policies10vectorizedILi4ESt5arrayIPcLm2EELi4EEEEEvT0_T1_@rel32@hi+12
	s_delay_alu instid0(SALU_CYCLE_1)
	s_swappc_b64 s[30:31], s[0:1]
	s_cbranch_execnz .LBB2_2
.LBB2_4:
	v_dual_mov_b32 v0, s16 :: v_dual_mov_b32 v1, s17
	v_dual_mov_b32 v2, s18 :: v_dual_mov_b32 v3, s19
	v_mov_b32_e32 v4, s10
	s_getpc_b64 s[0:1]
	s_add_u32 s0, s0, _ZN2at6native25elementwise_kernel_helperILb0EZZZNS0_12_GLOBAL__N_130modified_bessel_i1_kernel_cudaERNS_18TensorIteratorBaseEENKUlvE_clEvENKUlvE_clEvEUldE_NS0_6memory8policies11unroll_baseILi256ESt5arrayIPcLm2EE23TrivialOffsetCalculatorILi1EjESF_NS8_15LoadWithoutCastENS8_16StoreWithoutCastELi4ELi1EEEEEvT0_T1_@rel32@lo+4
	s_addc_u32 s1, s1, _ZN2at6native25elementwise_kernel_helperILb0EZZZNS0_12_GLOBAL__N_130modified_bessel_i1_kernel_cudaERNS_18TensorIteratorBaseEENKUlvE_clEvENKUlvE_clEvEUldE_NS0_6memory8policies11unroll_baseILi256ESt5arrayIPcLm2EE23TrivialOffsetCalculatorILi1EjESF_NS8_15LoadWithoutCastENS8_16StoreWithoutCastELi4ELi1EEEEEvT0_T1_@rel32@hi+12
	s_delay_alu instid0(SALU_CYCLE_1)
	s_swappc_b64 s[30:31], s[0:1]
	s_endpgm
	.section	.rodata,"a",@progbits
	.p2align	6, 0x0
	.amdhsa_kernel _ZN2at6native29vectorized_elementwise_kernelILi16EZZZNS0_12_GLOBAL__N_130modified_bessel_i1_kernel_cudaERNS_18TensorIteratorBaseEENKUlvE_clEvENKUlvE_clEvEUldE_St5arrayIPcLm2EEEEviT0_T1_
		.amdhsa_group_segment_fixed_size 0
		.amdhsa_private_segment_fixed_size 0
		.amdhsa_kernarg_size 24
		.amdhsa_user_sgpr_count 15
		.amdhsa_user_sgpr_dispatch_ptr 0
		.amdhsa_user_sgpr_queue_ptr 0
		.amdhsa_user_sgpr_kernarg_segment_ptr 1
		.amdhsa_user_sgpr_dispatch_id 0
		.amdhsa_user_sgpr_private_segment_size 0
		.amdhsa_wavefront_size32 1
		.amdhsa_uses_dynamic_stack 0
		.amdhsa_enable_private_segment 0
		.amdhsa_system_sgpr_workgroup_id_x 1
		.amdhsa_system_sgpr_workgroup_id_y 0
		.amdhsa_system_sgpr_workgroup_id_z 0
		.amdhsa_system_sgpr_workgroup_info 0
		.amdhsa_system_vgpr_workitem_id 0
		.amdhsa_next_free_vgpr 32
		.amdhsa_next_free_sgpr 33
		.amdhsa_reserve_vcc 1
		.amdhsa_float_round_mode_32 0
		.amdhsa_float_round_mode_16_64 0
		.amdhsa_float_denorm_mode_32 3
		.amdhsa_float_denorm_mode_16_64 3
		.amdhsa_dx10_clamp 1
		.amdhsa_ieee_mode 1
		.amdhsa_fp16_overflow 0
		.amdhsa_workgroup_processor_mode 1
		.amdhsa_memory_ordered 1
		.amdhsa_forward_progress 0
		.amdhsa_shared_vgpr_count 0
		.amdhsa_exception_fp_ieee_invalid_op 0
		.amdhsa_exception_fp_denorm_src 0
		.amdhsa_exception_fp_ieee_div_zero 0
		.amdhsa_exception_fp_ieee_overflow 0
		.amdhsa_exception_fp_ieee_underflow 0
		.amdhsa_exception_fp_ieee_inexact 0
		.amdhsa_exception_int_div_zero 0
	.end_amdhsa_kernel
	.section	.text._ZN2at6native29vectorized_elementwise_kernelILi16EZZZNS0_12_GLOBAL__N_130modified_bessel_i1_kernel_cudaERNS_18TensorIteratorBaseEENKUlvE_clEvENKUlvE_clEvEUldE_St5arrayIPcLm2EEEEviT0_T1_,"axG",@progbits,_ZN2at6native29vectorized_elementwise_kernelILi16EZZZNS0_12_GLOBAL__N_130modified_bessel_i1_kernel_cudaERNS_18TensorIteratorBaseEENKUlvE_clEvENKUlvE_clEvEUldE_St5arrayIPcLm2EEEEviT0_T1_,comdat
.Lfunc_end2:
	.size	_ZN2at6native29vectorized_elementwise_kernelILi16EZZZNS0_12_GLOBAL__N_130modified_bessel_i1_kernel_cudaERNS_18TensorIteratorBaseEENKUlvE_clEvENKUlvE_clEvEUldE_St5arrayIPcLm2EEEEviT0_T1_, .Lfunc_end2-_ZN2at6native29vectorized_elementwise_kernelILi16EZZZNS0_12_GLOBAL__N_130modified_bessel_i1_kernel_cudaERNS_18TensorIteratorBaseEENKUlvE_clEvENKUlvE_clEvEUldE_St5arrayIPcLm2EEEEviT0_T1_
                                        ; -- End function
	.section	.AMDGPU.csdata,"",@progbits
; Kernel info:
; codeLenInByte = 168
; NumSgprs: 35
; NumVgprs: 32
; ScratchSize: 0
; MemoryBound: 0
; FloatMode: 240
; IeeeMode: 1
; LDSByteSize: 0 bytes/workgroup (compile time only)
; SGPRBlocks: 4
; VGPRBlocks: 3
; NumSGPRsForWavesPerEU: 35
; NumVGPRsForWavesPerEU: 32
; Occupancy: 16
; WaveLimiterHint : 0
; COMPUTE_PGM_RSRC2:SCRATCH_EN: 0
; COMPUTE_PGM_RSRC2:USER_SGPR: 15
; COMPUTE_PGM_RSRC2:TRAP_HANDLER: 0
; COMPUTE_PGM_RSRC2:TGID_X_EN: 1
; COMPUTE_PGM_RSRC2:TGID_Y_EN: 0
; COMPUTE_PGM_RSRC2:TGID_Z_EN: 0
; COMPUTE_PGM_RSRC2:TIDIG_COMP_CNT: 0
	.section	.text._ZN2at6native29vectorized_elementwise_kernelILi8EZZZNS0_12_GLOBAL__N_130modified_bessel_i1_kernel_cudaERNS_18TensorIteratorBaseEENKUlvE_clEvENKUlvE_clEvEUldE_St5arrayIPcLm2EEEEviT0_T1_,"axG",@progbits,_ZN2at6native29vectorized_elementwise_kernelILi8EZZZNS0_12_GLOBAL__N_130modified_bessel_i1_kernel_cudaERNS_18TensorIteratorBaseEENKUlvE_clEvENKUlvE_clEvEUldE_St5arrayIPcLm2EEEEviT0_T1_,comdat
	.globl	_ZN2at6native29vectorized_elementwise_kernelILi8EZZZNS0_12_GLOBAL__N_130modified_bessel_i1_kernel_cudaERNS_18TensorIteratorBaseEENKUlvE_clEvENKUlvE_clEvEUldE_St5arrayIPcLm2EEEEviT0_T1_ ; -- Begin function _ZN2at6native29vectorized_elementwise_kernelILi8EZZZNS0_12_GLOBAL__N_130modified_bessel_i1_kernel_cudaERNS_18TensorIteratorBaseEENKUlvE_clEvENKUlvE_clEvEUldE_St5arrayIPcLm2EEEEviT0_T1_
	.p2align	8
	.type	_ZN2at6native29vectorized_elementwise_kernelILi8EZZZNS0_12_GLOBAL__N_130modified_bessel_i1_kernel_cudaERNS_18TensorIteratorBaseEENKUlvE_clEvENKUlvE_clEvEUldE_St5arrayIPcLm2EEEEviT0_T1_,@function
_ZN2at6native29vectorized_elementwise_kernelILi8EZZZNS0_12_GLOBAL__N_130modified_bessel_i1_kernel_cudaERNS_18TensorIteratorBaseEENKUlvE_clEvENKUlvE_clEvEUldE_St5arrayIPcLm2EEEEviT0_T1_: ; @_ZN2at6native29vectorized_elementwise_kernelILi8EZZZNS0_12_GLOBAL__N_130modified_bessel_i1_kernel_cudaERNS_18TensorIteratorBaseEENKUlvE_clEvENKUlvE_clEvEUldE_St5arrayIPcLm2EEEEviT0_T1_
; %bb.0:
	s_clause 0x1
	s_load_b32 s2, s[0:1], 0x0
	s_load_b128 s[16:19], s[0:1], 0x8
	s_lshl_b32 s0, s15, 10
	v_mov_b32_e32 v31, v0
	s_mov_b32 s12, s15
	s_mov_b32 s32, 0
	s_waitcnt lgkmcnt(0)
	s_sub_i32 s10, s2, s0
	s_mov_b32 s0, -1
	s_cmpk_gt_i32 s10, 0x3ff
	s_cbranch_scc1 .LBB3_3
; %bb.1:
	s_and_not1_b32 vcc_lo, exec_lo, s0
	s_cbranch_vccz .LBB3_4
.LBB3_2:
	s_endpgm
.LBB3_3:
	v_dual_mov_b32 v0, s16 :: v_dual_mov_b32 v1, s17
	v_dual_mov_b32 v2, s18 :: v_dual_mov_b32 v3, s19
	s_getpc_b64 s[0:1]
	s_add_u32 s0, s0, _ZN2at6native25elementwise_kernel_helperILb0EZZZNS0_12_GLOBAL__N_130modified_bessel_i1_kernel_cudaERNS_18TensorIteratorBaseEENKUlvE_clEvENKUlvE_clEvEUldE_NS0_6memory8policies10vectorizedILi4ESt5arrayIPcLm2EELi4EEEEEvT0_T1_@rel32@lo+4
	s_addc_u32 s1, s1, _ZN2at6native25elementwise_kernel_helperILb0EZZZNS0_12_GLOBAL__N_130modified_bessel_i1_kernel_cudaERNS_18TensorIteratorBaseEENKUlvE_clEvENKUlvE_clEvEUldE_NS0_6memory8policies10vectorizedILi4ESt5arrayIPcLm2EELi4EEEEEvT0_T1_@rel32@hi+12
	s_delay_alu instid0(SALU_CYCLE_1)
	s_swappc_b64 s[30:31], s[0:1]
	s_cbranch_execnz .LBB3_2
.LBB3_4:
	v_dual_mov_b32 v0, s16 :: v_dual_mov_b32 v1, s17
	v_dual_mov_b32 v2, s18 :: v_dual_mov_b32 v3, s19
	v_mov_b32_e32 v4, s10
	s_getpc_b64 s[0:1]
	s_add_u32 s0, s0, _ZN2at6native25elementwise_kernel_helperILb0EZZZNS0_12_GLOBAL__N_130modified_bessel_i1_kernel_cudaERNS_18TensorIteratorBaseEENKUlvE_clEvENKUlvE_clEvEUldE_NS0_6memory8policies11unroll_baseILi256ESt5arrayIPcLm2EE23TrivialOffsetCalculatorILi1EjESF_NS8_15LoadWithoutCastENS8_16StoreWithoutCastELi4ELi1EEEEEvT0_T1_@rel32@lo+4
	s_addc_u32 s1, s1, _ZN2at6native25elementwise_kernel_helperILb0EZZZNS0_12_GLOBAL__N_130modified_bessel_i1_kernel_cudaERNS_18TensorIteratorBaseEENKUlvE_clEvENKUlvE_clEvEUldE_NS0_6memory8policies11unroll_baseILi256ESt5arrayIPcLm2EE23TrivialOffsetCalculatorILi1EjESF_NS8_15LoadWithoutCastENS8_16StoreWithoutCastELi4ELi1EEEEEvT0_T1_@rel32@hi+12
	s_delay_alu instid0(SALU_CYCLE_1)
	s_swappc_b64 s[30:31], s[0:1]
	s_endpgm
	.section	.rodata,"a",@progbits
	.p2align	6, 0x0
	.amdhsa_kernel _ZN2at6native29vectorized_elementwise_kernelILi8EZZZNS0_12_GLOBAL__N_130modified_bessel_i1_kernel_cudaERNS_18TensorIteratorBaseEENKUlvE_clEvENKUlvE_clEvEUldE_St5arrayIPcLm2EEEEviT0_T1_
		.amdhsa_group_segment_fixed_size 0
		.amdhsa_private_segment_fixed_size 0
		.amdhsa_kernarg_size 24
		.amdhsa_user_sgpr_count 15
		.amdhsa_user_sgpr_dispatch_ptr 0
		.amdhsa_user_sgpr_queue_ptr 0
		.amdhsa_user_sgpr_kernarg_segment_ptr 1
		.amdhsa_user_sgpr_dispatch_id 0
		.amdhsa_user_sgpr_private_segment_size 0
		.amdhsa_wavefront_size32 1
		.amdhsa_uses_dynamic_stack 0
		.amdhsa_enable_private_segment 0
		.amdhsa_system_sgpr_workgroup_id_x 1
		.amdhsa_system_sgpr_workgroup_id_y 0
		.amdhsa_system_sgpr_workgroup_id_z 0
		.amdhsa_system_sgpr_workgroup_info 0
		.amdhsa_system_vgpr_workitem_id 0
		.amdhsa_next_free_vgpr 32
		.amdhsa_next_free_sgpr 33
		.amdhsa_reserve_vcc 1
		.amdhsa_float_round_mode_32 0
		.amdhsa_float_round_mode_16_64 0
		.amdhsa_float_denorm_mode_32 3
		.amdhsa_float_denorm_mode_16_64 3
		.amdhsa_dx10_clamp 1
		.amdhsa_ieee_mode 1
		.amdhsa_fp16_overflow 0
		.amdhsa_workgroup_processor_mode 1
		.amdhsa_memory_ordered 1
		.amdhsa_forward_progress 0
		.amdhsa_shared_vgpr_count 0
		.amdhsa_exception_fp_ieee_invalid_op 0
		.amdhsa_exception_fp_denorm_src 0
		.amdhsa_exception_fp_ieee_div_zero 0
		.amdhsa_exception_fp_ieee_overflow 0
		.amdhsa_exception_fp_ieee_underflow 0
		.amdhsa_exception_fp_ieee_inexact 0
		.amdhsa_exception_int_div_zero 0
	.end_amdhsa_kernel
	.section	.text._ZN2at6native29vectorized_elementwise_kernelILi8EZZZNS0_12_GLOBAL__N_130modified_bessel_i1_kernel_cudaERNS_18TensorIteratorBaseEENKUlvE_clEvENKUlvE_clEvEUldE_St5arrayIPcLm2EEEEviT0_T1_,"axG",@progbits,_ZN2at6native29vectorized_elementwise_kernelILi8EZZZNS0_12_GLOBAL__N_130modified_bessel_i1_kernel_cudaERNS_18TensorIteratorBaseEENKUlvE_clEvENKUlvE_clEvEUldE_St5arrayIPcLm2EEEEviT0_T1_,comdat
.Lfunc_end3:
	.size	_ZN2at6native29vectorized_elementwise_kernelILi8EZZZNS0_12_GLOBAL__N_130modified_bessel_i1_kernel_cudaERNS_18TensorIteratorBaseEENKUlvE_clEvENKUlvE_clEvEUldE_St5arrayIPcLm2EEEEviT0_T1_, .Lfunc_end3-_ZN2at6native29vectorized_elementwise_kernelILi8EZZZNS0_12_GLOBAL__N_130modified_bessel_i1_kernel_cudaERNS_18TensorIteratorBaseEENKUlvE_clEvENKUlvE_clEvEUldE_St5arrayIPcLm2EEEEviT0_T1_
                                        ; -- End function
	.section	.AMDGPU.csdata,"",@progbits
; Kernel info:
; codeLenInByte = 168
; NumSgprs: 35
; NumVgprs: 32
; ScratchSize: 0
; MemoryBound: 0
; FloatMode: 240
; IeeeMode: 1
; LDSByteSize: 0 bytes/workgroup (compile time only)
; SGPRBlocks: 4
; VGPRBlocks: 3
; NumSGPRsForWavesPerEU: 35
; NumVGPRsForWavesPerEU: 32
; Occupancy: 16
; WaveLimiterHint : 0
; COMPUTE_PGM_RSRC2:SCRATCH_EN: 0
; COMPUTE_PGM_RSRC2:USER_SGPR: 15
; COMPUTE_PGM_RSRC2:TRAP_HANDLER: 0
; COMPUTE_PGM_RSRC2:TGID_X_EN: 1
; COMPUTE_PGM_RSRC2:TGID_Y_EN: 0
; COMPUTE_PGM_RSRC2:TGID_Z_EN: 0
; COMPUTE_PGM_RSRC2:TIDIG_COMP_CNT: 0
	.section	.text._ZN2at6native29vectorized_elementwise_kernelILi4EZZZNS0_12_GLOBAL__N_130modified_bessel_i1_kernel_cudaERNS_18TensorIteratorBaseEENKUlvE_clEvENKUlvE_clEvEUldE_St5arrayIPcLm2EEEEviT0_T1_,"axG",@progbits,_ZN2at6native29vectorized_elementwise_kernelILi4EZZZNS0_12_GLOBAL__N_130modified_bessel_i1_kernel_cudaERNS_18TensorIteratorBaseEENKUlvE_clEvENKUlvE_clEvEUldE_St5arrayIPcLm2EEEEviT0_T1_,comdat
	.globl	_ZN2at6native29vectorized_elementwise_kernelILi4EZZZNS0_12_GLOBAL__N_130modified_bessel_i1_kernel_cudaERNS_18TensorIteratorBaseEENKUlvE_clEvENKUlvE_clEvEUldE_St5arrayIPcLm2EEEEviT0_T1_ ; -- Begin function _ZN2at6native29vectorized_elementwise_kernelILi4EZZZNS0_12_GLOBAL__N_130modified_bessel_i1_kernel_cudaERNS_18TensorIteratorBaseEENKUlvE_clEvENKUlvE_clEvEUldE_St5arrayIPcLm2EEEEviT0_T1_
	.p2align	8
	.type	_ZN2at6native29vectorized_elementwise_kernelILi4EZZZNS0_12_GLOBAL__N_130modified_bessel_i1_kernel_cudaERNS_18TensorIteratorBaseEENKUlvE_clEvENKUlvE_clEvEUldE_St5arrayIPcLm2EEEEviT0_T1_,@function
_ZN2at6native29vectorized_elementwise_kernelILi4EZZZNS0_12_GLOBAL__N_130modified_bessel_i1_kernel_cudaERNS_18TensorIteratorBaseEENKUlvE_clEvENKUlvE_clEvEUldE_St5arrayIPcLm2EEEEviT0_T1_: ; @_ZN2at6native29vectorized_elementwise_kernelILi4EZZZNS0_12_GLOBAL__N_130modified_bessel_i1_kernel_cudaERNS_18TensorIteratorBaseEENKUlvE_clEvENKUlvE_clEvEUldE_St5arrayIPcLm2EEEEviT0_T1_
; %bb.0:
	s_clause 0x1
	s_load_b32 s2, s[0:1], 0x0
	s_load_b128 s[16:19], s[0:1], 0x8
	s_lshl_b32 s0, s15, 10
	v_mov_b32_e32 v31, v0
	s_mov_b32 s12, s15
	s_mov_b32 s32, 0
	s_waitcnt lgkmcnt(0)
	s_sub_i32 s10, s2, s0
	s_mov_b32 s0, -1
	s_cmpk_gt_i32 s10, 0x3ff
	s_cbranch_scc1 .LBB4_3
; %bb.1:
	s_and_not1_b32 vcc_lo, exec_lo, s0
	s_cbranch_vccz .LBB4_4
.LBB4_2:
	s_endpgm
.LBB4_3:
	v_dual_mov_b32 v0, s16 :: v_dual_mov_b32 v1, s17
	v_dual_mov_b32 v2, s18 :: v_dual_mov_b32 v3, s19
	s_getpc_b64 s[0:1]
	s_add_u32 s0, s0, _ZN2at6native25elementwise_kernel_helperILb0EZZZNS0_12_GLOBAL__N_130modified_bessel_i1_kernel_cudaERNS_18TensorIteratorBaseEENKUlvE_clEvENKUlvE_clEvEUldE_NS0_6memory8policies10vectorizedILi4ESt5arrayIPcLm2EELi4EEEEEvT0_T1_@rel32@lo+4
	s_addc_u32 s1, s1, _ZN2at6native25elementwise_kernel_helperILb0EZZZNS0_12_GLOBAL__N_130modified_bessel_i1_kernel_cudaERNS_18TensorIteratorBaseEENKUlvE_clEvENKUlvE_clEvEUldE_NS0_6memory8policies10vectorizedILi4ESt5arrayIPcLm2EELi4EEEEEvT0_T1_@rel32@hi+12
	s_delay_alu instid0(SALU_CYCLE_1)
	s_swappc_b64 s[30:31], s[0:1]
	s_cbranch_execnz .LBB4_2
.LBB4_4:
	v_dual_mov_b32 v0, s16 :: v_dual_mov_b32 v1, s17
	v_dual_mov_b32 v2, s18 :: v_dual_mov_b32 v3, s19
	v_mov_b32_e32 v4, s10
	s_getpc_b64 s[0:1]
	s_add_u32 s0, s0, _ZN2at6native25elementwise_kernel_helperILb0EZZZNS0_12_GLOBAL__N_130modified_bessel_i1_kernel_cudaERNS_18TensorIteratorBaseEENKUlvE_clEvENKUlvE_clEvEUldE_NS0_6memory8policies11unroll_baseILi256ESt5arrayIPcLm2EE23TrivialOffsetCalculatorILi1EjESF_NS8_15LoadWithoutCastENS8_16StoreWithoutCastELi4ELi1EEEEEvT0_T1_@rel32@lo+4
	s_addc_u32 s1, s1, _ZN2at6native25elementwise_kernel_helperILb0EZZZNS0_12_GLOBAL__N_130modified_bessel_i1_kernel_cudaERNS_18TensorIteratorBaseEENKUlvE_clEvENKUlvE_clEvEUldE_NS0_6memory8policies11unroll_baseILi256ESt5arrayIPcLm2EE23TrivialOffsetCalculatorILi1EjESF_NS8_15LoadWithoutCastENS8_16StoreWithoutCastELi4ELi1EEEEEvT0_T1_@rel32@hi+12
	s_delay_alu instid0(SALU_CYCLE_1)
	s_swappc_b64 s[30:31], s[0:1]
	s_endpgm
	.section	.rodata,"a",@progbits
	.p2align	6, 0x0
	.amdhsa_kernel _ZN2at6native29vectorized_elementwise_kernelILi4EZZZNS0_12_GLOBAL__N_130modified_bessel_i1_kernel_cudaERNS_18TensorIteratorBaseEENKUlvE_clEvENKUlvE_clEvEUldE_St5arrayIPcLm2EEEEviT0_T1_
		.amdhsa_group_segment_fixed_size 0
		.amdhsa_private_segment_fixed_size 0
		.amdhsa_kernarg_size 24
		.amdhsa_user_sgpr_count 15
		.amdhsa_user_sgpr_dispatch_ptr 0
		.amdhsa_user_sgpr_queue_ptr 0
		.amdhsa_user_sgpr_kernarg_segment_ptr 1
		.amdhsa_user_sgpr_dispatch_id 0
		.amdhsa_user_sgpr_private_segment_size 0
		.amdhsa_wavefront_size32 1
		.amdhsa_uses_dynamic_stack 0
		.amdhsa_enable_private_segment 0
		.amdhsa_system_sgpr_workgroup_id_x 1
		.amdhsa_system_sgpr_workgroup_id_y 0
		.amdhsa_system_sgpr_workgroup_id_z 0
		.amdhsa_system_sgpr_workgroup_info 0
		.amdhsa_system_vgpr_workitem_id 0
		.amdhsa_next_free_vgpr 32
		.amdhsa_next_free_sgpr 33
		.amdhsa_reserve_vcc 1
		.amdhsa_float_round_mode_32 0
		.amdhsa_float_round_mode_16_64 0
		.amdhsa_float_denorm_mode_32 3
		.amdhsa_float_denorm_mode_16_64 3
		.amdhsa_dx10_clamp 1
		.amdhsa_ieee_mode 1
		.amdhsa_fp16_overflow 0
		.amdhsa_workgroup_processor_mode 1
		.amdhsa_memory_ordered 1
		.amdhsa_forward_progress 0
		.amdhsa_shared_vgpr_count 0
		.amdhsa_exception_fp_ieee_invalid_op 0
		.amdhsa_exception_fp_denorm_src 0
		.amdhsa_exception_fp_ieee_div_zero 0
		.amdhsa_exception_fp_ieee_overflow 0
		.amdhsa_exception_fp_ieee_underflow 0
		.amdhsa_exception_fp_ieee_inexact 0
		.amdhsa_exception_int_div_zero 0
	.end_amdhsa_kernel
	.section	.text._ZN2at6native29vectorized_elementwise_kernelILi4EZZZNS0_12_GLOBAL__N_130modified_bessel_i1_kernel_cudaERNS_18TensorIteratorBaseEENKUlvE_clEvENKUlvE_clEvEUldE_St5arrayIPcLm2EEEEviT0_T1_,"axG",@progbits,_ZN2at6native29vectorized_elementwise_kernelILi4EZZZNS0_12_GLOBAL__N_130modified_bessel_i1_kernel_cudaERNS_18TensorIteratorBaseEENKUlvE_clEvENKUlvE_clEvEUldE_St5arrayIPcLm2EEEEviT0_T1_,comdat
.Lfunc_end4:
	.size	_ZN2at6native29vectorized_elementwise_kernelILi4EZZZNS0_12_GLOBAL__N_130modified_bessel_i1_kernel_cudaERNS_18TensorIteratorBaseEENKUlvE_clEvENKUlvE_clEvEUldE_St5arrayIPcLm2EEEEviT0_T1_, .Lfunc_end4-_ZN2at6native29vectorized_elementwise_kernelILi4EZZZNS0_12_GLOBAL__N_130modified_bessel_i1_kernel_cudaERNS_18TensorIteratorBaseEENKUlvE_clEvENKUlvE_clEvEUldE_St5arrayIPcLm2EEEEviT0_T1_
                                        ; -- End function
	.section	.AMDGPU.csdata,"",@progbits
; Kernel info:
; codeLenInByte = 168
; NumSgprs: 35
; NumVgprs: 32
; ScratchSize: 0
; MemoryBound: 0
; FloatMode: 240
; IeeeMode: 1
; LDSByteSize: 0 bytes/workgroup (compile time only)
; SGPRBlocks: 4
; VGPRBlocks: 3
; NumSGPRsForWavesPerEU: 35
; NumVGPRsForWavesPerEU: 32
; Occupancy: 16
; WaveLimiterHint : 0
; COMPUTE_PGM_RSRC2:SCRATCH_EN: 0
; COMPUTE_PGM_RSRC2:USER_SGPR: 15
; COMPUTE_PGM_RSRC2:TRAP_HANDLER: 0
; COMPUTE_PGM_RSRC2:TGID_X_EN: 1
; COMPUTE_PGM_RSRC2:TGID_Y_EN: 0
; COMPUTE_PGM_RSRC2:TGID_Z_EN: 0
; COMPUTE_PGM_RSRC2:TIDIG_COMP_CNT: 0
	.section	.text._ZN2at6native29vectorized_elementwise_kernelILi2EZZZNS0_12_GLOBAL__N_130modified_bessel_i1_kernel_cudaERNS_18TensorIteratorBaseEENKUlvE_clEvENKUlvE_clEvEUldE_St5arrayIPcLm2EEEEviT0_T1_,"axG",@progbits,_ZN2at6native29vectorized_elementwise_kernelILi2EZZZNS0_12_GLOBAL__N_130modified_bessel_i1_kernel_cudaERNS_18TensorIteratorBaseEENKUlvE_clEvENKUlvE_clEvEUldE_St5arrayIPcLm2EEEEviT0_T1_,comdat
	.globl	_ZN2at6native29vectorized_elementwise_kernelILi2EZZZNS0_12_GLOBAL__N_130modified_bessel_i1_kernel_cudaERNS_18TensorIteratorBaseEENKUlvE_clEvENKUlvE_clEvEUldE_St5arrayIPcLm2EEEEviT0_T1_ ; -- Begin function _ZN2at6native29vectorized_elementwise_kernelILi2EZZZNS0_12_GLOBAL__N_130modified_bessel_i1_kernel_cudaERNS_18TensorIteratorBaseEENKUlvE_clEvENKUlvE_clEvEUldE_St5arrayIPcLm2EEEEviT0_T1_
	.p2align	8
	.type	_ZN2at6native29vectorized_elementwise_kernelILi2EZZZNS0_12_GLOBAL__N_130modified_bessel_i1_kernel_cudaERNS_18TensorIteratorBaseEENKUlvE_clEvENKUlvE_clEvEUldE_St5arrayIPcLm2EEEEviT0_T1_,@function
_ZN2at6native29vectorized_elementwise_kernelILi2EZZZNS0_12_GLOBAL__N_130modified_bessel_i1_kernel_cudaERNS_18TensorIteratorBaseEENKUlvE_clEvENKUlvE_clEvEUldE_St5arrayIPcLm2EEEEviT0_T1_: ; @_ZN2at6native29vectorized_elementwise_kernelILi2EZZZNS0_12_GLOBAL__N_130modified_bessel_i1_kernel_cudaERNS_18TensorIteratorBaseEENKUlvE_clEvENKUlvE_clEvEUldE_St5arrayIPcLm2EEEEviT0_T1_
; %bb.0:
	s_clause 0x1
	s_load_b32 s5, s[0:1], 0x0
	s_load_b128 s[0:3], s[0:1], 0x8
	s_lshl_b32 s4, s15, 10
	s_mov_b32 s32, 0
	s_waitcnt lgkmcnt(0)
	s_sub_i32 s6, s5, s4
	s_mov_b32 s5, -1
	s_cmpk_gt_i32 s6, 0x3ff
	s_cbranch_scc1 .LBB5_3
; %bb.1:
	s_and_b32 vcc_lo, exec_lo, s5
	s_cbranch_vccnz .LBB5_52
.LBB5_2:
	s_nop 0
	s_sendmsg sendmsg(MSG_DEALLOC_VGPRS)
	s_endpgm
.LBB5_3:
	s_ashr_i32 s5, s4, 31
	v_lshlrev_b32_e32 v15, 4, v0
	s_lshl_b64 s[4:5], s[4:5], 3
                                        ; implicit-def: $vgpr5_vgpr6
	s_delay_alu instid0(SALU_CYCLE_1) | instskip(SKIP_1) | instid1(VALU_DEP_1)
	s_add_u32 s8, s2, s4
	s_addc_u32 s9, s3, s5
	v_add_co_u32 v1, s7, s8, v15
	global_load_b128 v[7:10], v15, s[8:9]
	v_add_co_ci_u32_e64 v2, null, s9, 0, s7
	v_add_co_u32 v1, vcc_lo, 0x1000, v1
	s_delay_alu instid0(VALU_DEP_2) | instskip(SKIP_3) | instid1(VALU_DEP_1)
	v_add_co_ci_u32_e32 v2, vcc_lo, 0, v2, vcc_lo
	global_load_b128 v[1:4], v[1:2], off
	s_waitcnt vmcnt(1)
	v_cmp_ge_f64_e64 s7, 0x40200000, |v[7:8]|
	s_and_saveexec_b32 s8, s7
	s_delay_alu instid0(SALU_CYCLE_1)
	s_xor_b32 s7, exec_lo, s8
	s_cbranch_execz .LBB5_9
; %bb.4:
	v_fma_f64 v[5:6], |v[7:8]|, 0.5, -2.0
	s_mov_b32 s8, 0xc38a0576
	s_mov_b32 s9, 0xbc7857d0
	;; [unrolled: 1-line block ×4, first 2 shown]
	s_delay_alu instid0(VALU_DEP_1) | instid1(SALU_CYCLE_1)
	v_fma_f64 v[11:12], v[5:6], s[10:11], s[8:9]
	s_mov_b32 s11, 0xbc499f2a
	s_mov_b32 s8, 0xe593bfac
	;; [unrolled: 1-line block ×3, first 2 shown]
	s_delay_alu instid0(VALU_DEP_1) | instskip(NEXT) | instid1(VALU_DEP_1)
	v_fma_f64 v[13:14], v[5:6], v[11:12], s[10:11]
	v_add_f64 v[13:14], v[13:14], s[8:9]
	s_mov_b32 s8, 0x7e0d1573
	s_mov_b32 s9, 0xbcd3eaaa
	s_delay_alu instid0(VALU_DEP_1) | instskip(NEXT) | instid1(VALU_DEP_1)
	v_fma_f64 v[11:12], v[5:6], v[13:14], -v[11:12]
	v_add_f64 v[11:12], v[11:12], s[8:9]
	s_mov_b32 s8, 0x615290c
	s_mov_b32 s9, 0x3d011d7f
	s_delay_alu instid0(VALU_DEP_1) | instskip(NEXT) | instid1(VALU_DEP_1)
	v_fma_f64 v[13:14], v[5:6], v[11:12], -v[13:14]
	;; [unrolled: 5-line block ×26, first 2 shown]
	v_add_f64 v[5:6], v[5:6], s[8:9]
	s_mov_b32 s8, exec_lo
	s_delay_alu instid0(VALU_DEP_1)
	v_add_f64 v[11:12], v[5:6], -v[13:14]
                                        ; implicit-def: $vgpr5_vgpr6
	v_cmpx_ngt_f64_e32 0, v[7:8]
	s_xor_b32 s8, exec_lo, s8
	s_cbranch_execz .LBB5_6
; %bb.5:
	s_mov_b32 s10, 0x652b82fe
	s_mov_b32 s11, 0x3ff71547
	;; [unrolled: 1-line block ×3, first 2 shown]
	v_mul_f64 v[5:6], |v[7:8]|, s[10:11]
	s_mov_b32 s10, 0xfefa39ef
	s_mov_b32 s11, 0xbfe62e42
	;; [unrolled: 1-line block ×3, first 2 shown]
	s_delay_alu instid0(VALU_DEP_3) | instskip(SKIP_1) | instid1(VALU_DEP_3)
	v_mul_f64 v[11:12], v[11:12], 0.5
	v_cmp_nlt_f64_e64 vcc_lo, 0x40900000, |v[7:8]|
	v_rndne_f64_e32 v[5:6], v[5:6]
	s_delay_alu instid0(VALU_DEP_1) | instskip(SKIP_4) | instid1(VALU_DEP_3)
	v_fma_f64 v[13:14], v[5:6], s[10:11], |v[7:8]|
	s_mov_b32 s10, 0x3b39803f
	s_mov_b32 s11, 0xbc7abc9e
	v_cvt_i32_f64_e32 v18, v[5:6]
	v_mul_f64 v[7:8], |v[7:8]|, v[11:12]
                                        ; implicit-def: $vgpr11_vgpr12
	v_fma_f64 v[13:14], v[5:6], s[10:11], v[13:14]
	s_mov_b32 s10, 0xfca7ab0c
	s_mov_b32 s11, 0x3e928af3
	s_delay_alu instid0(VALU_DEP_1) | instid1(SALU_CYCLE_1)
	v_fma_f64 v[16:17], v[13:14], s[12:13], s[10:11]
	s_mov_b32 s10, 0x623fde64
	s_mov_b32 s11, 0x3ec71dee
	s_delay_alu instid0(VALU_DEP_1) | instid1(SALU_CYCLE_1)
	v_fma_f64 v[16:17], v[13:14], v[16:17], s[10:11]
	s_mov_b32 s10, 0x7c89e6b0
	s_mov_b32 s11, 0x3efa0199
	s_delay_alu instid0(VALU_DEP_1) | instid1(SALU_CYCLE_1)
	v_fma_f64 v[16:17], v[13:14], v[16:17], s[10:11]
	s_mov_b32 s10, 0x14761f6e
	s_mov_b32 s11, 0x3f2a01a0
	s_delay_alu instid0(VALU_DEP_1) | instid1(SALU_CYCLE_1)
	v_fma_f64 v[16:17], v[13:14], v[16:17], s[10:11]
	s_mov_b32 s10, 0x1852b7b0
	s_mov_b32 s11, 0x3f56c16c
	s_delay_alu instid0(VALU_DEP_1) | instid1(SALU_CYCLE_1)
	v_fma_f64 v[16:17], v[13:14], v[16:17], s[10:11]
	s_mov_b32 s10, 0x11122322
	s_mov_b32 s11, 0x3f811111
	s_delay_alu instid0(VALU_DEP_1) | instid1(SALU_CYCLE_1)
	v_fma_f64 v[16:17], v[13:14], v[16:17], s[10:11]
	s_mov_b32 s10, 0x555502a1
	s_mov_b32 s11, 0x3fa55555
	s_delay_alu instid0(VALU_DEP_1) | instid1(SALU_CYCLE_1)
	v_fma_f64 v[16:17], v[13:14], v[16:17], s[10:11]
	s_mov_b32 s10, 0x55555511
	s_mov_b32 s11, 0x3fc55555
	s_delay_alu instid0(VALU_DEP_1) | instid1(SALU_CYCLE_1)
	v_fma_f64 v[16:17], v[13:14], v[16:17], s[10:11]
	s_mov_b32 s10, 11
	s_mov_b32 s11, 0x3fe00000
	s_delay_alu instid0(VALU_DEP_1) | instid1(SALU_CYCLE_1)
	v_fma_f64 v[16:17], v[13:14], v[16:17], s[10:11]
	s_delay_alu instid0(VALU_DEP_1) | instskip(NEXT) | instid1(VALU_DEP_1)
	v_fma_f64 v[16:17], v[13:14], v[16:17], 1.0
	v_fma_f64 v[5:6], v[13:14], v[16:17], 1.0
	s_delay_alu instid0(VALU_DEP_1) | instskip(NEXT) | instid1(VALU_DEP_1)
	v_ldexp_f64 v[5:6], v[5:6], v18
	v_cndmask_b32_e32 v6, 0x7ff00000, v6, vcc_lo
	s_delay_alu instid0(VALU_DEP_2) | instskip(NEXT) | instid1(VALU_DEP_1)
	v_cndmask_b32_e32 v5, 0, v5, vcc_lo
	v_mul_f64 v[5:6], v[5:6], v[7:8]
.LBB5_6:
	s_and_not1_saveexec_b32 s8, s8
	s_cbranch_execz .LBB5_8
; %bb.7:
	s_mov_b32 s10, 0x652b82fe
	s_mov_b32 s11, 0x3ff71547
	;; [unrolled: 1-line block ×3, first 2 shown]
	v_mul_f64 v[5:6], |v[7:8]|, s[10:11]
	s_mov_b32 s10, 0xfefa39ef
	s_mov_b32 s11, 0xbfe62e42
	;; [unrolled: 1-line block ×3, first 2 shown]
	s_delay_alu instid0(VALU_DEP_3) | instskip(SKIP_1) | instid1(VALU_DEP_3)
	v_mul_f64 v[11:12], v[11:12], -0.5
	v_cmp_nlt_f64_e64 vcc_lo, 0x40900000, |v[7:8]|
	v_rndne_f64_e32 v[5:6], v[5:6]
	s_delay_alu instid0(VALU_DEP_1) | instskip(SKIP_4) | instid1(VALU_DEP_3)
	v_fma_f64 v[13:14], v[5:6], s[10:11], |v[7:8]|
	s_mov_b32 s10, 0x3b39803f
	s_mov_b32 s11, 0xbc7abc9e
	v_cvt_i32_f64_e32 v18, v[5:6]
	v_mul_f64 v[7:8], |v[7:8]|, v[11:12]
	v_fma_f64 v[13:14], v[5:6], s[10:11], v[13:14]
	s_mov_b32 s10, 0xfca7ab0c
	s_mov_b32 s11, 0x3e928af3
	s_delay_alu instid0(VALU_DEP_1) | instid1(SALU_CYCLE_1)
	v_fma_f64 v[16:17], v[13:14], s[12:13], s[10:11]
	s_mov_b32 s10, 0x623fde64
	s_mov_b32 s11, 0x3ec71dee
	s_delay_alu instid0(VALU_DEP_1) | instid1(SALU_CYCLE_1)
	;; [unrolled: 4-line block ×9, first 2 shown]
	v_fma_f64 v[16:17], v[13:14], v[16:17], s[10:11]
	s_delay_alu instid0(VALU_DEP_1) | instskip(NEXT) | instid1(VALU_DEP_1)
	v_fma_f64 v[16:17], v[13:14], v[16:17], 1.0
	v_fma_f64 v[5:6], v[13:14], v[16:17], 1.0
	s_delay_alu instid0(VALU_DEP_1) | instskip(NEXT) | instid1(VALU_DEP_1)
	v_ldexp_f64 v[5:6], v[5:6], v18
	v_cndmask_b32_e32 v6, 0x7ff00000, v6, vcc_lo
	s_delay_alu instid0(VALU_DEP_2) | instskip(NEXT) | instid1(VALU_DEP_1)
	v_cndmask_b32_e32 v5, 0, v5, vcc_lo
	v_mul_f64 v[5:6], v[5:6], v[7:8]
.LBB5_8:
	s_or_b32 exec_lo, exec_lo, s8
.LBB5_9:
	s_and_not1_saveexec_b32 s7, s7
	s_cbranch_execz .LBB5_15
; %bb.10:
	v_dual_mov_b32 v5, v7 :: v_dual_and_b32 v6, 0x7fffffff, v8
	s_mov_b32 s8, 0xea87b950
	s_mov_b32 s9, 0x3c545b8a
	;; [unrolled: 1-line block ×4, first 2 shown]
	v_div_scale_f64 v[11:12], null, v[5:6], v[5:6], 0x40400000
	v_div_scale_f64 v[5:6], vcc_lo, 0x40400000, v[5:6], 0x40400000
	s_mov_b32 s12, 0x2e9e5443
	s_mov_b32 s13, 0xbe90dbfd
	s_delay_alu instid0(VALU_DEP_2) | instskip(SKIP_2) | instid1(VALU_DEP_1)
	v_rcp_f64_e32 v[13:14], v[11:12]
	s_waitcnt_depctr 0xfff
	v_fma_f64 v[16:17], -v[11:12], v[13:14], 1.0
	v_fma_f64 v[13:14], v[13:14], v[16:17], v[13:14]
	s_delay_alu instid0(VALU_DEP_1) | instskip(NEXT) | instid1(VALU_DEP_1)
	v_fma_f64 v[16:17], -v[11:12], v[13:14], 1.0
	v_fma_f64 v[13:14], v[13:14], v[16:17], v[13:14]
	s_delay_alu instid0(VALU_DEP_1) | instskip(NEXT) | instid1(VALU_DEP_1)
	v_mul_f64 v[16:17], v[5:6], v[13:14]
	v_fma_f64 v[5:6], -v[11:12], v[16:17], v[5:6]
	s_delay_alu instid0(VALU_DEP_1) | instskip(NEXT) | instid1(VALU_DEP_1)
	v_div_fmas_f64 v[5:6], v[5:6], v[13:14], v[16:17]
	v_div_fixup_f64 v[5:6], v[5:6], |v[7:8]|, 0x40400000
	s_delay_alu instid0(VALU_DEP_1) | instskip(NEXT) | instid1(VALU_DEP_1)
	v_add_f64 v[5:6], v[5:6], -2.0
	v_fma_f64 v[11:12], v[5:6], s[10:11], s[8:9]
	s_mov_b32 s11, 0xbc61556d
	s_mov_b32 s8, 0xb2532277
	;; [unrolled: 1-line block ×3, first 2 shown]
	s_delay_alu instid0(VALU_DEP_1) | instskip(SKIP_2) | instid1(VALU_DEP_1)
	v_fma_f64 v[13:14], v[5:6], v[11:12], s[10:11]
	s_mov_b32 s10, 0x9ad53528
	s_mov_b32 s11, 0xbe30790b
	v_add_f64 v[13:14], v[13:14], s[8:9]
	s_mov_b32 s8, 0x9c773320
	s_mov_b32 s9, 0xbc82806c
	s_delay_alu instid0(VALU_DEP_1) | instskip(NEXT) | instid1(VALU_DEP_1)
	v_fma_f64 v[11:12], v[5:6], v[13:14], -v[11:12]
	v_add_f64 v[11:12], v[11:12], s[8:9]
	s_mov_b32 s8, 0xfceb588a
	s_mov_b32 s9, 0x3cb55915
	s_delay_alu instid0(VALU_DEP_1) | instskip(NEXT) | instid1(VALU_DEP_1)
	v_fma_f64 v[13:14], v[5:6], v[11:12], -v[13:14]
	;; [unrolled: 5-line block ×15, first 2 shown]
	v_add_f64 v[11:12], v[11:12], s[8:9]
	s_mov_b32 s8, 0x652b82fe
	s_mov_b32 s9, 0x3ff71547
	s_delay_alu instid0(SALU_CYCLE_1) | instskip(SKIP_2) | instid1(VALU_DEP_2)
	v_mul_f64 v[16:17], |v[7:8]|, s[8:9]
	s_mov_b32 s8, 0xfefa39ef
	s_mov_b32 s9, 0xbfe62e42
	v_fma_f64 v[13:14], v[5:6], v[11:12], -v[13:14]
	s_delay_alu instid0(VALU_DEP_2) | instskip(NEXT) | instid1(VALU_DEP_2)
	v_rndne_f64_e32 v[16:17], v[16:17]
	v_add_f64 v[13:14], v[13:14], s[10:11]
	s_mov_b32 s10, 0x94bb46c1
	s_mov_b32 s11, 0xbe5c4153
	s_delay_alu instid0(VALU_DEP_2) | instskip(SKIP_2) | instid1(VALU_DEP_2)
	v_fma_f64 v[18:19], v[16:17], s[8:9], |v[7:8]|
	s_mov_b32 s8, 0x3b39803f
	s_mov_b32 s9, 0xbc7abc9e
	v_fma_f64 v[11:12], v[5:6], v[13:14], -v[11:12]
	s_delay_alu instid0(VALU_DEP_2) | instskip(SKIP_3) | instid1(VALU_DEP_3)
	v_fma_f64 v[18:19], v[16:17], s[8:9], v[18:19]
	s_mov_b32 s8, 0xfca7ab0c
	s_mov_b32 s9, 0x3e928af3
	v_cvt_i32_f64_e32 v16, v[16:17]
	v_add_f64 v[11:12], v[11:12], s[10:11]
	s_mov_b32 s10, 0x6a5dcb37
	s_mov_b32 s11, 0x3e5ade15
	s_delay_alu instid0(VALU_DEP_3) | instid1(SALU_CYCLE_1)
	v_fma_f64 v[20:21], v[18:19], s[10:11], s[8:9]
	s_mov_b32 s8, 0x623fde64
	s_mov_b32 s9, 0x3ec71dee
	;; [unrolled: 1-line block ×4, first 2 shown]
	s_delay_alu instid0(VALU_DEP_2) | instskip(NEXT) | instid1(VALU_DEP_2)
	v_fma_f64 v[13:14], v[5:6], v[11:12], -v[13:14]
	v_fma_f64 v[20:21], v[18:19], v[20:21], s[8:9]
	s_mov_b32 s8, 0x7c89e6b0
	s_mov_b32 s9, 0x3efa0199
	s_delay_alu instid0(VALU_DEP_2) | instskip(NEXT) | instid1(VALU_DEP_2)
	v_add_f64 v[13:14], v[13:14], s[12:13]
	v_fma_f64 v[20:21], v[18:19], v[20:21], s[8:9]
	s_mov_b32 s8, 0x14761f6e
	s_mov_b32 s9, 0x3f2a01a0
	s_delay_alu instid0(VALU_DEP_2) | instskip(NEXT) | instid1(VALU_DEP_2)
	v_fma_f64 v[11:12], v[5:6], v[13:14], -v[11:12]
	v_fma_f64 v[20:21], v[18:19], v[20:21], s[8:9]
	s_mov_b32 s8, 0x1852b7b0
	s_mov_b32 s9, 0x3f56c16c
	s_delay_alu instid0(VALU_DEP_2) | instskip(SKIP_2) | instid1(VALU_DEP_2)
	v_add_f64 v[11:12], v[11:12], s[10:11]
	s_mov_b32 s10, 0x804aa9a6
	s_mov_b32 s11, 0xbf1cfd7f
	v_fma_f64 v[20:21], v[18:19], v[20:21], s[8:9]
	s_mov_b32 s8, 0x11122322
	s_mov_b32 s9, 0x3f811111
	s_delay_alu instid0(VALU_DEP_2) | instskip(NEXT) | instid1(VALU_DEP_2)
	v_fma_f64 v[13:14], v[5:6], v[11:12], -v[13:14]
	v_fma_f64 v[20:21], v[18:19], v[20:21], s[8:9]
	s_mov_b32 s8, 0x555502a1
	s_mov_b32 s9, 0x3fa55555
	s_delay_alu instid0(VALU_DEP_2) | instskip(SKIP_2) | instid1(VALU_DEP_2)
	v_add_f64 v[13:14], v[13:14], s[10:11]
	s_mov_b32 s10, 0x53fcdb4c
	s_mov_b32 s11, 0xbf83fda0
	v_fma_f64 v[20:21], v[18:19], v[20:21], s[8:9]
	s_mov_b32 s8, 0x55555511
	s_mov_b32 s9, 0x3fc55555
	s_delay_alu instid0(VALU_DEP_2) | instskip(NEXT) | instid1(VALU_DEP_2)
	v_fma_f64 v[11:12], v[5:6], v[13:14], -v[11:12]
	v_fma_f64 v[20:21], v[18:19], v[20:21], s[8:9]
	s_mov_b32 s8, 11
	s_mov_b32 s9, 0x3fe00000
	s_delay_alu instid0(VALU_DEP_2) | instskip(SKIP_2) | instid1(VALU_DEP_1)
	v_add_f64 v[11:12], v[11:12], s[10:11]
	s_mov_b32 s10, 0xb55b1514
	s_mov_b32 s11, 0x3fe8ea18
	v_fma_f64 v[5:6], v[5:6], v[11:12], -v[13:14]
	s_delay_alu instid0(VALU_DEP_3) | instskip(SKIP_1) | instid1(VALU_DEP_2)
	v_fma_f64 v[11:12], v[18:19], v[20:21], s[8:9]
	s_mov_b32 s8, exec_lo
	v_add_f64 v[5:6], v[5:6], s[10:11]
	s_delay_alu instid0(VALU_DEP_2) | instskip(NEXT) | instid1(VALU_DEP_2)
	v_fma_f64 v[11:12], v[18:19], v[11:12], 1.0
	v_add_f64 v[5:6], v[5:6], -v[13:14]
	s_delay_alu instid0(VALU_DEP_2) | instskip(NEXT) | instid1(VALU_DEP_2)
	v_fma_f64 v[13:14], v[18:19], v[11:12], 1.0
	v_mul_f64 v[11:12], v[5:6], 0.5
                                        ; implicit-def: $vgpr5_vgpr6
	v_cmpx_ngt_f64_e32 0, v[7:8]
	s_xor_b32 s8, exec_lo, s8
	s_cbranch_execz .LBB5_12
; %bb.11:
	v_cmp_gt_f64_e64 s9, 0x10000000, |v[7:8]|
	s_delay_alu instid0(VALU_DEP_4) | instskip(SKIP_1) | instid1(VALU_DEP_3)
	v_ldexp_f64 v[13:14], v[13:14], v16
	v_cmp_nlt_f64_e64 vcc_lo, 0x40900000, |v[7:8]|
	v_cndmask_b32_e64 v5, 0, 1, s9
	v_cndmask_b32_e64 v16, 0, 0xffffff80, s9
	s_delay_alu instid0(VALU_DEP_2) | instskip(NEXT) | instid1(VALU_DEP_1)
	v_dual_cndmask_b32 v14, 0x7ff00000, v14 :: v_dual_lshlrev_b32 v5, 8, v5
	v_ldexp_f64 v[5:6], |v[7:8]|, v5
	s_delay_alu instid0(VALU_DEP_1) | instskip(SKIP_3) | instid1(VALU_DEP_1)
	v_rsq_f64_e32 v[17:18], v[5:6]
	s_waitcnt_depctr 0xfff
	v_mul_f64 v[19:20], v[5:6], v[17:18]
	v_mul_f64 v[17:18], v[17:18], 0.5
	v_fma_f64 v[21:22], -v[17:18], v[19:20], 0.5
	s_delay_alu instid0(VALU_DEP_1) | instskip(SKIP_1) | instid1(VALU_DEP_2)
	v_fma_f64 v[19:20], v[19:20], v[21:22], v[19:20]
	v_fma_f64 v[17:18], v[17:18], v[21:22], v[17:18]
	v_fma_f64 v[21:22], -v[19:20], v[19:20], v[5:6]
	s_delay_alu instid0(VALU_DEP_1) | instskip(NEXT) | instid1(VALU_DEP_1)
	v_fma_f64 v[19:20], v[21:22], v[17:18], v[19:20]
	v_fma_f64 v[21:22], -v[19:20], v[19:20], v[5:6]
	s_delay_alu instid0(VALU_DEP_1) | instskip(NEXT) | instid1(VALU_DEP_1)
	v_fma_f64 v[7:8], v[21:22], v[17:18], v[19:20]
	v_ldexp_f64 v[7:8], v[7:8], v16
	v_cndmask_b32_e32 v13, 0, v13, vcc_lo
	v_cmp_class_f64_e64 vcc_lo, v[5:6], 0x260
	s_delay_alu instid0(VALU_DEP_3) | instskip(NEXT) | instid1(VALU_DEP_3)
	v_cndmask_b32_e32 v6, v8, v6, vcc_lo
	v_mul_f64 v[11:12], v[13:14], v[11:12]
	v_cndmask_b32_e32 v5, v7, v5, vcc_lo
	s_delay_alu instid0(VALU_DEP_1) | instskip(NEXT) | instid1(VALU_DEP_1)
	v_div_scale_f64 v[7:8], null, v[5:6], v[5:6], v[11:12]
	v_rcp_f64_e32 v[13:14], v[7:8]
	s_waitcnt_depctr 0xfff
	v_fma_f64 v[16:17], -v[7:8], v[13:14], 1.0
	s_delay_alu instid0(VALU_DEP_1) | instskip(NEXT) | instid1(VALU_DEP_1)
	v_fma_f64 v[13:14], v[13:14], v[16:17], v[13:14]
	v_fma_f64 v[16:17], -v[7:8], v[13:14], 1.0
	s_delay_alu instid0(VALU_DEP_1) | instskip(SKIP_1) | instid1(VALU_DEP_1)
	v_fma_f64 v[13:14], v[13:14], v[16:17], v[13:14]
	v_div_scale_f64 v[16:17], vcc_lo, v[11:12], v[5:6], v[11:12]
	v_mul_f64 v[18:19], v[16:17], v[13:14]
	s_delay_alu instid0(VALU_DEP_1) | instskip(NEXT) | instid1(VALU_DEP_1)
	v_fma_f64 v[7:8], -v[7:8], v[18:19], v[16:17]
                                        ; implicit-def: $vgpr16
	v_div_fmas_f64 v[7:8], v[7:8], v[13:14], v[18:19]
                                        ; implicit-def: $vgpr13_vgpr14
	s_delay_alu instid0(VALU_DEP_1)
	v_div_fixup_f64 v[5:6], v[7:8], v[5:6], v[11:12]
                                        ; implicit-def: $vgpr11_vgpr12
.LBB5_12:
	s_and_not1_saveexec_b32 s8, s8
	s_cbranch_execz .LBB5_14
; %bb.13:
	v_cmp_gt_f64_e64 s9, 0x10000000, |v[7:8]|
	s_delay_alu instid0(VALU_DEP_4) | instskip(SKIP_1) | instid1(VALU_DEP_3)
	v_ldexp_f64 v[13:14], -v[13:14], v16
	v_cmp_nlt_f64_e64 vcc_lo, 0x40900000, |v[7:8]|
	v_cndmask_b32_e64 v5, 0, 1, s9
	v_cndmask_b32_e64 v16, 0, 0xffffff80, s9
	s_delay_alu instid0(VALU_DEP_2) | instskip(NEXT) | instid1(VALU_DEP_1)
	v_dual_cndmask_b32 v14, 0xfff00000, v14 :: v_dual_lshlrev_b32 v5, 8, v5
	v_ldexp_f64 v[5:6], |v[7:8]|, v5
	s_delay_alu instid0(VALU_DEP_1) | instskip(SKIP_3) | instid1(VALU_DEP_1)
	v_rsq_f64_e32 v[17:18], v[5:6]
	s_waitcnt_depctr 0xfff
	v_mul_f64 v[19:20], v[5:6], v[17:18]
	v_mul_f64 v[17:18], v[17:18], 0.5
	v_fma_f64 v[21:22], -v[17:18], v[19:20], 0.5
	s_delay_alu instid0(VALU_DEP_1) | instskip(SKIP_1) | instid1(VALU_DEP_2)
	v_fma_f64 v[19:20], v[19:20], v[21:22], v[19:20]
	v_fma_f64 v[17:18], v[17:18], v[21:22], v[17:18]
	v_fma_f64 v[21:22], -v[19:20], v[19:20], v[5:6]
	s_delay_alu instid0(VALU_DEP_1) | instskip(NEXT) | instid1(VALU_DEP_1)
	v_fma_f64 v[19:20], v[21:22], v[17:18], v[19:20]
	v_fma_f64 v[21:22], -v[19:20], v[19:20], v[5:6]
	s_delay_alu instid0(VALU_DEP_1) | instskip(NEXT) | instid1(VALU_DEP_1)
	v_fma_f64 v[7:8], v[21:22], v[17:18], v[19:20]
	v_ldexp_f64 v[7:8], v[7:8], v16
	v_cndmask_b32_e32 v13, 0, v13, vcc_lo
	v_cmp_class_f64_e64 vcc_lo, v[5:6], 0x260
	s_delay_alu instid0(VALU_DEP_3) | instskip(NEXT) | instid1(VALU_DEP_3)
	v_cndmask_b32_e32 v6, v8, v6, vcc_lo
	v_mul_f64 v[11:12], v[13:14], v[11:12]
	v_cndmask_b32_e32 v5, v7, v5, vcc_lo
	s_delay_alu instid0(VALU_DEP_1) | instskip(NEXT) | instid1(VALU_DEP_1)
	v_div_scale_f64 v[7:8], null, v[5:6], v[5:6], v[11:12]
	v_rcp_f64_e32 v[13:14], v[7:8]
	s_waitcnt_depctr 0xfff
	v_fma_f64 v[16:17], -v[7:8], v[13:14], 1.0
	s_delay_alu instid0(VALU_DEP_1) | instskip(NEXT) | instid1(VALU_DEP_1)
	v_fma_f64 v[13:14], v[13:14], v[16:17], v[13:14]
	v_fma_f64 v[16:17], -v[7:8], v[13:14], 1.0
	s_delay_alu instid0(VALU_DEP_1) | instskip(SKIP_1) | instid1(VALU_DEP_1)
	v_fma_f64 v[13:14], v[13:14], v[16:17], v[13:14]
	v_div_scale_f64 v[16:17], vcc_lo, v[11:12], v[5:6], v[11:12]
	v_mul_f64 v[18:19], v[16:17], v[13:14]
	s_delay_alu instid0(VALU_DEP_1) | instskip(NEXT) | instid1(VALU_DEP_1)
	v_fma_f64 v[7:8], -v[7:8], v[18:19], v[16:17]
	v_div_fmas_f64 v[7:8], v[7:8], v[13:14], v[18:19]
	s_delay_alu instid0(VALU_DEP_1)
	v_div_fixup_f64 v[5:6], v[7:8], v[5:6], v[11:12]
.LBB5_14:
	s_or_b32 exec_lo, exec_lo, s8
.LBB5_15:
	s_delay_alu instid0(SALU_CYCLE_1) | instskip(SKIP_1) | instid1(VALU_DEP_1)
	s_or_b32 exec_lo, exec_lo, s7
	v_cmp_ge_f64_e64 s7, 0x40200000, |v[9:10]|
	s_and_saveexec_b32 s8, s7
	s_delay_alu instid0(SALU_CYCLE_1)
	s_xor_b32 s7, exec_lo, s8
	s_cbranch_execz .LBB5_21
; %bb.16:
	v_fma_f64 v[7:8], |v[9:10]|, 0.5, -2.0
	s_mov_b32 s8, 0xc38a0576
	s_mov_b32 s9, 0xbc7857d0
	;; [unrolled: 1-line block ×4, first 2 shown]
	s_delay_alu instid0(VALU_DEP_1) | instid1(SALU_CYCLE_1)
	v_fma_f64 v[11:12], v[7:8], s[10:11], s[8:9]
	s_mov_b32 s11, 0xbc499f2a
	s_mov_b32 s8, 0xe593bfac
	s_mov_b32 s9, 0x3ca663e3
	s_delay_alu instid0(VALU_DEP_1) | instskip(NEXT) | instid1(VALU_DEP_1)
	v_fma_f64 v[13:14], v[7:8], v[11:12], s[10:11]
	v_add_f64 v[13:14], v[13:14], s[8:9]
	s_mov_b32 s8, 0x7e0d1573
	s_mov_b32 s9, 0xbcd3eaaa
	s_delay_alu instid0(VALU_DEP_1) | instskip(NEXT) | instid1(VALU_DEP_1)
	v_fma_f64 v[11:12], v[7:8], v[13:14], -v[11:12]
	v_add_f64 v[11:12], v[11:12], s[8:9]
	s_mov_b32 s8, 0x615290c
	s_mov_b32 s9, 0x3d011d7f
	s_delay_alu instid0(VALU_DEP_1) | instskip(NEXT) | instid1(VALU_DEP_1)
	v_fma_f64 v[13:14], v[7:8], v[11:12], -v[13:14]
	;; [unrolled: 5-line block ×26, first 2 shown]
	v_add_f64 v[7:8], v[7:8], s[8:9]
	s_mov_b32 s8, exec_lo
	s_delay_alu instid0(VALU_DEP_1)
	v_add_f64 v[11:12], v[7:8], -v[13:14]
	v_cmpx_ngt_f64_e32 0, v[9:10]
	s_xor_b32 s8, exec_lo, s8
	s_cbranch_execz .LBB5_18
; %bb.17:
	s_mov_b32 s10, 0x652b82fe
	s_mov_b32 s11, 0x3ff71547
	;; [unrolled: 1-line block ×3, first 2 shown]
	v_mul_f64 v[7:8], |v[9:10]|, s[10:11]
	s_mov_b32 s10, 0xfefa39ef
	s_mov_b32 s11, 0xbfe62e42
	;; [unrolled: 1-line block ×3, first 2 shown]
	s_delay_alu instid0(VALU_DEP_3) | instskip(SKIP_1) | instid1(VALU_DEP_3)
	v_mul_f64 v[11:12], v[11:12], 0.5
	v_cmp_nlt_f64_e64 vcc_lo, 0x40900000, |v[9:10]|
	v_rndne_f64_e32 v[7:8], v[7:8]
	s_delay_alu instid0(VALU_DEP_1) | instskip(SKIP_4) | instid1(VALU_DEP_3)
	v_fma_f64 v[13:14], v[7:8], s[10:11], |v[9:10]|
	s_mov_b32 s10, 0x3b39803f
	s_mov_b32 s11, 0xbc7abc9e
	v_cvt_i32_f64_e32 v18, v[7:8]
	v_mul_f64 v[9:10], |v[9:10]|, v[11:12]
                                        ; implicit-def: $vgpr11_vgpr12
	v_fma_f64 v[13:14], v[7:8], s[10:11], v[13:14]
	s_mov_b32 s10, 0xfca7ab0c
	s_mov_b32 s11, 0x3e928af3
	s_delay_alu instid0(VALU_DEP_1) | instid1(SALU_CYCLE_1)
	v_fma_f64 v[16:17], v[13:14], s[12:13], s[10:11]
	s_mov_b32 s10, 0x623fde64
	s_mov_b32 s11, 0x3ec71dee
	s_delay_alu instid0(VALU_DEP_1) | instid1(SALU_CYCLE_1)
	;; [unrolled: 4-line block ×9, first 2 shown]
	v_fma_f64 v[16:17], v[13:14], v[16:17], s[10:11]
	s_delay_alu instid0(VALU_DEP_1) | instskip(NEXT) | instid1(VALU_DEP_1)
	v_fma_f64 v[16:17], v[13:14], v[16:17], 1.0
	v_fma_f64 v[7:8], v[13:14], v[16:17], 1.0
	s_delay_alu instid0(VALU_DEP_1) | instskip(NEXT) | instid1(VALU_DEP_1)
	v_ldexp_f64 v[7:8], v[7:8], v18
	v_cndmask_b32_e32 v8, 0x7ff00000, v8, vcc_lo
	s_delay_alu instid0(VALU_DEP_2) | instskip(NEXT) | instid1(VALU_DEP_1)
	v_cndmask_b32_e32 v7, 0, v7, vcc_lo
	v_mul_f64 v[7:8], v[7:8], v[9:10]
                                        ; implicit-def: $vgpr9_vgpr10
.LBB5_18:
	s_and_not1_saveexec_b32 s8, s8
	s_cbranch_execz .LBB5_20
; %bb.19:
	s_mov_b32 s10, 0x652b82fe
	s_mov_b32 s11, 0x3ff71547
	;; [unrolled: 1-line block ×3, first 2 shown]
	v_mul_f64 v[7:8], |v[9:10]|, s[10:11]
	s_mov_b32 s10, 0xfefa39ef
	s_mov_b32 s11, 0xbfe62e42
	;; [unrolled: 1-line block ×3, first 2 shown]
	s_delay_alu instid0(VALU_DEP_3) | instskip(SKIP_1) | instid1(VALU_DEP_3)
	v_mul_f64 v[11:12], v[11:12], -0.5
	v_cmp_nlt_f64_e64 vcc_lo, 0x40900000, |v[9:10]|
	v_rndne_f64_e32 v[7:8], v[7:8]
	s_delay_alu instid0(VALU_DEP_1) | instskip(SKIP_4) | instid1(VALU_DEP_3)
	v_fma_f64 v[13:14], v[7:8], s[10:11], |v[9:10]|
	s_mov_b32 s10, 0x3b39803f
	s_mov_b32 s11, 0xbc7abc9e
	v_cvt_i32_f64_e32 v18, v[7:8]
	v_mul_f64 v[9:10], |v[9:10]|, v[11:12]
	v_fma_f64 v[13:14], v[7:8], s[10:11], v[13:14]
	s_mov_b32 s10, 0xfca7ab0c
	s_mov_b32 s11, 0x3e928af3
	s_delay_alu instid0(VALU_DEP_1) | instid1(SALU_CYCLE_1)
	v_fma_f64 v[16:17], v[13:14], s[12:13], s[10:11]
	s_mov_b32 s10, 0x623fde64
	s_mov_b32 s11, 0x3ec71dee
	s_delay_alu instid0(VALU_DEP_1) | instid1(SALU_CYCLE_1)
	;; [unrolled: 4-line block ×9, first 2 shown]
	v_fma_f64 v[16:17], v[13:14], v[16:17], s[10:11]
	s_delay_alu instid0(VALU_DEP_1) | instskip(NEXT) | instid1(VALU_DEP_1)
	v_fma_f64 v[16:17], v[13:14], v[16:17], 1.0
	v_fma_f64 v[7:8], v[13:14], v[16:17], 1.0
	s_delay_alu instid0(VALU_DEP_1) | instskip(NEXT) | instid1(VALU_DEP_1)
	v_ldexp_f64 v[7:8], v[7:8], v18
	v_cndmask_b32_e32 v8, 0x7ff00000, v8, vcc_lo
	s_delay_alu instid0(VALU_DEP_2) | instskip(NEXT) | instid1(VALU_DEP_1)
	v_cndmask_b32_e32 v7, 0, v7, vcc_lo
	v_mul_f64 v[7:8], v[7:8], v[9:10]
.LBB5_20:
	s_or_b32 exec_lo, exec_lo, s8
                                        ; implicit-def: $vgpr9_vgpr10
.LBB5_21:
	s_and_not1_saveexec_b32 s7, s7
	s_cbranch_execz .LBB5_27
; %bb.22:
	v_dual_mov_b32 v7, v9 :: v_dual_and_b32 v8, 0x7fffffff, v10
	s_mov_b32 s8, 0xea87b950
	s_mov_b32 s9, 0x3c545b8a
	;; [unrolled: 1-line block ×4, first 2 shown]
	v_div_scale_f64 v[11:12], null, v[7:8], v[7:8], 0x40400000
	v_div_scale_f64 v[7:8], vcc_lo, 0x40400000, v[7:8], 0x40400000
	s_mov_b32 s12, 0x2e9e5443
	s_mov_b32 s13, 0xbe90dbfd
	s_delay_alu instid0(VALU_DEP_2) | instskip(SKIP_2) | instid1(VALU_DEP_1)
	v_rcp_f64_e32 v[13:14], v[11:12]
	s_waitcnt_depctr 0xfff
	v_fma_f64 v[16:17], -v[11:12], v[13:14], 1.0
	v_fma_f64 v[13:14], v[13:14], v[16:17], v[13:14]
	s_delay_alu instid0(VALU_DEP_1) | instskip(NEXT) | instid1(VALU_DEP_1)
	v_fma_f64 v[16:17], -v[11:12], v[13:14], 1.0
	v_fma_f64 v[13:14], v[13:14], v[16:17], v[13:14]
	s_delay_alu instid0(VALU_DEP_1) | instskip(NEXT) | instid1(VALU_DEP_1)
	v_mul_f64 v[16:17], v[7:8], v[13:14]
	v_fma_f64 v[7:8], -v[11:12], v[16:17], v[7:8]
	s_delay_alu instid0(VALU_DEP_1) | instskip(NEXT) | instid1(VALU_DEP_1)
	v_div_fmas_f64 v[7:8], v[7:8], v[13:14], v[16:17]
	v_div_fixup_f64 v[7:8], v[7:8], |v[9:10]|, 0x40400000
	s_delay_alu instid0(VALU_DEP_1) | instskip(NEXT) | instid1(VALU_DEP_1)
	v_add_f64 v[7:8], v[7:8], -2.0
	v_fma_f64 v[11:12], v[7:8], s[10:11], s[8:9]
	s_mov_b32 s11, 0xbc61556d
	s_mov_b32 s8, 0xb2532277
	;; [unrolled: 1-line block ×3, first 2 shown]
	s_delay_alu instid0(VALU_DEP_1) | instskip(SKIP_2) | instid1(VALU_DEP_1)
	v_fma_f64 v[13:14], v[7:8], v[11:12], s[10:11]
	s_mov_b32 s10, 0x9ad53528
	s_mov_b32 s11, 0xbe30790b
	v_add_f64 v[13:14], v[13:14], s[8:9]
	s_mov_b32 s8, 0x9c773320
	s_mov_b32 s9, 0xbc82806c
	s_delay_alu instid0(VALU_DEP_1) | instskip(NEXT) | instid1(VALU_DEP_1)
	v_fma_f64 v[11:12], v[7:8], v[13:14], -v[11:12]
	v_add_f64 v[11:12], v[11:12], s[8:9]
	s_mov_b32 s8, 0xfceb588a
	s_mov_b32 s9, 0x3cb55915
	s_delay_alu instid0(VALU_DEP_1) | instskip(NEXT) | instid1(VALU_DEP_1)
	v_fma_f64 v[13:14], v[7:8], v[11:12], -v[13:14]
	;; [unrolled: 5-line block ×15, first 2 shown]
	v_add_f64 v[11:12], v[11:12], s[8:9]
	s_mov_b32 s8, 0x652b82fe
	s_mov_b32 s9, 0x3ff71547
	s_delay_alu instid0(SALU_CYCLE_1) | instskip(SKIP_2) | instid1(VALU_DEP_2)
	v_mul_f64 v[16:17], |v[9:10]|, s[8:9]
	s_mov_b32 s8, 0xfefa39ef
	s_mov_b32 s9, 0xbfe62e42
	v_fma_f64 v[13:14], v[7:8], v[11:12], -v[13:14]
	s_delay_alu instid0(VALU_DEP_2) | instskip(NEXT) | instid1(VALU_DEP_2)
	v_rndne_f64_e32 v[16:17], v[16:17]
	v_add_f64 v[13:14], v[13:14], s[10:11]
	s_mov_b32 s10, 0x94bb46c1
	s_mov_b32 s11, 0xbe5c4153
	s_delay_alu instid0(VALU_DEP_2) | instskip(SKIP_2) | instid1(VALU_DEP_2)
	v_fma_f64 v[18:19], v[16:17], s[8:9], |v[9:10]|
	s_mov_b32 s8, 0x3b39803f
	s_mov_b32 s9, 0xbc7abc9e
	v_fma_f64 v[11:12], v[7:8], v[13:14], -v[11:12]
	s_delay_alu instid0(VALU_DEP_2) | instskip(SKIP_3) | instid1(VALU_DEP_3)
	v_fma_f64 v[18:19], v[16:17], s[8:9], v[18:19]
	s_mov_b32 s8, 0xfca7ab0c
	s_mov_b32 s9, 0x3e928af3
	v_cvt_i32_f64_e32 v16, v[16:17]
	v_add_f64 v[11:12], v[11:12], s[10:11]
	s_mov_b32 s10, 0x6a5dcb37
	s_mov_b32 s11, 0x3e5ade15
	s_delay_alu instid0(VALU_DEP_3) | instid1(SALU_CYCLE_1)
	v_fma_f64 v[20:21], v[18:19], s[10:11], s[8:9]
	s_mov_b32 s8, 0x623fde64
	s_mov_b32 s9, 0x3ec71dee
	;; [unrolled: 1-line block ×4, first 2 shown]
	s_delay_alu instid0(VALU_DEP_2) | instskip(NEXT) | instid1(VALU_DEP_2)
	v_fma_f64 v[13:14], v[7:8], v[11:12], -v[13:14]
	v_fma_f64 v[20:21], v[18:19], v[20:21], s[8:9]
	s_mov_b32 s8, 0x7c89e6b0
	s_mov_b32 s9, 0x3efa0199
	s_delay_alu instid0(VALU_DEP_2) | instskip(NEXT) | instid1(VALU_DEP_2)
	v_add_f64 v[13:14], v[13:14], s[12:13]
	v_fma_f64 v[20:21], v[18:19], v[20:21], s[8:9]
	s_mov_b32 s8, 0x14761f6e
	s_mov_b32 s9, 0x3f2a01a0
	s_delay_alu instid0(VALU_DEP_2) | instskip(NEXT) | instid1(VALU_DEP_2)
	v_fma_f64 v[11:12], v[7:8], v[13:14], -v[11:12]
	v_fma_f64 v[20:21], v[18:19], v[20:21], s[8:9]
	s_mov_b32 s8, 0x1852b7b0
	s_mov_b32 s9, 0x3f56c16c
	s_delay_alu instid0(VALU_DEP_2) | instskip(SKIP_2) | instid1(VALU_DEP_2)
	v_add_f64 v[11:12], v[11:12], s[10:11]
	s_mov_b32 s10, 0x804aa9a6
	s_mov_b32 s11, 0xbf1cfd7f
	v_fma_f64 v[20:21], v[18:19], v[20:21], s[8:9]
	s_mov_b32 s8, 0x11122322
	s_mov_b32 s9, 0x3f811111
	s_delay_alu instid0(VALU_DEP_2) | instskip(NEXT) | instid1(VALU_DEP_2)
	v_fma_f64 v[13:14], v[7:8], v[11:12], -v[13:14]
	v_fma_f64 v[20:21], v[18:19], v[20:21], s[8:9]
	s_mov_b32 s8, 0x555502a1
	s_mov_b32 s9, 0x3fa55555
	s_delay_alu instid0(VALU_DEP_2) | instskip(SKIP_2) | instid1(VALU_DEP_2)
	v_add_f64 v[13:14], v[13:14], s[10:11]
	s_mov_b32 s10, 0x53fcdb4c
	s_mov_b32 s11, 0xbf83fda0
	v_fma_f64 v[20:21], v[18:19], v[20:21], s[8:9]
	s_mov_b32 s8, 0x55555511
	s_mov_b32 s9, 0x3fc55555
	s_delay_alu instid0(VALU_DEP_2) | instskip(NEXT) | instid1(VALU_DEP_2)
	v_fma_f64 v[11:12], v[7:8], v[13:14], -v[11:12]
	v_fma_f64 v[20:21], v[18:19], v[20:21], s[8:9]
	s_mov_b32 s8, 11
	s_mov_b32 s9, 0x3fe00000
	s_delay_alu instid0(VALU_DEP_2) | instskip(SKIP_2) | instid1(VALU_DEP_1)
	v_add_f64 v[11:12], v[11:12], s[10:11]
	s_mov_b32 s10, 0xb55b1514
	s_mov_b32 s11, 0x3fe8ea18
	v_fma_f64 v[7:8], v[7:8], v[11:12], -v[13:14]
	s_delay_alu instid0(VALU_DEP_3) | instskip(SKIP_1) | instid1(VALU_DEP_2)
	v_fma_f64 v[11:12], v[18:19], v[20:21], s[8:9]
	s_mov_b32 s8, exec_lo
	v_add_f64 v[7:8], v[7:8], s[10:11]
	s_delay_alu instid0(VALU_DEP_2) | instskip(NEXT) | instid1(VALU_DEP_2)
	v_fma_f64 v[11:12], v[18:19], v[11:12], 1.0
	v_add_f64 v[7:8], v[7:8], -v[13:14]
	s_delay_alu instid0(VALU_DEP_2) | instskip(NEXT) | instid1(VALU_DEP_2)
	v_fma_f64 v[13:14], v[18:19], v[11:12], 1.0
	v_mul_f64 v[11:12], v[7:8], 0.5
	v_cmpx_ngt_f64_e32 0, v[9:10]
	s_xor_b32 s8, exec_lo, s8
	s_cbranch_execz .LBB5_24
; %bb.23:
	v_cmp_gt_f64_e64 s9, 0x10000000, |v[9:10]|
	s_delay_alu instid0(VALU_DEP_4) | instskip(SKIP_1) | instid1(VALU_DEP_3)
	v_ldexp_f64 v[13:14], v[13:14], v16
	v_cmp_nlt_f64_e64 vcc_lo, 0x40900000, |v[9:10]|
	v_cndmask_b32_e64 v7, 0, 1, s9
	v_cndmask_b32_e64 v16, 0, 0xffffff80, s9
	s_delay_alu instid0(VALU_DEP_2) | instskip(NEXT) | instid1(VALU_DEP_1)
	v_dual_cndmask_b32 v14, 0x7ff00000, v14 :: v_dual_lshlrev_b32 v7, 8, v7
	v_ldexp_f64 v[7:8], |v[9:10]|, v7
	s_delay_alu instid0(VALU_DEP_1) | instskip(SKIP_3) | instid1(VALU_DEP_1)
	v_rsq_f64_e32 v[17:18], v[7:8]
	s_waitcnt_depctr 0xfff
	v_mul_f64 v[19:20], v[7:8], v[17:18]
	v_mul_f64 v[17:18], v[17:18], 0.5
	v_fma_f64 v[21:22], -v[17:18], v[19:20], 0.5
	s_delay_alu instid0(VALU_DEP_1) | instskip(SKIP_1) | instid1(VALU_DEP_2)
	v_fma_f64 v[19:20], v[19:20], v[21:22], v[19:20]
	v_fma_f64 v[17:18], v[17:18], v[21:22], v[17:18]
	v_fma_f64 v[21:22], -v[19:20], v[19:20], v[7:8]
	s_delay_alu instid0(VALU_DEP_1) | instskip(NEXT) | instid1(VALU_DEP_1)
	v_fma_f64 v[19:20], v[21:22], v[17:18], v[19:20]
	v_fma_f64 v[21:22], -v[19:20], v[19:20], v[7:8]
	s_delay_alu instid0(VALU_DEP_1) | instskip(NEXT) | instid1(VALU_DEP_1)
	v_fma_f64 v[9:10], v[21:22], v[17:18], v[19:20]
	v_ldexp_f64 v[9:10], v[9:10], v16
	v_cndmask_b32_e32 v13, 0, v13, vcc_lo
	v_cmp_class_f64_e64 vcc_lo, v[7:8], 0x260
	s_delay_alu instid0(VALU_DEP_3) | instskip(NEXT) | instid1(VALU_DEP_3)
	v_cndmask_b32_e32 v8, v10, v8, vcc_lo
	v_mul_f64 v[11:12], v[13:14], v[11:12]
	v_cndmask_b32_e32 v7, v9, v7, vcc_lo
	s_delay_alu instid0(VALU_DEP_1) | instskip(NEXT) | instid1(VALU_DEP_1)
	v_div_scale_f64 v[9:10], null, v[7:8], v[7:8], v[11:12]
	v_rcp_f64_e32 v[13:14], v[9:10]
	s_waitcnt_depctr 0xfff
	v_fma_f64 v[16:17], -v[9:10], v[13:14], 1.0
	s_delay_alu instid0(VALU_DEP_1) | instskip(NEXT) | instid1(VALU_DEP_1)
	v_fma_f64 v[13:14], v[13:14], v[16:17], v[13:14]
	v_fma_f64 v[16:17], -v[9:10], v[13:14], 1.0
	s_delay_alu instid0(VALU_DEP_1) | instskip(SKIP_1) | instid1(VALU_DEP_1)
	v_fma_f64 v[13:14], v[13:14], v[16:17], v[13:14]
	v_div_scale_f64 v[16:17], vcc_lo, v[11:12], v[7:8], v[11:12]
	v_mul_f64 v[18:19], v[16:17], v[13:14]
	s_delay_alu instid0(VALU_DEP_1) | instskip(NEXT) | instid1(VALU_DEP_1)
	v_fma_f64 v[9:10], -v[9:10], v[18:19], v[16:17]
                                        ; implicit-def: $vgpr16
	v_div_fmas_f64 v[9:10], v[9:10], v[13:14], v[18:19]
                                        ; implicit-def: $vgpr13_vgpr14
	s_delay_alu instid0(VALU_DEP_1)
	v_div_fixup_f64 v[7:8], v[9:10], v[7:8], v[11:12]
                                        ; implicit-def: $vgpr9_vgpr10
                                        ; implicit-def: $vgpr11_vgpr12
.LBB5_24:
	s_and_not1_saveexec_b32 s8, s8
	s_cbranch_execz .LBB5_26
; %bb.25:
	v_cmp_gt_f64_e64 s9, 0x10000000, |v[9:10]|
	s_delay_alu instid0(VALU_DEP_4) | instskip(SKIP_1) | instid1(VALU_DEP_3)
	v_ldexp_f64 v[13:14], -v[13:14], v16
	v_cmp_nlt_f64_e64 vcc_lo, 0x40900000, |v[9:10]|
	v_cndmask_b32_e64 v7, 0, 1, s9
	v_cndmask_b32_e64 v16, 0, 0xffffff80, s9
	s_delay_alu instid0(VALU_DEP_2) | instskip(NEXT) | instid1(VALU_DEP_1)
	v_dual_cndmask_b32 v14, 0xfff00000, v14 :: v_dual_lshlrev_b32 v7, 8, v7
	v_ldexp_f64 v[7:8], |v[9:10]|, v7
	s_delay_alu instid0(VALU_DEP_1) | instskip(SKIP_3) | instid1(VALU_DEP_1)
	v_rsq_f64_e32 v[17:18], v[7:8]
	s_waitcnt_depctr 0xfff
	v_mul_f64 v[19:20], v[7:8], v[17:18]
	v_mul_f64 v[17:18], v[17:18], 0.5
	v_fma_f64 v[21:22], -v[17:18], v[19:20], 0.5
	s_delay_alu instid0(VALU_DEP_1) | instskip(SKIP_1) | instid1(VALU_DEP_2)
	v_fma_f64 v[19:20], v[19:20], v[21:22], v[19:20]
	v_fma_f64 v[17:18], v[17:18], v[21:22], v[17:18]
	v_fma_f64 v[21:22], -v[19:20], v[19:20], v[7:8]
	s_delay_alu instid0(VALU_DEP_1) | instskip(NEXT) | instid1(VALU_DEP_1)
	v_fma_f64 v[19:20], v[21:22], v[17:18], v[19:20]
	v_fma_f64 v[21:22], -v[19:20], v[19:20], v[7:8]
	s_delay_alu instid0(VALU_DEP_1) | instskip(NEXT) | instid1(VALU_DEP_1)
	v_fma_f64 v[9:10], v[21:22], v[17:18], v[19:20]
	v_ldexp_f64 v[9:10], v[9:10], v16
	v_cndmask_b32_e32 v13, 0, v13, vcc_lo
	v_cmp_class_f64_e64 vcc_lo, v[7:8], 0x260
	s_delay_alu instid0(VALU_DEP_3) | instskip(NEXT) | instid1(VALU_DEP_3)
	v_cndmask_b32_e32 v8, v10, v8, vcc_lo
	v_mul_f64 v[11:12], v[13:14], v[11:12]
	v_cndmask_b32_e32 v7, v9, v7, vcc_lo
	s_delay_alu instid0(VALU_DEP_1) | instskip(NEXT) | instid1(VALU_DEP_1)
	v_div_scale_f64 v[9:10], null, v[7:8], v[7:8], v[11:12]
	v_rcp_f64_e32 v[13:14], v[9:10]
	s_waitcnt_depctr 0xfff
	v_fma_f64 v[16:17], -v[9:10], v[13:14], 1.0
	s_delay_alu instid0(VALU_DEP_1) | instskip(NEXT) | instid1(VALU_DEP_1)
	v_fma_f64 v[13:14], v[13:14], v[16:17], v[13:14]
	v_fma_f64 v[16:17], -v[9:10], v[13:14], 1.0
	s_delay_alu instid0(VALU_DEP_1) | instskip(SKIP_1) | instid1(VALU_DEP_1)
	v_fma_f64 v[13:14], v[13:14], v[16:17], v[13:14]
	v_div_scale_f64 v[16:17], vcc_lo, v[11:12], v[7:8], v[11:12]
	v_mul_f64 v[18:19], v[16:17], v[13:14]
	s_delay_alu instid0(VALU_DEP_1) | instskip(NEXT) | instid1(VALU_DEP_1)
	v_fma_f64 v[9:10], -v[9:10], v[18:19], v[16:17]
	v_div_fmas_f64 v[9:10], v[9:10], v[13:14], v[18:19]
	s_delay_alu instid0(VALU_DEP_1)
	v_div_fixup_f64 v[7:8], v[9:10], v[7:8], v[11:12]
.LBB5_26:
	s_or_b32 exec_lo, exec_lo, s8
.LBB5_27:
	s_delay_alu instid0(SALU_CYCLE_1) | instskip(SKIP_2) | instid1(VALU_DEP_1)
	s_or_b32 exec_lo, exec_lo, s7
	s_waitcnt vmcnt(0)
	v_cmp_ge_f64_e64 s7, 0x40200000, |v[1:2]|
                                        ; implicit-def: $vgpr9_vgpr10
	s_and_saveexec_b32 s8, s7
	s_delay_alu instid0(SALU_CYCLE_1)
	s_xor_b32 s7, exec_lo, s8
	s_cbranch_execz .LBB5_33
; %bb.28:
	v_fma_f64 v[9:10], |v[1:2]|, 0.5, -2.0
	s_mov_b32 s8, 0xc38a0576
	s_mov_b32 s9, 0xbc7857d0
	;; [unrolled: 1-line block ×4, first 2 shown]
	s_delay_alu instid0(VALU_DEP_1) | instid1(SALU_CYCLE_1)
	v_fma_f64 v[11:12], v[9:10], s[10:11], s[8:9]
	s_mov_b32 s11, 0xbc499f2a
	s_mov_b32 s8, 0xe593bfac
	;; [unrolled: 1-line block ×3, first 2 shown]
	s_delay_alu instid0(VALU_DEP_1) | instskip(NEXT) | instid1(VALU_DEP_1)
	v_fma_f64 v[13:14], v[9:10], v[11:12], s[10:11]
	v_add_f64 v[13:14], v[13:14], s[8:9]
	s_mov_b32 s8, 0x7e0d1573
	s_mov_b32 s9, 0xbcd3eaaa
	s_delay_alu instid0(VALU_DEP_1) | instskip(NEXT) | instid1(VALU_DEP_1)
	v_fma_f64 v[11:12], v[9:10], v[13:14], -v[11:12]
	v_add_f64 v[11:12], v[11:12], s[8:9]
	s_mov_b32 s8, 0x615290c
	s_mov_b32 s9, 0x3d011d7f
	s_delay_alu instid0(VALU_DEP_1) | instskip(NEXT) | instid1(VALU_DEP_1)
	v_fma_f64 v[13:14], v[9:10], v[11:12], -v[13:14]
	v_add_f64 v[13:14], v[13:14], s[8:9]
	s_mov_b32 s8, 0x1c8f0b3b
	s_mov_b32 s9, 0xbd2c628e
	s_delay_alu instid0(VALU_DEP_1) | instskip(NEXT) | instid1(VALU_DEP_1)
	v_fma_f64 v[11:12], v[9:10], v[13:14], -v[11:12]
	v_add_f64 v[11:12], v[11:12], s[8:9]
	s_mov_b32 s8, 0x4779d955
	s_mov_b32 s9, 0x3d56af78
	s_delay_alu instid0(VALU_DEP_1) | instskip(NEXT) | instid1(VALU_DEP_1)
	v_fma_f64 v[13:14], v[9:10], v[11:12], -v[13:14]
	v_add_f64 v[13:14], v[13:14], s[8:9]
	s_mov_b32 s8, 0x5fb70366
	s_mov_b32 s9, 0xbd817383
	s_delay_alu instid0(VALU_DEP_1) | instskip(NEXT) | instid1(VALU_DEP_1)
	v_fma_f64 v[11:12], v[9:10], v[13:14], -v[11:12]
	v_add_f64 v[11:12], v[11:12], s[8:9]
	s_mov_b32 s8, 0xb21d3154
	s_mov_b32 s9, 0x3da9cee2
	s_delay_alu instid0(VALU_DEP_1) | instskip(NEXT) | instid1(VALU_DEP_1)
	v_fma_f64 v[13:14], v[9:10], v[11:12], -v[13:14]
	v_add_f64 v[13:14], v[13:14], s[8:9]
	s_mov_b32 s8, 0x97eb07de
	s_mov_b32 s9, 0xbdd25103
	s_delay_alu instid0(VALU_DEP_1) | instskip(NEXT) | instid1(VALU_DEP_1)
	v_fma_f64 v[11:12], v[9:10], v[13:14], -v[11:12]
	v_add_f64 v[11:12], v[11:12], s[8:9]
	s_mov_b32 s8, 0xb43fdf6c
	s_mov_b32 s9, 0x3df8ea34
	s_delay_alu instid0(VALU_DEP_1) | instskip(NEXT) | instid1(VALU_DEP_1)
	v_fma_f64 v[13:14], v[9:10], v[11:12], -v[13:14]
	v_add_f64 v[13:14], v[13:14], s[8:9]
	s_mov_b32 s8, 0x28ea67e6
	s_mov_b32 s9, 0xbe20361b
	s_delay_alu instid0(VALU_DEP_1) | instskip(NEXT) | instid1(VALU_DEP_1)
	v_fma_f64 v[11:12], v[9:10], v[13:14], -v[11:12]
	v_add_f64 v[11:12], v[11:12], s[8:9]
	s_mov_b32 s8, 0x2395010
	s_mov_b32 s9, 0x3e44258e
	s_delay_alu instid0(VALU_DEP_1) | instskip(NEXT) | instid1(VALU_DEP_1)
	v_fma_f64 v[13:14], v[9:10], v[11:12], -v[13:14]
	v_add_f64 v[13:14], v[13:14], s[8:9]
	s_mov_b32 s8, 0x24b8c3e8
	s_mov_b32 s9, 0xbe67dd3e
	s_delay_alu instid0(VALU_DEP_1) | instskip(NEXT) | instid1(VALU_DEP_1)
	v_fma_f64 v[11:12], v[9:10], v[13:14], -v[11:12]
	v_add_f64 v[11:12], v[11:12], s[8:9]
	s_mov_b32 s8, 0xb347d108
	s_mov_b32 s9, 0x3e8ae344
	s_delay_alu instid0(VALU_DEP_1) | instskip(NEXT) | instid1(VALU_DEP_1)
	v_fma_f64 v[13:14], v[9:10], v[11:12], -v[13:14]
	v_add_f64 v[13:14], v[13:14], s[8:9]
	s_mov_b32 s8, 0x8363992a
	s_mov_b32 s9, 0xbeacc079
	s_delay_alu instid0(VALU_DEP_1) | instskip(NEXT) | instid1(VALU_DEP_1)
	v_fma_f64 v[11:12], v[9:10], v[13:14], -v[11:12]
	v_add_f64 v[11:12], v[11:12], s[8:9]
	s_mov_b32 s8, 0xd511afc5
	s_mov_b32 s9, 0x3ecd1c4e
	s_delay_alu instid0(VALU_DEP_1) | instskip(NEXT) | instid1(VALU_DEP_1)
	v_fma_f64 v[13:14], v[9:10], v[11:12], -v[13:14]
	v_add_f64 v[13:14], v[13:14], s[8:9]
	s_mov_b32 s8, 0xb8debbcf
	s_mov_b32 s9, 0xbeebd5f9
	s_delay_alu instid0(VALU_DEP_1) | instskip(NEXT) | instid1(VALU_DEP_1)
	v_fma_f64 v[11:12], v[9:10], v[13:14], -v[11:12]
	v_add_f64 v[11:12], v[11:12], s[8:9]
	s_mov_b32 s8, 0x42c70d0b
	s_mov_b32 s9, 0x3f0911b5
	s_delay_alu instid0(VALU_DEP_1) | instskip(NEXT) | instid1(VALU_DEP_1)
	v_fma_f64 v[13:14], v[9:10], v[11:12], -v[13:14]
	v_add_f64 v[13:14], v[13:14], s[8:9]
	s_mov_b32 s8, 0xd3d694fe
	s_mov_b32 s9, 0xbf2533ca
	s_delay_alu instid0(VALU_DEP_1) | instskip(NEXT) | instid1(VALU_DEP_1)
	v_fma_f64 v[11:12], v[9:10], v[13:14], -v[11:12]
	v_add_f64 v[11:12], v[11:12], s[8:9]
	s_mov_b32 s8, 0xb6c6df7d
	s_mov_b32 s9, 0x3f40c95d
	s_delay_alu instid0(VALU_DEP_1) | instskip(NEXT) | instid1(VALU_DEP_1)
	v_fma_f64 v[13:14], v[9:10], v[11:12], -v[13:14]
	v_add_f64 v[13:14], v[13:14], s[8:9]
	s_mov_b32 s8, 0xb3cd4a4
	s_mov_b32 s9, 0xbf58cc62
	s_delay_alu instid0(VALU_DEP_1) | instskip(NEXT) | instid1(VALU_DEP_1)
	v_fma_f64 v[11:12], v[9:10], v[13:14], -v[11:12]
	v_add_f64 v[11:12], v[11:12], s[8:9]
	s_mov_b32 s8, 0x49d3a1b4
	s_mov_b32 s9, 0x3f710653
	s_delay_alu instid0(VALU_DEP_1) | instskip(NEXT) | instid1(VALU_DEP_1)
	v_fma_f64 v[13:14], v[9:10], v[11:12], -v[13:14]
	v_add_f64 v[13:14], v[13:14], s[8:9]
	s_mov_b32 s8, 0x7913a26a
	s_mov_b32 s9, 0xbf85a29f
	s_delay_alu instid0(VALU_DEP_1) | instskip(NEXT) | instid1(VALU_DEP_1)
	v_fma_f64 v[11:12], v[9:10], v[13:14], -v[11:12]
	v_add_f64 v[11:12], v[11:12], s[8:9]
	s_mov_b32 s8, 0xe7bb2349
	s_mov_b32 s9, 0x3f9951e3
	s_delay_alu instid0(VALU_DEP_1) | instskip(NEXT) | instid1(VALU_DEP_1)
	v_fma_f64 v[13:14], v[9:10], v[11:12], -v[13:14]
	v_add_f64 v[13:14], v[13:14], s[8:9]
	s_mov_b32 s8, 0x537c9ebc
	s_mov_b32 s9, 0xbfab1bbc
	s_delay_alu instid0(VALU_DEP_1) | instskip(NEXT) | instid1(VALU_DEP_1)
	v_fma_f64 v[11:12], v[9:10], v[13:14], -v[11:12]
	v_add_f64 v[11:12], v[11:12], s[8:9]
	s_mov_b32 s8, 0xd536f53c
	s_mov_b32 s9, 0x3fba46da
	s_delay_alu instid0(VALU_DEP_1) | instskip(NEXT) | instid1(VALU_DEP_1)
	v_fma_f64 v[13:14], v[9:10], v[11:12], -v[13:14]
	v_add_f64 v[13:14], v[13:14], s[8:9]
	s_mov_b32 s8, 0x469192e
	s_mov_b32 s9, 0xbfc694d1
	s_delay_alu instid0(VALU_DEP_1) | instskip(NEXT) | instid1(VALU_DEP_1)
	v_fma_f64 v[11:12], v[9:10], v[13:14], -v[11:12]
	v_add_f64 v[11:12], v[11:12], s[8:9]
	s_mov_b32 s8, 0x724a7ffa
	s_mov_b32 s9, 0x3fd02a63
	s_delay_alu instid0(VALU_DEP_1) | instskip(NEXT) | instid1(VALU_DEP_1)
	v_fma_f64 v[9:10], v[9:10], v[11:12], -v[13:14]
	v_add_f64 v[9:10], v[9:10], s[8:9]
	s_mov_b32 s8, exec_lo
	s_delay_alu instid0(VALU_DEP_1)
	v_add_f64 v[11:12], v[9:10], -v[13:14]
                                        ; implicit-def: $vgpr9_vgpr10
	v_cmpx_ngt_f64_e32 0, v[1:2]
	s_xor_b32 s8, exec_lo, s8
	s_cbranch_execz .LBB5_30
; %bb.29:
	s_mov_b32 s10, 0x652b82fe
	s_mov_b32 s11, 0x3ff71547
	;; [unrolled: 1-line block ×3, first 2 shown]
	v_mul_f64 v[9:10], |v[1:2]|, s[10:11]
	s_mov_b32 s10, 0xfefa39ef
	s_mov_b32 s11, 0xbfe62e42
	;; [unrolled: 1-line block ×3, first 2 shown]
	s_delay_alu instid0(VALU_DEP_3) | instskip(SKIP_1) | instid1(VALU_DEP_3)
	v_mul_f64 v[11:12], v[11:12], 0.5
	v_cmp_nlt_f64_e64 vcc_lo, 0x40900000, |v[1:2]|
	v_rndne_f64_e32 v[9:10], v[9:10]
	s_delay_alu instid0(VALU_DEP_1) | instskip(SKIP_4) | instid1(VALU_DEP_3)
	v_fma_f64 v[13:14], v[9:10], s[10:11], |v[1:2]|
	s_mov_b32 s10, 0x3b39803f
	s_mov_b32 s11, 0xbc7abc9e
	v_cvt_i32_f64_e32 v18, v[9:10]
	v_mul_f64 v[1:2], |v[1:2]|, v[11:12]
                                        ; implicit-def: $vgpr11_vgpr12
	v_fma_f64 v[13:14], v[9:10], s[10:11], v[13:14]
	s_mov_b32 s10, 0xfca7ab0c
	s_mov_b32 s11, 0x3e928af3
	s_delay_alu instid0(VALU_DEP_1) | instid1(SALU_CYCLE_1)
	v_fma_f64 v[16:17], v[13:14], s[12:13], s[10:11]
	s_mov_b32 s10, 0x623fde64
	s_mov_b32 s11, 0x3ec71dee
	s_delay_alu instid0(VALU_DEP_1) | instid1(SALU_CYCLE_1)
	;; [unrolled: 4-line block ×9, first 2 shown]
	v_fma_f64 v[16:17], v[13:14], v[16:17], s[10:11]
	s_delay_alu instid0(VALU_DEP_1) | instskip(NEXT) | instid1(VALU_DEP_1)
	v_fma_f64 v[16:17], v[13:14], v[16:17], 1.0
	v_fma_f64 v[9:10], v[13:14], v[16:17], 1.0
	s_delay_alu instid0(VALU_DEP_1) | instskip(NEXT) | instid1(VALU_DEP_1)
	v_ldexp_f64 v[9:10], v[9:10], v18
	v_cndmask_b32_e32 v10, 0x7ff00000, v10, vcc_lo
	s_delay_alu instid0(VALU_DEP_2) | instskip(NEXT) | instid1(VALU_DEP_1)
	v_cndmask_b32_e32 v9, 0, v9, vcc_lo
	v_mul_f64 v[9:10], v[9:10], v[1:2]
.LBB5_30:
	s_and_not1_saveexec_b32 s8, s8
	s_cbranch_execz .LBB5_32
; %bb.31:
	s_mov_b32 s10, 0x652b82fe
	s_mov_b32 s11, 0x3ff71547
	s_mov_b32 s12, 0x6a5dcb37
	v_mul_f64 v[9:10], |v[1:2]|, s[10:11]
	s_mov_b32 s10, 0xfefa39ef
	s_mov_b32 s11, 0xbfe62e42
	;; [unrolled: 1-line block ×3, first 2 shown]
	s_delay_alu instid0(VALU_DEP_3) | instskip(SKIP_1) | instid1(VALU_DEP_3)
	v_mul_f64 v[11:12], v[11:12], -0.5
	v_cmp_nlt_f64_e64 vcc_lo, 0x40900000, |v[1:2]|
	v_rndne_f64_e32 v[9:10], v[9:10]
	s_delay_alu instid0(VALU_DEP_1) | instskip(SKIP_4) | instid1(VALU_DEP_3)
	v_fma_f64 v[13:14], v[9:10], s[10:11], |v[1:2]|
	s_mov_b32 s10, 0x3b39803f
	s_mov_b32 s11, 0xbc7abc9e
	v_cvt_i32_f64_e32 v18, v[9:10]
	v_mul_f64 v[1:2], |v[1:2]|, v[11:12]
	v_fma_f64 v[13:14], v[9:10], s[10:11], v[13:14]
	s_mov_b32 s10, 0xfca7ab0c
	s_mov_b32 s11, 0x3e928af3
	s_delay_alu instid0(VALU_DEP_1) | instid1(SALU_CYCLE_1)
	v_fma_f64 v[16:17], v[13:14], s[12:13], s[10:11]
	s_mov_b32 s10, 0x623fde64
	s_mov_b32 s11, 0x3ec71dee
	s_delay_alu instid0(VALU_DEP_1) | instid1(SALU_CYCLE_1)
	;; [unrolled: 4-line block ×9, first 2 shown]
	v_fma_f64 v[16:17], v[13:14], v[16:17], s[10:11]
	s_delay_alu instid0(VALU_DEP_1) | instskip(NEXT) | instid1(VALU_DEP_1)
	v_fma_f64 v[16:17], v[13:14], v[16:17], 1.0
	v_fma_f64 v[9:10], v[13:14], v[16:17], 1.0
	s_delay_alu instid0(VALU_DEP_1) | instskip(NEXT) | instid1(VALU_DEP_1)
	v_ldexp_f64 v[9:10], v[9:10], v18
	v_cndmask_b32_e32 v10, 0x7ff00000, v10, vcc_lo
	s_delay_alu instid0(VALU_DEP_2) | instskip(NEXT) | instid1(VALU_DEP_1)
	v_cndmask_b32_e32 v9, 0, v9, vcc_lo
	v_mul_f64 v[9:10], v[9:10], v[1:2]
.LBB5_32:
	s_or_b32 exec_lo, exec_lo, s8
.LBB5_33:
	s_and_not1_saveexec_b32 s7, s7
	s_cbranch_execz .LBB5_39
; %bb.34:
	v_dual_mov_b32 v9, v1 :: v_dual_and_b32 v10, 0x7fffffff, v2
	s_mov_b32 s8, 0xea87b950
	s_mov_b32 s9, 0x3c545b8a
	;; [unrolled: 1-line block ×4, first 2 shown]
	v_div_scale_f64 v[11:12], null, v[9:10], v[9:10], 0x40400000
	v_div_scale_f64 v[9:10], vcc_lo, 0x40400000, v[9:10], 0x40400000
	s_mov_b32 s12, 0x2e9e5443
	s_mov_b32 s13, 0xbe90dbfd
	s_delay_alu instid0(VALU_DEP_2) | instskip(SKIP_2) | instid1(VALU_DEP_1)
	v_rcp_f64_e32 v[13:14], v[11:12]
	s_waitcnt_depctr 0xfff
	v_fma_f64 v[16:17], -v[11:12], v[13:14], 1.0
	v_fma_f64 v[13:14], v[13:14], v[16:17], v[13:14]
	s_delay_alu instid0(VALU_DEP_1) | instskip(NEXT) | instid1(VALU_DEP_1)
	v_fma_f64 v[16:17], -v[11:12], v[13:14], 1.0
	v_fma_f64 v[13:14], v[13:14], v[16:17], v[13:14]
	s_delay_alu instid0(VALU_DEP_1) | instskip(NEXT) | instid1(VALU_DEP_1)
	v_mul_f64 v[16:17], v[9:10], v[13:14]
	v_fma_f64 v[9:10], -v[11:12], v[16:17], v[9:10]
	s_delay_alu instid0(VALU_DEP_1) | instskip(NEXT) | instid1(VALU_DEP_1)
	v_div_fmas_f64 v[9:10], v[9:10], v[13:14], v[16:17]
	v_div_fixup_f64 v[9:10], v[9:10], |v[1:2]|, 0x40400000
	s_delay_alu instid0(VALU_DEP_1) | instskip(NEXT) | instid1(VALU_DEP_1)
	v_add_f64 v[9:10], v[9:10], -2.0
	v_fma_f64 v[11:12], v[9:10], s[10:11], s[8:9]
	s_mov_b32 s11, 0xbc61556d
	s_mov_b32 s8, 0xb2532277
	;; [unrolled: 1-line block ×3, first 2 shown]
	s_delay_alu instid0(VALU_DEP_1) | instskip(SKIP_2) | instid1(VALU_DEP_1)
	v_fma_f64 v[13:14], v[9:10], v[11:12], s[10:11]
	s_mov_b32 s10, 0x9ad53528
	s_mov_b32 s11, 0xbe30790b
	v_add_f64 v[13:14], v[13:14], s[8:9]
	s_mov_b32 s8, 0x9c773320
	s_mov_b32 s9, 0xbc82806c
	s_delay_alu instid0(VALU_DEP_1) | instskip(NEXT) | instid1(VALU_DEP_1)
	v_fma_f64 v[11:12], v[9:10], v[13:14], -v[11:12]
	v_add_f64 v[11:12], v[11:12], s[8:9]
	s_mov_b32 s8, 0xfceb588a
	s_mov_b32 s9, 0x3cb55915
	s_delay_alu instid0(VALU_DEP_1) | instskip(NEXT) | instid1(VALU_DEP_1)
	v_fma_f64 v[13:14], v[9:10], v[11:12], -v[13:14]
	;; [unrolled: 5-line block ×15, first 2 shown]
	v_add_f64 v[11:12], v[11:12], s[8:9]
	s_mov_b32 s8, 0x652b82fe
	s_mov_b32 s9, 0x3ff71547
	s_delay_alu instid0(SALU_CYCLE_1) | instskip(SKIP_2) | instid1(VALU_DEP_2)
	v_mul_f64 v[16:17], |v[1:2]|, s[8:9]
	s_mov_b32 s8, 0xfefa39ef
	s_mov_b32 s9, 0xbfe62e42
	v_fma_f64 v[13:14], v[9:10], v[11:12], -v[13:14]
	s_delay_alu instid0(VALU_DEP_2) | instskip(NEXT) | instid1(VALU_DEP_2)
	v_rndne_f64_e32 v[16:17], v[16:17]
	v_add_f64 v[13:14], v[13:14], s[10:11]
	s_mov_b32 s10, 0x94bb46c1
	s_mov_b32 s11, 0xbe5c4153
	s_delay_alu instid0(VALU_DEP_2) | instskip(SKIP_2) | instid1(VALU_DEP_2)
	v_fma_f64 v[18:19], v[16:17], s[8:9], |v[1:2]|
	s_mov_b32 s8, 0x3b39803f
	s_mov_b32 s9, 0xbc7abc9e
	v_fma_f64 v[11:12], v[9:10], v[13:14], -v[11:12]
	s_delay_alu instid0(VALU_DEP_2) | instskip(SKIP_3) | instid1(VALU_DEP_3)
	v_fma_f64 v[18:19], v[16:17], s[8:9], v[18:19]
	s_mov_b32 s8, 0xfca7ab0c
	s_mov_b32 s9, 0x3e928af3
	v_cvt_i32_f64_e32 v16, v[16:17]
	v_add_f64 v[11:12], v[11:12], s[10:11]
	s_mov_b32 s10, 0x6a5dcb37
	s_mov_b32 s11, 0x3e5ade15
	s_delay_alu instid0(VALU_DEP_3) | instid1(SALU_CYCLE_1)
	v_fma_f64 v[20:21], v[18:19], s[10:11], s[8:9]
	s_mov_b32 s8, 0x623fde64
	s_mov_b32 s9, 0x3ec71dee
	;; [unrolled: 1-line block ×4, first 2 shown]
	s_delay_alu instid0(VALU_DEP_2) | instskip(NEXT) | instid1(VALU_DEP_2)
	v_fma_f64 v[13:14], v[9:10], v[11:12], -v[13:14]
	v_fma_f64 v[20:21], v[18:19], v[20:21], s[8:9]
	s_mov_b32 s8, 0x7c89e6b0
	s_mov_b32 s9, 0x3efa0199
	s_delay_alu instid0(VALU_DEP_2) | instskip(NEXT) | instid1(VALU_DEP_2)
	v_add_f64 v[13:14], v[13:14], s[12:13]
	v_fma_f64 v[20:21], v[18:19], v[20:21], s[8:9]
	s_mov_b32 s8, 0x14761f6e
	s_mov_b32 s9, 0x3f2a01a0
	s_delay_alu instid0(VALU_DEP_2) | instskip(NEXT) | instid1(VALU_DEP_2)
	v_fma_f64 v[11:12], v[9:10], v[13:14], -v[11:12]
	v_fma_f64 v[20:21], v[18:19], v[20:21], s[8:9]
	s_mov_b32 s8, 0x1852b7b0
	s_mov_b32 s9, 0x3f56c16c
	s_delay_alu instid0(VALU_DEP_2) | instskip(SKIP_2) | instid1(VALU_DEP_2)
	v_add_f64 v[11:12], v[11:12], s[10:11]
	s_mov_b32 s10, 0x804aa9a6
	s_mov_b32 s11, 0xbf1cfd7f
	v_fma_f64 v[20:21], v[18:19], v[20:21], s[8:9]
	s_mov_b32 s8, 0x11122322
	s_mov_b32 s9, 0x3f811111
	s_delay_alu instid0(VALU_DEP_2) | instskip(NEXT) | instid1(VALU_DEP_2)
	v_fma_f64 v[13:14], v[9:10], v[11:12], -v[13:14]
	v_fma_f64 v[20:21], v[18:19], v[20:21], s[8:9]
	s_mov_b32 s8, 0x555502a1
	s_mov_b32 s9, 0x3fa55555
	s_delay_alu instid0(VALU_DEP_2) | instskip(SKIP_2) | instid1(VALU_DEP_2)
	v_add_f64 v[13:14], v[13:14], s[10:11]
	s_mov_b32 s10, 0x53fcdb4c
	s_mov_b32 s11, 0xbf83fda0
	v_fma_f64 v[20:21], v[18:19], v[20:21], s[8:9]
	s_mov_b32 s8, 0x55555511
	s_mov_b32 s9, 0x3fc55555
	s_delay_alu instid0(VALU_DEP_2) | instskip(NEXT) | instid1(VALU_DEP_2)
	v_fma_f64 v[11:12], v[9:10], v[13:14], -v[11:12]
	v_fma_f64 v[20:21], v[18:19], v[20:21], s[8:9]
	s_mov_b32 s8, 11
	s_mov_b32 s9, 0x3fe00000
	s_delay_alu instid0(VALU_DEP_2) | instskip(SKIP_2) | instid1(VALU_DEP_1)
	v_add_f64 v[11:12], v[11:12], s[10:11]
	s_mov_b32 s10, 0xb55b1514
	s_mov_b32 s11, 0x3fe8ea18
	v_fma_f64 v[9:10], v[9:10], v[11:12], -v[13:14]
	s_delay_alu instid0(VALU_DEP_3) | instskip(SKIP_1) | instid1(VALU_DEP_2)
	v_fma_f64 v[11:12], v[18:19], v[20:21], s[8:9]
	s_mov_b32 s8, exec_lo
	v_add_f64 v[9:10], v[9:10], s[10:11]
	s_delay_alu instid0(VALU_DEP_2) | instskip(NEXT) | instid1(VALU_DEP_2)
	v_fma_f64 v[11:12], v[18:19], v[11:12], 1.0
	v_add_f64 v[9:10], v[9:10], -v[13:14]
	s_delay_alu instid0(VALU_DEP_2) | instskip(NEXT) | instid1(VALU_DEP_2)
	v_fma_f64 v[13:14], v[18:19], v[11:12], 1.0
	v_mul_f64 v[11:12], v[9:10], 0.5
                                        ; implicit-def: $vgpr9_vgpr10
	v_cmpx_ngt_f64_e32 0, v[1:2]
	s_xor_b32 s8, exec_lo, s8
	s_cbranch_execz .LBB5_36
; %bb.35:
	v_cmp_gt_f64_e64 s9, 0x10000000, |v[1:2]|
	s_delay_alu instid0(VALU_DEP_4) | instskip(SKIP_1) | instid1(VALU_DEP_3)
	v_ldexp_f64 v[13:14], v[13:14], v16
	v_cmp_nlt_f64_e64 vcc_lo, 0x40900000, |v[1:2]|
	v_cndmask_b32_e64 v9, 0, 1, s9
	v_cndmask_b32_e64 v16, 0, 0xffffff80, s9
	s_delay_alu instid0(VALU_DEP_2) | instskip(NEXT) | instid1(VALU_DEP_1)
	v_dual_cndmask_b32 v14, 0x7ff00000, v14 :: v_dual_lshlrev_b32 v9, 8, v9
	v_ldexp_f64 v[9:10], |v[1:2]|, v9
	s_delay_alu instid0(VALU_DEP_1) | instskip(SKIP_3) | instid1(VALU_DEP_1)
	v_rsq_f64_e32 v[17:18], v[9:10]
	s_waitcnt_depctr 0xfff
	v_mul_f64 v[19:20], v[9:10], v[17:18]
	v_mul_f64 v[17:18], v[17:18], 0.5
	v_fma_f64 v[21:22], -v[17:18], v[19:20], 0.5
	s_delay_alu instid0(VALU_DEP_1) | instskip(SKIP_1) | instid1(VALU_DEP_2)
	v_fma_f64 v[19:20], v[19:20], v[21:22], v[19:20]
	v_fma_f64 v[17:18], v[17:18], v[21:22], v[17:18]
	v_fma_f64 v[21:22], -v[19:20], v[19:20], v[9:10]
	s_delay_alu instid0(VALU_DEP_1) | instskip(NEXT) | instid1(VALU_DEP_1)
	v_fma_f64 v[19:20], v[21:22], v[17:18], v[19:20]
	v_fma_f64 v[21:22], -v[19:20], v[19:20], v[9:10]
	s_delay_alu instid0(VALU_DEP_1) | instskip(NEXT) | instid1(VALU_DEP_1)
	v_fma_f64 v[1:2], v[21:22], v[17:18], v[19:20]
	v_ldexp_f64 v[1:2], v[1:2], v16
	v_cndmask_b32_e32 v13, 0, v13, vcc_lo
	v_cmp_class_f64_e64 vcc_lo, v[9:10], 0x260
	s_delay_alu instid0(VALU_DEP_3) | instskip(NEXT) | instid1(VALU_DEP_3)
	v_cndmask_b32_e32 v2, v2, v10, vcc_lo
	v_mul_f64 v[11:12], v[13:14], v[11:12]
	v_cndmask_b32_e32 v1, v1, v9, vcc_lo
	s_delay_alu instid0(VALU_DEP_1) | instskip(NEXT) | instid1(VALU_DEP_1)
	v_div_scale_f64 v[9:10], null, v[1:2], v[1:2], v[11:12]
	v_rcp_f64_e32 v[13:14], v[9:10]
	s_waitcnt_depctr 0xfff
	v_fma_f64 v[16:17], -v[9:10], v[13:14], 1.0
	s_delay_alu instid0(VALU_DEP_1) | instskip(NEXT) | instid1(VALU_DEP_1)
	v_fma_f64 v[13:14], v[13:14], v[16:17], v[13:14]
	v_fma_f64 v[16:17], -v[9:10], v[13:14], 1.0
	s_delay_alu instid0(VALU_DEP_1) | instskip(SKIP_1) | instid1(VALU_DEP_1)
	v_fma_f64 v[13:14], v[13:14], v[16:17], v[13:14]
	v_div_scale_f64 v[16:17], vcc_lo, v[11:12], v[1:2], v[11:12]
	v_mul_f64 v[18:19], v[16:17], v[13:14]
	s_delay_alu instid0(VALU_DEP_1) | instskip(NEXT) | instid1(VALU_DEP_1)
	v_fma_f64 v[9:10], -v[9:10], v[18:19], v[16:17]
                                        ; implicit-def: $vgpr16
	v_div_fmas_f64 v[9:10], v[9:10], v[13:14], v[18:19]
                                        ; implicit-def: $vgpr13_vgpr14
	s_delay_alu instid0(VALU_DEP_1)
	v_div_fixup_f64 v[9:10], v[9:10], v[1:2], v[11:12]
                                        ; implicit-def: $vgpr11_vgpr12
.LBB5_36:
	s_and_not1_saveexec_b32 s8, s8
	s_cbranch_execz .LBB5_38
; %bb.37:
	v_cmp_gt_f64_e64 s9, 0x10000000, |v[1:2]|
	s_delay_alu instid0(VALU_DEP_4) | instskip(SKIP_1) | instid1(VALU_DEP_3)
	v_ldexp_f64 v[13:14], -v[13:14], v16
	v_cmp_nlt_f64_e64 vcc_lo, 0x40900000, |v[1:2]|
	v_cndmask_b32_e64 v9, 0, 1, s9
	v_cndmask_b32_e64 v16, 0, 0xffffff80, s9
	s_delay_alu instid0(VALU_DEP_2) | instskip(NEXT) | instid1(VALU_DEP_1)
	v_dual_cndmask_b32 v14, 0xfff00000, v14 :: v_dual_lshlrev_b32 v9, 8, v9
	v_ldexp_f64 v[9:10], |v[1:2]|, v9
	s_delay_alu instid0(VALU_DEP_1) | instskip(SKIP_3) | instid1(VALU_DEP_1)
	v_rsq_f64_e32 v[17:18], v[9:10]
	s_waitcnt_depctr 0xfff
	v_mul_f64 v[19:20], v[9:10], v[17:18]
	v_mul_f64 v[17:18], v[17:18], 0.5
	v_fma_f64 v[21:22], -v[17:18], v[19:20], 0.5
	s_delay_alu instid0(VALU_DEP_1) | instskip(SKIP_1) | instid1(VALU_DEP_2)
	v_fma_f64 v[19:20], v[19:20], v[21:22], v[19:20]
	v_fma_f64 v[17:18], v[17:18], v[21:22], v[17:18]
	v_fma_f64 v[21:22], -v[19:20], v[19:20], v[9:10]
	s_delay_alu instid0(VALU_DEP_1) | instskip(NEXT) | instid1(VALU_DEP_1)
	v_fma_f64 v[19:20], v[21:22], v[17:18], v[19:20]
	v_fma_f64 v[21:22], -v[19:20], v[19:20], v[9:10]
	s_delay_alu instid0(VALU_DEP_1) | instskip(NEXT) | instid1(VALU_DEP_1)
	v_fma_f64 v[1:2], v[21:22], v[17:18], v[19:20]
	v_ldexp_f64 v[1:2], v[1:2], v16
	v_cndmask_b32_e32 v13, 0, v13, vcc_lo
	v_cmp_class_f64_e64 vcc_lo, v[9:10], 0x260
	s_delay_alu instid0(VALU_DEP_3) | instskip(NEXT) | instid1(VALU_DEP_3)
	v_cndmask_b32_e32 v2, v2, v10, vcc_lo
	v_mul_f64 v[11:12], v[13:14], v[11:12]
	v_cndmask_b32_e32 v1, v1, v9, vcc_lo
	s_delay_alu instid0(VALU_DEP_1) | instskip(NEXT) | instid1(VALU_DEP_1)
	v_div_scale_f64 v[9:10], null, v[1:2], v[1:2], v[11:12]
	v_rcp_f64_e32 v[13:14], v[9:10]
	s_waitcnt_depctr 0xfff
	v_fma_f64 v[16:17], -v[9:10], v[13:14], 1.0
	s_delay_alu instid0(VALU_DEP_1) | instskip(NEXT) | instid1(VALU_DEP_1)
	v_fma_f64 v[13:14], v[13:14], v[16:17], v[13:14]
	v_fma_f64 v[16:17], -v[9:10], v[13:14], 1.0
	s_delay_alu instid0(VALU_DEP_1) | instskip(SKIP_1) | instid1(VALU_DEP_1)
	v_fma_f64 v[13:14], v[13:14], v[16:17], v[13:14]
	v_div_scale_f64 v[16:17], vcc_lo, v[11:12], v[1:2], v[11:12]
	v_mul_f64 v[18:19], v[16:17], v[13:14]
	s_delay_alu instid0(VALU_DEP_1) | instskip(NEXT) | instid1(VALU_DEP_1)
	v_fma_f64 v[9:10], -v[9:10], v[18:19], v[16:17]
	v_div_fmas_f64 v[9:10], v[9:10], v[13:14], v[18:19]
	s_delay_alu instid0(VALU_DEP_1)
	v_div_fixup_f64 v[9:10], v[9:10], v[1:2], v[11:12]
.LBB5_38:
	s_or_b32 exec_lo, exec_lo, s8
.LBB5_39:
	s_delay_alu instid0(SALU_CYCLE_1) | instskip(SKIP_1) | instid1(VALU_DEP_1)
	s_or_b32 exec_lo, exec_lo, s7
	v_cmp_ge_f64_e64 s7, 0x40200000, |v[3:4]|
	s_and_saveexec_b32 s8, s7
	s_delay_alu instid0(SALU_CYCLE_1)
	s_xor_b32 s7, exec_lo, s8
	s_cbranch_execz .LBB5_45
; %bb.40:
	v_fma_f64 v[1:2], |v[3:4]|, 0.5, -2.0
	s_mov_b32 s8, 0xc38a0576
	s_mov_b32 s9, 0xbc7857d0
	;; [unrolled: 1-line block ×4, first 2 shown]
	s_delay_alu instid0(VALU_DEP_1) | instid1(SALU_CYCLE_1)
	v_fma_f64 v[11:12], v[1:2], s[10:11], s[8:9]
	s_mov_b32 s11, 0xbc499f2a
	s_mov_b32 s8, 0xe593bfac
	;; [unrolled: 1-line block ×3, first 2 shown]
	s_delay_alu instid0(VALU_DEP_1) | instskip(NEXT) | instid1(VALU_DEP_1)
	v_fma_f64 v[13:14], v[1:2], v[11:12], s[10:11]
	v_add_f64 v[13:14], v[13:14], s[8:9]
	s_mov_b32 s8, 0x7e0d1573
	s_mov_b32 s9, 0xbcd3eaaa
	s_delay_alu instid0(VALU_DEP_1) | instskip(NEXT) | instid1(VALU_DEP_1)
	v_fma_f64 v[11:12], v[1:2], v[13:14], -v[11:12]
	v_add_f64 v[11:12], v[11:12], s[8:9]
	s_mov_b32 s8, 0x615290c
	s_mov_b32 s9, 0x3d011d7f
	s_delay_alu instid0(VALU_DEP_1) | instskip(NEXT) | instid1(VALU_DEP_1)
	v_fma_f64 v[13:14], v[1:2], v[11:12], -v[13:14]
	;; [unrolled: 5-line block ×26, first 2 shown]
	v_add_f64 v[1:2], v[1:2], s[8:9]
	s_mov_b32 s8, exec_lo
	s_delay_alu instid0(VALU_DEP_1)
	v_add_f64 v[1:2], v[1:2], -v[13:14]
	v_cmpx_ngt_f64_e32 0, v[3:4]
	s_xor_b32 s8, exec_lo, s8
	s_cbranch_execz .LBB5_42
; %bb.41:
	s_mov_b32 s10, 0x652b82fe
	s_mov_b32 s11, 0x3ff71547
	;; [unrolled: 1-line block ×3, first 2 shown]
	v_mul_f64 v[11:12], |v[3:4]|, s[10:11]
	s_mov_b32 s10, 0xfefa39ef
	s_mov_b32 s11, 0xbfe62e42
	;; [unrolled: 1-line block ×3, first 2 shown]
	s_delay_alu instid0(VALU_DEP_3) | instskip(SKIP_1) | instid1(VALU_DEP_3)
	v_mul_f64 v[1:2], v[1:2], 0.5
	v_cmp_nlt_f64_e64 vcc_lo, 0x40900000, |v[3:4]|
	v_rndne_f64_e32 v[11:12], v[11:12]
	s_delay_alu instid0(VALU_DEP_3) | instskip(NEXT) | instid1(VALU_DEP_2)
	v_mul_f64 v[1:2], |v[3:4]|, v[1:2]
	v_fma_f64 v[13:14], v[11:12], s[10:11], |v[3:4]|
	s_mov_b32 s10, 0x3b39803f
	s_mov_b32 s11, 0xbc7abc9e
	v_cvt_i32_f64_e32 v18, v[11:12]
	s_delay_alu instid0(VALU_DEP_2)
	v_fma_f64 v[13:14], v[11:12], s[10:11], v[13:14]
	s_mov_b32 s10, 0xfca7ab0c
	s_mov_b32 s11, 0x3e928af3
	s_delay_alu instid0(VALU_DEP_1) | instid1(SALU_CYCLE_1)
	v_fma_f64 v[16:17], v[13:14], s[12:13], s[10:11]
	s_mov_b32 s10, 0x623fde64
	s_mov_b32 s11, 0x3ec71dee
	s_delay_alu instid0(VALU_DEP_1) | instid1(SALU_CYCLE_1)
	;; [unrolled: 4-line block ×9, first 2 shown]
	v_fma_f64 v[16:17], v[13:14], v[16:17], s[10:11]
	s_delay_alu instid0(VALU_DEP_1) | instskip(NEXT) | instid1(VALU_DEP_1)
	v_fma_f64 v[16:17], v[13:14], v[16:17], 1.0
	v_fma_f64 v[11:12], v[13:14], v[16:17], 1.0
	s_delay_alu instid0(VALU_DEP_1) | instskip(NEXT) | instid1(VALU_DEP_1)
	v_ldexp_f64 v[11:12], v[11:12], v18
	v_cndmask_b32_e32 v4, 0x7ff00000, v12, vcc_lo
	s_delay_alu instid0(VALU_DEP_2) | instskip(NEXT) | instid1(VALU_DEP_1)
	v_cndmask_b32_e32 v3, 0, v11, vcc_lo
	v_mul_f64 v[11:12], v[3:4], v[1:2]
                                        ; implicit-def: $vgpr3_vgpr4
                                        ; implicit-def: $vgpr1_vgpr2
.LBB5_42:
	s_and_not1_saveexec_b32 s8, s8
	s_cbranch_execz .LBB5_44
; %bb.43:
	s_mov_b32 s10, 0x652b82fe
	s_mov_b32 s11, 0x3ff71547
	;; [unrolled: 1-line block ×3, first 2 shown]
	v_mul_f64 v[11:12], |v[3:4]|, s[10:11]
	s_mov_b32 s10, 0xfefa39ef
	s_mov_b32 s11, 0xbfe62e42
	;; [unrolled: 1-line block ×3, first 2 shown]
	s_delay_alu instid0(VALU_DEP_3) | instskip(SKIP_1) | instid1(VALU_DEP_3)
	v_mul_f64 v[1:2], v[1:2], -0.5
	v_cmp_nlt_f64_e64 vcc_lo, 0x40900000, |v[3:4]|
	v_rndne_f64_e32 v[11:12], v[11:12]
	s_delay_alu instid0(VALU_DEP_3) | instskip(NEXT) | instid1(VALU_DEP_2)
	v_mul_f64 v[1:2], |v[3:4]|, v[1:2]
	v_fma_f64 v[13:14], v[11:12], s[10:11], |v[3:4]|
	s_mov_b32 s10, 0x3b39803f
	s_mov_b32 s11, 0xbc7abc9e
	v_cvt_i32_f64_e32 v18, v[11:12]
	s_delay_alu instid0(VALU_DEP_2)
	v_fma_f64 v[13:14], v[11:12], s[10:11], v[13:14]
	s_mov_b32 s10, 0xfca7ab0c
	s_mov_b32 s11, 0x3e928af3
	s_delay_alu instid0(VALU_DEP_1) | instid1(SALU_CYCLE_1)
	v_fma_f64 v[16:17], v[13:14], s[12:13], s[10:11]
	s_mov_b32 s10, 0x623fde64
	s_mov_b32 s11, 0x3ec71dee
	s_delay_alu instid0(VALU_DEP_1) | instid1(SALU_CYCLE_1)
	;; [unrolled: 4-line block ×9, first 2 shown]
	v_fma_f64 v[16:17], v[13:14], v[16:17], s[10:11]
	s_delay_alu instid0(VALU_DEP_1) | instskip(NEXT) | instid1(VALU_DEP_1)
	v_fma_f64 v[16:17], v[13:14], v[16:17], 1.0
	v_fma_f64 v[11:12], v[13:14], v[16:17], 1.0
	s_delay_alu instid0(VALU_DEP_1) | instskip(NEXT) | instid1(VALU_DEP_1)
	v_ldexp_f64 v[11:12], v[11:12], v18
	v_cndmask_b32_e32 v4, 0x7ff00000, v12, vcc_lo
	s_delay_alu instid0(VALU_DEP_2) | instskip(NEXT) | instid1(VALU_DEP_1)
	v_cndmask_b32_e32 v3, 0, v11, vcc_lo
	v_mul_f64 v[11:12], v[3:4], v[1:2]
.LBB5_44:
	s_or_b32 exec_lo, exec_lo, s8
                                        ; implicit-def: $vgpr3_vgpr4
.LBB5_45:
	s_and_not1_saveexec_b32 s7, s7
	s_cbranch_execz .LBB5_51
; %bb.46:
	v_dual_mov_b32 v1, v3 :: v_dual_and_b32 v2, 0x7fffffff, v4
	s_mov_b32 s8, 0xea87b950
	s_mov_b32 s9, 0x3c545b8a
	;; [unrolled: 1-line block ×4, first 2 shown]
	v_div_scale_f64 v[11:12], null, v[1:2], v[1:2], 0x40400000
	v_div_scale_f64 v[1:2], vcc_lo, 0x40400000, v[1:2], 0x40400000
	s_mov_b32 s12, 0x2e9e5443
	s_mov_b32 s13, 0xbe90dbfd
	s_delay_alu instid0(VALU_DEP_2) | instskip(SKIP_2) | instid1(VALU_DEP_1)
	v_rcp_f64_e32 v[13:14], v[11:12]
	s_waitcnt_depctr 0xfff
	v_fma_f64 v[16:17], -v[11:12], v[13:14], 1.0
	v_fma_f64 v[13:14], v[13:14], v[16:17], v[13:14]
	s_delay_alu instid0(VALU_DEP_1) | instskip(NEXT) | instid1(VALU_DEP_1)
	v_fma_f64 v[16:17], -v[11:12], v[13:14], 1.0
	v_fma_f64 v[13:14], v[13:14], v[16:17], v[13:14]
	s_delay_alu instid0(VALU_DEP_1) | instskip(NEXT) | instid1(VALU_DEP_1)
	v_mul_f64 v[16:17], v[1:2], v[13:14]
	v_fma_f64 v[1:2], -v[11:12], v[16:17], v[1:2]
	s_delay_alu instid0(VALU_DEP_1) | instskip(NEXT) | instid1(VALU_DEP_1)
	v_div_fmas_f64 v[1:2], v[1:2], v[13:14], v[16:17]
	v_div_fixup_f64 v[1:2], v[1:2], |v[3:4]|, 0x40400000
	s_delay_alu instid0(VALU_DEP_1) | instskip(NEXT) | instid1(VALU_DEP_1)
	v_add_f64 v[1:2], v[1:2], -2.0
	v_fma_f64 v[11:12], v[1:2], s[10:11], s[8:9]
	s_mov_b32 s11, 0xbc61556d
	s_mov_b32 s8, 0xb2532277
	;; [unrolled: 1-line block ×3, first 2 shown]
	s_delay_alu instid0(VALU_DEP_1) | instskip(SKIP_2) | instid1(VALU_DEP_1)
	v_fma_f64 v[13:14], v[1:2], v[11:12], s[10:11]
	s_mov_b32 s10, 0x9ad53528
	s_mov_b32 s11, 0xbe30790b
	v_add_f64 v[13:14], v[13:14], s[8:9]
	s_mov_b32 s8, 0x9c773320
	s_mov_b32 s9, 0xbc82806c
	s_delay_alu instid0(VALU_DEP_1) | instskip(NEXT) | instid1(VALU_DEP_1)
	v_fma_f64 v[11:12], v[1:2], v[13:14], -v[11:12]
	v_add_f64 v[11:12], v[11:12], s[8:9]
	s_mov_b32 s8, 0xfceb588a
	s_mov_b32 s9, 0x3cb55915
	s_delay_alu instid0(VALU_DEP_1) | instskip(NEXT) | instid1(VALU_DEP_1)
	v_fma_f64 v[13:14], v[1:2], v[11:12], -v[13:14]
	;; [unrolled: 5-line block ×15, first 2 shown]
	v_add_f64 v[11:12], v[11:12], s[8:9]
	s_mov_b32 s8, 0x652b82fe
	s_mov_b32 s9, 0x3ff71547
	s_delay_alu instid0(SALU_CYCLE_1) | instskip(SKIP_2) | instid1(VALU_DEP_2)
	v_mul_f64 v[16:17], |v[3:4]|, s[8:9]
	s_mov_b32 s8, 0xfefa39ef
	s_mov_b32 s9, 0xbfe62e42
	v_fma_f64 v[13:14], v[1:2], v[11:12], -v[13:14]
	s_delay_alu instid0(VALU_DEP_2) | instskip(NEXT) | instid1(VALU_DEP_2)
	v_rndne_f64_e32 v[16:17], v[16:17]
	v_add_f64 v[13:14], v[13:14], s[10:11]
	s_mov_b32 s10, 0x94bb46c1
	s_mov_b32 s11, 0xbe5c4153
	s_delay_alu instid0(VALU_DEP_2) | instskip(SKIP_2) | instid1(VALU_DEP_2)
	v_fma_f64 v[18:19], v[16:17], s[8:9], |v[3:4]|
	s_mov_b32 s8, 0x3b39803f
	s_mov_b32 s9, 0xbc7abc9e
	v_fma_f64 v[11:12], v[1:2], v[13:14], -v[11:12]
	s_delay_alu instid0(VALU_DEP_2) | instskip(SKIP_3) | instid1(VALU_DEP_3)
	v_fma_f64 v[18:19], v[16:17], s[8:9], v[18:19]
	s_mov_b32 s8, 0xfca7ab0c
	s_mov_b32 s9, 0x3e928af3
	v_cvt_i32_f64_e32 v16, v[16:17]
	v_add_f64 v[11:12], v[11:12], s[10:11]
	s_mov_b32 s10, 0x6a5dcb37
	s_mov_b32 s11, 0x3e5ade15
	s_delay_alu instid0(VALU_DEP_3) | instid1(SALU_CYCLE_1)
	v_fma_f64 v[20:21], v[18:19], s[10:11], s[8:9]
	s_mov_b32 s8, 0x623fde64
	s_mov_b32 s9, 0x3ec71dee
	;; [unrolled: 1-line block ×4, first 2 shown]
	s_delay_alu instid0(VALU_DEP_2) | instskip(NEXT) | instid1(VALU_DEP_2)
	v_fma_f64 v[13:14], v[1:2], v[11:12], -v[13:14]
	v_fma_f64 v[20:21], v[18:19], v[20:21], s[8:9]
	s_mov_b32 s8, 0x7c89e6b0
	s_mov_b32 s9, 0x3efa0199
	s_delay_alu instid0(VALU_DEP_2) | instskip(NEXT) | instid1(VALU_DEP_2)
	v_add_f64 v[13:14], v[13:14], s[12:13]
	v_fma_f64 v[20:21], v[18:19], v[20:21], s[8:9]
	s_mov_b32 s8, 0x14761f6e
	s_mov_b32 s9, 0x3f2a01a0
	s_delay_alu instid0(VALU_DEP_2) | instskip(NEXT) | instid1(VALU_DEP_2)
	v_fma_f64 v[11:12], v[1:2], v[13:14], -v[11:12]
	v_fma_f64 v[20:21], v[18:19], v[20:21], s[8:9]
	s_mov_b32 s8, 0x1852b7b0
	s_mov_b32 s9, 0x3f56c16c
	s_delay_alu instid0(VALU_DEP_2) | instskip(SKIP_2) | instid1(VALU_DEP_2)
	v_add_f64 v[11:12], v[11:12], s[10:11]
	s_mov_b32 s10, 0x804aa9a6
	s_mov_b32 s11, 0xbf1cfd7f
	v_fma_f64 v[20:21], v[18:19], v[20:21], s[8:9]
	s_mov_b32 s8, 0x11122322
	s_mov_b32 s9, 0x3f811111
	s_delay_alu instid0(VALU_DEP_2) | instskip(NEXT) | instid1(VALU_DEP_2)
	v_fma_f64 v[13:14], v[1:2], v[11:12], -v[13:14]
	v_fma_f64 v[20:21], v[18:19], v[20:21], s[8:9]
	s_mov_b32 s8, 0x555502a1
	s_mov_b32 s9, 0x3fa55555
	s_delay_alu instid0(VALU_DEP_2) | instskip(SKIP_2) | instid1(VALU_DEP_2)
	v_add_f64 v[13:14], v[13:14], s[10:11]
	s_mov_b32 s10, 0x53fcdb4c
	s_mov_b32 s11, 0xbf83fda0
	v_fma_f64 v[20:21], v[18:19], v[20:21], s[8:9]
	s_mov_b32 s8, 0x55555511
	s_mov_b32 s9, 0x3fc55555
	s_delay_alu instid0(VALU_DEP_2) | instskip(NEXT) | instid1(VALU_DEP_2)
	v_fma_f64 v[11:12], v[1:2], v[13:14], -v[11:12]
	v_fma_f64 v[20:21], v[18:19], v[20:21], s[8:9]
	s_mov_b32 s8, 11
	s_mov_b32 s9, 0x3fe00000
	s_delay_alu instid0(VALU_DEP_2) | instskip(SKIP_2) | instid1(VALU_DEP_1)
	v_add_f64 v[11:12], v[11:12], s[10:11]
	s_mov_b32 s10, 0xb55b1514
	s_mov_b32 s11, 0x3fe8ea18
	v_fma_f64 v[1:2], v[1:2], v[11:12], -v[13:14]
	s_delay_alu instid0(VALU_DEP_3) | instskip(SKIP_1) | instid1(VALU_DEP_2)
	v_fma_f64 v[11:12], v[18:19], v[20:21], s[8:9]
	s_mov_b32 s8, exec_lo
	v_add_f64 v[1:2], v[1:2], s[10:11]
	s_delay_alu instid0(VALU_DEP_2) | instskip(NEXT) | instid1(VALU_DEP_2)
	v_fma_f64 v[11:12], v[18:19], v[11:12], 1.0
	v_add_f64 v[1:2], v[1:2], -v[13:14]
	s_delay_alu instid0(VALU_DEP_2) | instskip(NEXT) | instid1(VALU_DEP_2)
	v_fma_f64 v[13:14], v[18:19], v[11:12], 1.0
	v_mul_f64 v[1:2], v[1:2], 0.5
	v_cmpx_ngt_f64_e32 0, v[3:4]
	s_xor_b32 s8, exec_lo, s8
	s_cbranch_execz .LBB5_48
; %bb.47:
	v_cmp_gt_f64_e64 s9, 0x10000000, |v[3:4]|
	s_delay_alu instid0(VALU_DEP_4) | instskip(SKIP_1) | instid1(VALU_DEP_3)
	v_ldexp_f64 v[13:14], v[13:14], v16
	v_cmp_nlt_f64_e64 vcc_lo, 0x40900000, |v[3:4]|
	v_cndmask_b32_e64 v11, 0, 1, s9
	v_cndmask_b32_e64 v16, 0, 0xffffff80, s9
	s_delay_alu instid0(VALU_DEP_2) | instskip(NEXT) | instid1(VALU_DEP_1)
	v_dual_cndmask_b32 v14, 0x7ff00000, v14 :: v_dual_lshlrev_b32 v11, 8, v11
	v_ldexp_f64 v[11:12], |v[3:4]|, v11
	s_delay_alu instid0(VALU_DEP_1) | instskip(SKIP_3) | instid1(VALU_DEP_1)
	v_rsq_f64_e32 v[17:18], v[11:12]
	s_waitcnt_depctr 0xfff
	v_mul_f64 v[19:20], v[11:12], v[17:18]
	v_mul_f64 v[17:18], v[17:18], 0.5
	v_fma_f64 v[21:22], -v[17:18], v[19:20], 0.5
	s_delay_alu instid0(VALU_DEP_1) | instskip(SKIP_1) | instid1(VALU_DEP_2)
	v_fma_f64 v[19:20], v[19:20], v[21:22], v[19:20]
	v_fma_f64 v[17:18], v[17:18], v[21:22], v[17:18]
	v_fma_f64 v[21:22], -v[19:20], v[19:20], v[11:12]
	s_delay_alu instid0(VALU_DEP_1) | instskip(NEXT) | instid1(VALU_DEP_1)
	v_fma_f64 v[19:20], v[21:22], v[17:18], v[19:20]
	v_fma_f64 v[21:22], -v[19:20], v[19:20], v[11:12]
	s_delay_alu instid0(VALU_DEP_1) | instskip(NEXT) | instid1(VALU_DEP_1)
	v_fma_f64 v[3:4], v[21:22], v[17:18], v[19:20]
	v_ldexp_f64 v[3:4], v[3:4], v16
	v_cndmask_b32_e32 v13, 0, v13, vcc_lo
	v_cmp_class_f64_e64 vcc_lo, v[11:12], 0x260
	s_delay_alu instid0(VALU_DEP_3) | instskip(NEXT) | instid1(VALU_DEP_3)
	v_cndmask_b32_e32 v4, v4, v12, vcc_lo
	v_mul_f64 v[1:2], v[13:14], v[1:2]
	v_cndmask_b32_e32 v3, v3, v11, vcc_lo
	s_delay_alu instid0(VALU_DEP_1) | instskip(NEXT) | instid1(VALU_DEP_1)
	v_div_scale_f64 v[11:12], null, v[3:4], v[3:4], v[1:2]
	v_rcp_f64_e32 v[13:14], v[11:12]
	s_waitcnt_depctr 0xfff
	v_fma_f64 v[16:17], -v[11:12], v[13:14], 1.0
	s_delay_alu instid0(VALU_DEP_1) | instskip(NEXT) | instid1(VALU_DEP_1)
	v_fma_f64 v[13:14], v[13:14], v[16:17], v[13:14]
	v_fma_f64 v[16:17], -v[11:12], v[13:14], 1.0
	s_delay_alu instid0(VALU_DEP_1) | instskip(SKIP_1) | instid1(VALU_DEP_1)
	v_fma_f64 v[13:14], v[13:14], v[16:17], v[13:14]
	v_div_scale_f64 v[16:17], vcc_lo, v[1:2], v[3:4], v[1:2]
	v_mul_f64 v[18:19], v[16:17], v[13:14]
	s_delay_alu instid0(VALU_DEP_1) | instskip(NEXT) | instid1(VALU_DEP_1)
	v_fma_f64 v[11:12], -v[11:12], v[18:19], v[16:17]
                                        ; implicit-def: $vgpr16
	v_div_fmas_f64 v[11:12], v[11:12], v[13:14], v[18:19]
                                        ; implicit-def: $vgpr13_vgpr14
	s_delay_alu instid0(VALU_DEP_1)
	v_div_fixup_f64 v[11:12], v[11:12], v[3:4], v[1:2]
                                        ; implicit-def: $vgpr3_vgpr4
                                        ; implicit-def: $vgpr1_vgpr2
.LBB5_48:
	s_and_not1_saveexec_b32 s8, s8
	s_cbranch_execz .LBB5_50
; %bb.49:
	v_cmp_gt_f64_e64 s9, 0x10000000, |v[3:4]|
	s_delay_alu instid0(VALU_DEP_4) | instskip(SKIP_1) | instid1(VALU_DEP_3)
	v_ldexp_f64 v[13:14], -v[13:14], v16
	v_cmp_nlt_f64_e64 vcc_lo, 0x40900000, |v[3:4]|
	v_cndmask_b32_e64 v11, 0, 1, s9
	v_cndmask_b32_e64 v16, 0, 0xffffff80, s9
	s_delay_alu instid0(VALU_DEP_2) | instskip(NEXT) | instid1(VALU_DEP_1)
	v_dual_cndmask_b32 v14, 0xfff00000, v14 :: v_dual_lshlrev_b32 v11, 8, v11
	v_ldexp_f64 v[11:12], |v[3:4]|, v11
	s_delay_alu instid0(VALU_DEP_1) | instskip(SKIP_3) | instid1(VALU_DEP_1)
	v_rsq_f64_e32 v[17:18], v[11:12]
	s_waitcnt_depctr 0xfff
	v_mul_f64 v[19:20], v[11:12], v[17:18]
	v_mul_f64 v[17:18], v[17:18], 0.5
	v_fma_f64 v[21:22], -v[17:18], v[19:20], 0.5
	s_delay_alu instid0(VALU_DEP_1) | instskip(SKIP_1) | instid1(VALU_DEP_2)
	v_fma_f64 v[19:20], v[19:20], v[21:22], v[19:20]
	v_fma_f64 v[17:18], v[17:18], v[21:22], v[17:18]
	v_fma_f64 v[21:22], -v[19:20], v[19:20], v[11:12]
	s_delay_alu instid0(VALU_DEP_1) | instskip(NEXT) | instid1(VALU_DEP_1)
	v_fma_f64 v[19:20], v[21:22], v[17:18], v[19:20]
	v_fma_f64 v[21:22], -v[19:20], v[19:20], v[11:12]
	s_delay_alu instid0(VALU_DEP_1) | instskip(NEXT) | instid1(VALU_DEP_1)
	v_fma_f64 v[3:4], v[21:22], v[17:18], v[19:20]
	v_ldexp_f64 v[3:4], v[3:4], v16
	v_cndmask_b32_e32 v13, 0, v13, vcc_lo
	v_cmp_class_f64_e64 vcc_lo, v[11:12], 0x260
	s_delay_alu instid0(VALU_DEP_3) | instskip(NEXT) | instid1(VALU_DEP_3)
	v_cndmask_b32_e32 v4, v4, v12, vcc_lo
	v_mul_f64 v[1:2], v[13:14], v[1:2]
	v_cndmask_b32_e32 v3, v3, v11, vcc_lo
	s_delay_alu instid0(VALU_DEP_1) | instskip(NEXT) | instid1(VALU_DEP_1)
	v_div_scale_f64 v[11:12], null, v[3:4], v[3:4], v[1:2]
	v_rcp_f64_e32 v[13:14], v[11:12]
	s_waitcnt_depctr 0xfff
	v_fma_f64 v[16:17], -v[11:12], v[13:14], 1.0
	s_delay_alu instid0(VALU_DEP_1) | instskip(NEXT) | instid1(VALU_DEP_1)
	v_fma_f64 v[13:14], v[13:14], v[16:17], v[13:14]
	v_fma_f64 v[16:17], -v[11:12], v[13:14], 1.0
	s_delay_alu instid0(VALU_DEP_1) | instskip(SKIP_1) | instid1(VALU_DEP_1)
	v_fma_f64 v[13:14], v[13:14], v[16:17], v[13:14]
	v_div_scale_f64 v[16:17], vcc_lo, v[1:2], v[3:4], v[1:2]
	v_mul_f64 v[18:19], v[16:17], v[13:14]
	s_delay_alu instid0(VALU_DEP_1) | instskip(NEXT) | instid1(VALU_DEP_1)
	v_fma_f64 v[11:12], -v[11:12], v[18:19], v[16:17]
	v_div_fmas_f64 v[11:12], v[11:12], v[13:14], v[18:19]
	s_delay_alu instid0(VALU_DEP_1)
	v_div_fixup_f64 v[11:12], v[11:12], v[3:4], v[1:2]
.LBB5_50:
	s_or_b32 exec_lo, exec_lo, s8
.LBB5_51:
	s_delay_alu instid0(SALU_CYCLE_1) | instskip(SKIP_3) | instid1(VALU_DEP_1)
	s_or_b32 exec_lo, exec_lo, s7
	s_add_u32 s8, s0, s4
	s_addc_u32 s9, s1, s5
	v_add_co_u32 v1, s4, s8, v15
	v_add_co_ci_u32_e64 v2, null, s9, 0, s4
	s_delay_alu instid0(VALU_DEP_2) | instskip(NEXT) | instid1(VALU_DEP_2)
	v_add_co_u32 v1, vcc_lo, 0x1000, v1
	v_add_co_ci_u32_e32 v2, vcc_lo, 0, v2, vcc_lo
	s_clause 0x1
	global_store_b128 v15, v[5:8], s[8:9]
	global_store_b128 v[1:2], v[9:12], off
	s_branch .LBB5_2
.LBB5_52:
	v_dual_mov_b32 v31, v0 :: v_dual_mov_b32 v0, s0
	v_dual_mov_b32 v1, s1 :: v_dual_mov_b32 v2, s2
	;; [unrolled: 1-line block ×3, first 2 shown]
	s_mov_b32 s12, s15
	s_getpc_b64 s[4:5]
	s_add_u32 s4, s4, _ZN2at6native25elementwise_kernel_helperILb0EZZZNS0_12_GLOBAL__N_130modified_bessel_i1_kernel_cudaERNS_18TensorIteratorBaseEENKUlvE_clEvENKUlvE_clEvEUldE_NS0_6memory8policies11unroll_baseILi256ESt5arrayIPcLm2EE23TrivialOffsetCalculatorILi1EjESF_NS8_15LoadWithoutCastENS8_16StoreWithoutCastELi4ELi1EEEEEvT0_T1_@rel32@lo+4
	s_addc_u32 s5, s5, _ZN2at6native25elementwise_kernel_helperILb0EZZZNS0_12_GLOBAL__N_130modified_bessel_i1_kernel_cudaERNS_18TensorIteratorBaseEENKUlvE_clEvENKUlvE_clEvEUldE_NS0_6memory8policies11unroll_baseILi256ESt5arrayIPcLm2EE23TrivialOffsetCalculatorILi1EjESF_NS8_15LoadWithoutCastENS8_16StoreWithoutCastELi4ELi1EEEEEvT0_T1_@rel32@hi+12
	s_delay_alu instid0(SALU_CYCLE_1)
	s_swappc_b64 s[30:31], s[4:5]
	s_endpgm
	.section	.rodata,"a",@progbits
	.p2align	6, 0x0
	.amdhsa_kernel _ZN2at6native29vectorized_elementwise_kernelILi2EZZZNS0_12_GLOBAL__N_130modified_bessel_i1_kernel_cudaERNS_18TensorIteratorBaseEENKUlvE_clEvENKUlvE_clEvEUldE_St5arrayIPcLm2EEEEviT0_T1_
		.amdhsa_group_segment_fixed_size 0
		.amdhsa_private_segment_fixed_size 0
		.amdhsa_kernarg_size 24
		.amdhsa_user_sgpr_count 15
		.amdhsa_user_sgpr_dispatch_ptr 0
		.amdhsa_user_sgpr_queue_ptr 0
		.amdhsa_user_sgpr_kernarg_segment_ptr 1
		.amdhsa_user_sgpr_dispatch_id 0
		.amdhsa_user_sgpr_private_segment_size 0
		.amdhsa_wavefront_size32 1
		.amdhsa_uses_dynamic_stack 0
		.amdhsa_enable_private_segment 0
		.amdhsa_system_sgpr_workgroup_id_x 1
		.amdhsa_system_sgpr_workgroup_id_y 0
		.amdhsa_system_sgpr_workgroup_id_z 0
		.amdhsa_system_sgpr_workgroup_info 0
		.amdhsa_system_vgpr_workitem_id 0
		.amdhsa_next_free_vgpr 32
		.amdhsa_next_free_sgpr 33
		.amdhsa_reserve_vcc 1
		.amdhsa_float_round_mode_32 0
		.amdhsa_float_round_mode_16_64 0
		.amdhsa_float_denorm_mode_32 3
		.amdhsa_float_denorm_mode_16_64 3
		.amdhsa_dx10_clamp 1
		.amdhsa_ieee_mode 1
		.amdhsa_fp16_overflow 0
		.amdhsa_workgroup_processor_mode 1
		.amdhsa_memory_ordered 1
		.amdhsa_forward_progress 0
		.amdhsa_shared_vgpr_count 0
		.amdhsa_exception_fp_ieee_invalid_op 0
		.amdhsa_exception_fp_denorm_src 0
		.amdhsa_exception_fp_ieee_div_zero 0
		.amdhsa_exception_fp_ieee_overflow 0
		.amdhsa_exception_fp_ieee_underflow 0
		.amdhsa_exception_fp_ieee_inexact 0
		.amdhsa_exception_int_div_zero 0
	.end_amdhsa_kernel
	.section	.text._ZN2at6native29vectorized_elementwise_kernelILi2EZZZNS0_12_GLOBAL__N_130modified_bessel_i1_kernel_cudaERNS_18TensorIteratorBaseEENKUlvE_clEvENKUlvE_clEvEUldE_St5arrayIPcLm2EEEEviT0_T1_,"axG",@progbits,_ZN2at6native29vectorized_elementwise_kernelILi2EZZZNS0_12_GLOBAL__N_130modified_bessel_i1_kernel_cudaERNS_18TensorIteratorBaseEENKUlvE_clEvENKUlvE_clEvEUldE_St5arrayIPcLm2EEEEviT0_T1_,comdat
.Lfunc_end5:
	.size	_ZN2at6native29vectorized_elementwise_kernelILi2EZZZNS0_12_GLOBAL__N_130modified_bessel_i1_kernel_cudaERNS_18TensorIteratorBaseEENKUlvE_clEvENKUlvE_clEvEUldE_St5arrayIPcLm2EEEEviT0_T1_, .Lfunc_end5-_ZN2at6native29vectorized_elementwise_kernelILi2EZZZNS0_12_GLOBAL__N_130modified_bessel_i1_kernel_cudaERNS_18TensorIteratorBaseEENKUlvE_clEvENKUlvE_clEvEUldE_St5arrayIPcLm2EEEEviT0_T1_
                                        ; -- End function
	.section	.AMDGPU.csdata,"",@progbits
; Kernel info:
; codeLenInByte = 16544
; NumSgprs: 35
; NumVgprs: 32
; ScratchSize: 0
; MemoryBound: 0
; FloatMode: 240
; IeeeMode: 1
; LDSByteSize: 0 bytes/workgroup (compile time only)
; SGPRBlocks: 4
; VGPRBlocks: 3
; NumSGPRsForWavesPerEU: 35
; NumVGPRsForWavesPerEU: 32
; Occupancy: 16
; WaveLimiterHint : 1
; COMPUTE_PGM_RSRC2:SCRATCH_EN: 0
; COMPUTE_PGM_RSRC2:USER_SGPR: 15
; COMPUTE_PGM_RSRC2:TRAP_HANDLER: 0
; COMPUTE_PGM_RSRC2:TGID_X_EN: 1
; COMPUTE_PGM_RSRC2:TGID_Y_EN: 0
; COMPUTE_PGM_RSRC2:TGID_Z_EN: 0
; COMPUTE_PGM_RSRC2:TIDIG_COMP_CNT: 0
	.section	.text._ZN2at6native27unrolled_elementwise_kernelIZZZNS0_12_GLOBAL__N_130modified_bessel_i1_kernel_cudaERNS_18TensorIteratorBaseEENKUlvE_clEvENKUlvE_clEvEUldE_St5arrayIPcLm2EELi4E23TrivialOffsetCalculatorILi1EjESC_NS0_6memory15LoadWithoutCastENSD_16StoreWithoutCastEEEviT_T0_T2_T3_T4_T5_,"axG",@progbits,_ZN2at6native27unrolled_elementwise_kernelIZZZNS0_12_GLOBAL__N_130modified_bessel_i1_kernel_cudaERNS_18TensorIteratorBaseEENKUlvE_clEvENKUlvE_clEvEUldE_St5arrayIPcLm2EELi4E23TrivialOffsetCalculatorILi1EjESC_NS0_6memory15LoadWithoutCastENSD_16StoreWithoutCastEEEviT_T0_T2_T3_T4_T5_,comdat
	.globl	_ZN2at6native27unrolled_elementwise_kernelIZZZNS0_12_GLOBAL__N_130modified_bessel_i1_kernel_cudaERNS_18TensorIteratorBaseEENKUlvE_clEvENKUlvE_clEvEUldE_St5arrayIPcLm2EELi4E23TrivialOffsetCalculatorILi1EjESC_NS0_6memory15LoadWithoutCastENSD_16StoreWithoutCastEEEviT_T0_T2_T3_T4_T5_ ; -- Begin function _ZN2at6native27unrolled_elementwise_kernelIZZZNS0_12_GLOBAL__N_130modified_bessel_i1_kernel_cudaERNS_18TensorIteratorBaseEENKUlvE_clEvENKUlvE_clEvEUldE_St5arrayIPcLm2EELi4E23TrivialOffsetCalculatorILi1EjESC_NS0_6memory15LoadWithoutCastENSD_16StoreWithoutCastEEEviT_T0_T2_T3_T4_T5_
	.p2align	8
	.type	_ZN2at6native27unrolled_elementwise_kernelIZZZNS0_12_GLOBAL__N_130modified_bessel_i1_kernel_cudaERNS_18TensorIteratorBaseEENKUlvE_clEvENKUlvE_clEvEUldE_St5arrayIPcLm2EELi4E23TrivialOffsetCalculatorILi1EjESC_NS0_6memory15LoadWithoutCastENSD_16StoreWithoutCastEEEviT_T0_T2_T3_T4_T5_,@function
_ZN2at6native27unrolled_elementwise_kernelIZZZNS0_12_GLOBAL__N_130modified_bessel_i1_kernel_cudaERNS_18TensorIteratorBaseEENKUlvE_clEvENKUlvE_clEvEUldE_St5arrayIPcLm2EELi4E23TrivialOffsetCalculatorILi1EjESC_NS0_6memory15LoadWithoutCastENSD_16StoreWithoutCastEEEviT_T0_T2_T3_T4_T5_: ; @_ZN2at6native27unrolled_elementwise_kernelIZZZNS0_12_GLOBAL__N_130modified_bessel_i1_kernel_cudaERNS_18TensorIteratorBaseEENKUlvE_clEvENKUlvE_clEvEUldE_St5arrayIPcLm2EELi4E23TrivialOffsetCalculatorILi1EjESC_NS0_6memory15LoadWithoutCastENSD_16StoreWithoutCastEEEviT_T0_T2_T3_T4_T5_
; %bb.0:
	s_clause 0x1
	s_load_b32 s6, s[0:1], 0x0
	s_load_b128 s[0:3], s[0:1], 0x8
	s_lshl_b32 s7, s15, 10
	s_getpc_b64 s[4:5]
	s_add_u32 s4, s4, _ZN2at6native25elementwise_kernel_helperILb0EZZZNS0_12_GLOBAL__N_130modified_bessel_i1_kernel_cudaERNS_18TensorIteratorBaseEENKUlvE_clEvENKUlvE_clEvEUldE_NS0_6memory8policies11unroll_baseILi256ESt5arrayIPcLm2EE23TrivialOffsetCalculatorILi1EjESF_NS8_15LoadWithoutCastENS8_16StoreWithoutCastELi4ELi1EEEEEvT0_T1_@rel32@lo+4
	s_addc_u32 s5, s5, _ZN2at6native25elementwise_kernel_helperILb0EZZZNS0_12_GLOBAL__N_130modified_bessel_i1_kernel_cudaERNS_18TensorIteratorBaseEENKUlvE_clEvENKUlvE_clEvEUldE_NS0_6memory8policies11unroll_baseILi256ESt5arrayIPcLm2EE23TrivialOffsetCalculatorILi1EjESF_NS8_15LoadWithoutCastENS8_16StoreWithoutCastELi4ELi1EEEEEvT0_T1_@rel32@hi+12
	v_mov_b32_e32 v31, v0
	s_mov_b32 s12, s15
	s_mov_b32 s32, 0
	s_waitcnt lgkmcnt(0)
	s_sub_i32 s6, s6, s7
	v_dual_mov_b32 v0, s0 :: v_dual_mov_b32 v1, s1
	v_dual_mov_b32 v2, s2 :: v_dual_mov_b32 v3, s3
	v_mov_b32_e32 v4, s6
	s_swappc_b64 s[30:31], s[4:5]
	s_endpgm
	.section	.rodata,"a",@progbits
	.p2align	6, 0x0
	.amdhsa_kernel _ZN2at6native27unrolled_elementwise_kernelIZZZNS0_12_GLOBAL__N_130modified_bessel_i1_kernel_cudaERNS_18TensorIteratorBaseEENKUlvE_clEvENKUlvE_clEvEUldE_St5arrayIPcLm2EELi4E23TrivialOffsetCalculatorILi1EjESC_NS0_6memory15LoadWithoutCastENSD_16StoreWithoutCastEEEviT_T0_T2_T3_T4_T5_
		.amdhsa_group_segment_fixed_size 0
		.amdhsa_private_segment_fixed_size 0
		.amdhsa_kernarg_size 28
		.amdhsa_user_sgpr_count 15
		.amdhsa_user_sgpr_dispatch_ptr 0
		.amdhsa_user_sgpr_queue_ptr 0
		.amdhsa_user_sgpr_kernarg_segment_ptr 1
		.amdhsa_user_sgpr_dispatch_id 0
		.amdhsa_user_sgpr_private_segment_size 0
		.amdhsa_wavefront_size32 1
		.amdhsa_uses_dynamic_stack 0
		.amdhsa_enable_private_segment 0
		.amdhsa_system_sgpr_workgroup_id_x 1
		.amdhsa_system_sgpr_workgroup_id_y 0
		.amdhsa_system_sgpr_workgroup_id_z 0
		.amdhsa_system_sgpr_workgroup_info 0
		.amdhsa_system_vgpr_workitem_id 0
		.amdhsa_next_free_vgpr 32
		.amdhsa_next_free_sgpr 33
		.amdhsa_reserve_vcc 1
		.amdhsa_float_round_mode_32 0
		.amdhsa_float_round_mode_16_64 0
		.amdhsa_float_denorm_mode_32 3
		.amdhsa_float_denorm_mode_16_64 3
		.amdhsa_dx10_clamp 1
		.amdhsa_ieee_mode 1
		.amdhsa_fp16_overflow 0
		.amdhsa_workgroup_processor_mode 1
		.amdhsa_memory_ordered 1
		.amdhsa_forward_progress 0
		.amdhsa_shared_vgpr_count 0
		.amdhsa_exception_fp_ieee_invalid_op 0
		.amdhsa_exception_fp_denorm_src 0
		.amdhsa_exception_fp_ieee_div_zero 0
		.amdhsa_exception_fp_ieee_overflow 0
		.amdhsa_exception_fp_ieee_underflow 0
		.amdhsa_exception_fp_ieee_inexact 0
		.amdhsa_exception_int_div_zero 0
	.end_amdhsa_kernel
	.section	.text._ZN2at6native27unrolled_elementwise_kernelIZZZNS0_12_GLOBAL__N_130modified_bessel_i1_kernel_cudaERNS_18TensorIteratorBaseEENKUlvE_clEvENKUlvE_clEvEUldE_St5arrayIPcLm2EELi4E23TrivialOffsetCalculatorILi1EjESC_NS0_6memory15LoadWithoutCastENSD_16StoreWithoutCastEEEviT_T0_T2_T3_T4_T5_,"axG",@progbits,_ZN2at6native27unrolled_elementwise_kernelIZZZNS0_12_GLOBAL__N_130modified_bessel_i1_kernel_cudaERNS_18TensorIteratorBaseEENKUlvE_clEvENKUlvE_clEvEUldE_St5arrayIPcLm2EELi4E23TrivialOffsetCalculatorILi1EjESC_NS0_6memory15LoadWithoutCastENSD_16StoreWithoutCastEEEviT_T0_T2_T3_T4_T5_,comdat
.Lfunc_end6:
	.size	_ZN2at6native27unrolled_elementwise_kernelIZZZNS0_12_GLOBAL__N_130modified_bessel_i1_kernel_cudaERNS_18TensorIteratorBaseEENKUlvE_clEvENKUlvE_clEvEUldE_St5arrayIPcLm2EELi4E23TrivialOffsetCalculatorILi1EjESC_NS0_6memory15LoadWithoutCastENSD_16StoreWithoutCastEEEviT_T0_T2_T3_T4_T5_, .Lfunc_end6-_ZN2at6native27unrolled_elementwise_kernelIZZZNS0_12_GLOBAL__N_130modified_bessel_i1_kernel_cudaERNS_18TensorIteratorBaseEENKUlvE_clEvENKUlvE_clEvEUldE_St5arrayIPcLm2EELi4E23TrivialOffsetCalculatorILi1EjESC_NS0_6memory15LoadWithoutCastENSD_16StoreWithoutCastEEEviT_T0_T2_T3_T4_T5_
                                        ; -- End function
	.section	.AMDGPU.csdata,"",@progbits
; Kernel info:
; codeLenInByte = 92
; NumSgprs: 35
; NumVgprs: 32
; ScratchSize: 0
; MemoryBound: 0
; FloatMode: 240
; IeeeMode: 1
; LDSByteSize: 0 bytes/workgroup (compile time only)
; SGPRBlocks: 4
; VGPRBlocks: 3
; NumSGPRsForWavesPerEU: 35
; NumVGPRsForWavesPerEU: 32
; Occupancy: 16
; WaveLimiterHint : 0
; COMPUTE_PGM_RSRC2:SCRATCH_EN: 0
; COMPUTE_PGM_RSRC2:USER_SGPR: 15
; COMPUTE_PGM_RSRC2:TRAP_HANDLER: 0
; COMPUTE_PGM_RSRC2:TGID_X_EN: 1
; COMPUTE_PGM_RSRC2:TGID_Y_EN: 0
; COMPUTE_PGM_RSRC2:TGID_Z_EN: 0
; COMPUTE_PGM_RSRC2:TIDIG_COMP_CNT: 0
	.section	.text._ZN2at6native32elementwise_kernel_manual_unrollILi128ELi4EZNS0_22gpu_kernel_impl_nocastIZZZNS0_12_GLOBAL__N_130modified_bessel_i1_kernel_cudaERNS_18TensorIteratorBaseEENKUlvE_clEvENKUlvE_clEvEUldE_EEvS5_RKT_EUlibE_EEviT1_,"axG",@progbits,_ZN2at6native32elementwise_kernel_manual_unrollILi128ELi4EZNS0_22gpu_kernel_impl_nocastIZZZNS0_12_GLOBAL__N_130modified_bessel_i1_kernel_cudaERNS_18TensorIteratorBaseEENKUlvE_clEvENKUlvE_clEvEUldE_EEvS5_RKT_EUlibE_EEviT1_,comdat
	.globl	_ZN2at6native32elementwise_kernel_manual_unrollILi128ELi4EZNS0_22gpu_kernel_impl_nocastIZZZNS0_12_GLOBAL__N_130modified_bessel_i1_kernel_cudaERNS_18TensorIteratorBaseEENKUlvE_clEvENKUlvE_clEvEUldE_EEvS5_RKT_EUlibE_EEviT1_ ; -- Begin function _ZN2at6native32elementwise_kernel_manual_unrollILi128ELi4EZNS0_22gpu_kernel_impl_nocastIZZZNS0_12_GLOBAL__N_130modified_bessel_i1_kernel_cudaERNS_18TensorIteratorBaseEENKUlvE_clEvENKUlvE_clEvEUldE_EEvS5_RKT_EUlibE_EEviT1_
	.p2align	8
	.type	_ZN2at6native32elementwise_kernel_manual_unrollILi128ELi4EZNS0_22gpu_kernel_impl_nocastIZZZNS0_12_GLOBAL__N_130modified_bessel_i1_kernel_cudaERNS_18TensorIteratorBaseEENKUlvE_clEvENKUlvE_clEvEUldE_EEvS5_RKT_EUlibE_EEviT1_,@function
_ZN2at6native32elementwise_kernel_manual_unrollILi128ELi4EZNS0_22gpu_kernel_impl_nocastIZZZNS0_12_GLOBAL__N_130modified_bessel_i1_kernel_cudaERNS_18TensorIteratorBaseEENKUlvE_clEvENKUlvE_clEvEUldE_EEvS5_RKT_EUlibE_EEviT1_: ; @_ZN2at6native32elementwise_kernel_manual_unrollILi128ELi4EZNS0_22gpu_kernel_impl_nocastIZZZNS0_12_GLOBAL__N_130modified_bessel_i1_kernel_cudaERNS_18TensorIteratorBaseEENKUlvE_clEvENKUlvE_clEvEUldE_EEvS5_RKT_EUlibE_EEviT1_
; %bb.0:
	s_clause 0x1
	s_load_b32 s22, s[0:1], 0x8
	s_load_b32 s27, s[0:1], 0x0
	v_lshl_or_b32 v11, s15, 9, v0
	s_or_b32 s0, s0, 8
	s_mov_b32 s2, exec_lo
	s_delay_alu instid0(VALU_DEP_1) | instskip(SKIP_2) | instid1(SALU_CYCLE_1)
	v_or_b32_e32 v6, 0x180, v11
	s_waitcnt lgkmcnt(0)
	s_add_i32 s23, s22, -1
	s_cmp_gt_u32 s23, 1
	s_cselect_b32 s24, -1, 0
	v_cmpx_le_i32_e64 s27, v6
	s_xor_b32 s25, exec_lo, s2
	s_cbranch_execz .LBB7_7
; %bb.1:
	s_clause 0x3
	s_load_b128 s[12:15], s[0:1], 0x4
	s_load_b64 s[2:3], s[0:1], 0x14
	s_load_b128 s[8:11], s[0:1], 0xc4
	s_load_b128 s[4:7], s[0:1], 0x148
	s_cmp_lg_u32 s22, 0
	s_mov_b32 s30, exec_lo
	s_cselect_b32 s29, -1, 0
	s_add_u32 s16, s0, 0xc4
	s_addc_u32 s17, s1, 0
	s_min_u32 s28, s23, 15
	s_cmp_gt_u32 s22, 1
	s_cselect_b32 s26, -1, 0
	v_cmpx_gt_i32_e64 s27, v11
	s_cbranch_execz .LBB7_14
; %bb.2:
	s_and_not1_b32 vcc_lo, exec_lo, s24
	s_cbranch_vccnz .LBB7_21
; %bb.3:
	v_dual_mov_b32 v0, 0 :: v_dual_mov_b32 v1, 0
	s_and_not1_b32 vcc_lo, exec_lo, s29
	s_mov_b32 s31, 0
	s_cbranch_vccnz .LBB7_121
; %bb.4:
	v_mov_b32_e32 v0, 0
	s_add_i32 s34, s28, 1
	s_cmp_eq_u32 s23, 2
	s_mov_b32 s33, 0
	s_cbranch_scc1 .LBB7_117
; %bb.5:
	v_dual_mov_b32 v1, 0 :: v_dual_mov_b32 v0, 0
	v_mov_b32_e32 v2, v11
	s_and_b32 s33, s34, 28
	s_mov_b32 s35, 0
	s_mov_b64 s[18:19], s[16:17]
	s_mov_b64 s[20:21], s[0:1]
.LBB7_6:                                ; =>This Inner Loop Header: Depth=1
	s_clause 0x1
	s_load_b256 s[36:43], s[20:21], 0x4
	s_load_b128 s[52:55], s[20:21], 0x24
	s_load_b256 s[44:51], s[18:19], 0x0
	s_add_u32 s20, s20, 48
	s_addc_u32 s21, s21, 0
	s_add_i32 s35, s35, 4
	s_add_u32 s18, s18, 32
	s_addc_u32 s19, s19, 0
	s_cmp_lg_u32 s33, s35
	s_waitcnt lgkmcnt(0)
	v_mul_hi_u32 v3, s37, v2
	s_delay_alu instid0(VALU_DEP_1) | instskip(NEXT) | instid1(VALU_DEP_1)
	v_add_nc_u32_e32 v3, v2, v3
	v_lshrrev_b32_e32 v3, s38, v3
	s_delay_alu instid0(VALU_DEP_1) | instskip(SKIP_1) | instid1(VALU_DEP_2)
	v_mul_hi_u32 v4, s40, v3
	v_mul_lo_u32 v6, v3, s36
	v_add_nc_u32_e32 v4, v3, v4
	s_delay_alu instid0(VALU_DEP_2) | instskip(NEXT) | instid1(VALU_DEP_2)
	v_sub_nc_u32_e32 v2, v2, v6
	v_lshrrev_b32_e32 v4, s41, v4
	s_delay_alu instid0(VALU_DEP_2) | instskip(SKIP_1) | instid1(VALU_DEP_3)
	v_mul_lo_u32 v6, v2, s44
	v_mul_lo_u32 v8, v2, s45
	v_mul_hi_u32 v5, s43, v4
	s_delay_alu instid0(VALU_DEP_1) | instskip(NEXT) | instid1(VALU_DEP_1)
	v_add_nc_u32_e32 v5, v4, v5
	v_lshrrev_b32_e32 v5, s52, v5
	s_delay_alu instid0(VALU_DEP_1) | instskip(SKIP_1) | instid1(VALU_DEP_2)
	v_mul_hi_u32 v7, s54, v5
	v_mul_lo_u32 v9, v5, s42
	v_add_nc_u32_e32 v2, v5, v7
	v_mul_lo_u32 v7, v4, s39
	s_delay_alu instid0(VALU_DEP_3) | instskip(NEXT) | instid1(VALU_DEP_3)
	v_sub_nc_u32_e32 v4, v4, v9
	v_lshrrev_b32_e32 v2, s55, v2
	s_delay_alu instid0(VALU_DEP_2) | instskip(SKIP_2) | instid1(VALU_DEP_4)
	v_mul_lo_u32 v9, v4, s48
	v_mul_lo_u32 v4, v4, s49
	v_sub_nc_u32_e32 v3, v3, v7
	v_mul_lo_u32 v10, v2, s53
	s_delay_alu instid0(VALU_DEP_2) | instskip(SKIP_1) | instid1(VALU_DEP_3)
	v_mul_lo_u32 v7, v3, s46
	v_mul_lo_u32 v3, v3, s47
	v_sub_nc_u32_e32 v5, v5, v10
	s_delay_alu instid0(VALU_DEP_3) | instskip(NEXT) | instid1(VALU_DEP_2)
	v_add3_u32 v0, v6, v0, v7
	v_mul_lo_u32 v10, v5, s50
	v_mul_lo_u32 v5, v5, s51
	v_add3_u32 v1, v8, v1, v3
	s_delay_alu instid0(VALU_DEP_3) | instskip(NEXT) | instid1(VALU_DEP_2)
	v_add3_u32 v0, v9, v0, v10
	v_add3_u32 v1, v4, v1, v5
	s_cbranch_scc1 .LBB7_6
	s_branch .LBB7_118
.LBB7_7:
	s_and_not1_saveexec_b32 s2, s25
	s_cbranch_execz .LBB7_166
.LBB7_8:
	v_cndmask_b32_e64 v3, 0, 1, s24
	s_and_not1_b32 vcc_lo, exec_lo, s24
	s_cbranch_vccnz .LBB7_20
; %bb.9:
	v_dual_mov_b32 v0, 0 :: v_dual_mov_b32 v5, 0
	s_cmp_lg_u32 s22, 0
	s_mov_b32 s6, 0
	s_cbranch_scc0 .LBB7_26
; %bb.10:
	s_min_u32 s7, s23, 15
	v_mov_b32_e32 v0, 0
	s_add_i32 s7, s7, 1
	s_cmp_eq_u32 s23, 2
	s_mov_b32 s8, 0
	s_cbranch_scc1 .LBB7_23
; %bb.11:
	v_dual_mov_b32 v5, 0 :: v_dual_mov_b32 v0, 0
	v_mov_b32_e32 v1, v11
	s_add_u32 s2, s0, 0xc4
	s_addc_u32 s3, s1, 0
	s_and_b32 s8, s7, 28
	s_mov_b32 s9, 0
	s_mov_b64 s[4:5], s[0:1]
.LBB7_12:                               ; =>This Inner Loop Header: Depth=1
	s_clause 0x1
	s_load_b256 s[12:19], s[4:5], 0x4
	s_load_b128 s[36:39], s[4:5], 0x24
	s_load_b256 s[24:31], s[2:3], 0x0
	s_add_u32 s4, s4, 48
	s_addc_u32 s5, s5, 0
	s_add_i32 s9, s9, 4
	s_add_u32 s2, s2, 32
	s_addc_u32 s3, s3, 0
	s_cmp_lg_u32 s8, s9
	s_waitcnt lgkmcnt(0)
	v_mul_hi_u32 v2, s13, v1
	s_delay_alu instid0(VALU_DEP_1) | instskip(NEXT) | instid1(VALU_DEP_1)
	v_add_nc_u32_e32 v2, v1, v2
	v_lshrrev_b32_e32 v2, s14, v2
	s_delay_alu instid0(VALU_DEP_1) | instskip(SKIP_1) | instid1(VALU_DEP_2)
	v_mul_hi_u32 v4, s16, v2
	v_mul_lo_u32 v8, v2, s12
	v_add_nc_u32_e32 v4, v2, v4
	s_delay_alu instid0(VALU_DEP_2) | instskip(NEXT) | instid1(VALU_DEP_2)
	v_sub_nc_u32_e32 v1, v1, v8
	v_lshrrev_b32_e32 v4, s17, v4
	s_delay_alu instid0(VALU_DEP_2) | instskip(SKIP_1) | instid1(VALU_DEP_3)
	v_mul_lo_u32 v8, v1, s24
	v_mul_lo_u32 v10, v1, s25
	v_mul_hi_u32 v7, s19, v4
	s_delay_alu instid0(VALU_DEP_1) | instskip(NEXT) | instid1(VALU_DEP_1)
	v_add_nc_u32_e32 v7, v4, v7
	v_lshrrev_b32_e32 v7, s36, v7
	s_delay_alu instid0(VALU_DEP_1) | instskip(SKIP_1) | instid1(VALU_DEP_2)
	v_mul_hi_u32 v9, s38, v7
	v_mul_lo_u32 v12, v7, s18
	v_add_nc_u32_e32 v1, v7, v9
	v_mul_lo_u32 v9, v4, s15
	s_delay_alu instid0(VALU_DEP_3) | instskip(NEXT) | instid1(VALU_DEP_3)
	v_sub_nc_u32_e32 v4, v4, v12
	v_lshrrev_b32_e32 v1, s39, v1
	s_delay_alu instid0(VALU_DEP_2) | instskip(SKIP_2) | instid1(VALU_DEP_4)
	v_mul_lo_u32 v12, v4, s28
	v_mul_lo_u32 v4, v4, s29
	v_sub_nc_u32_e32 v2, v2, v9
	v_mul_lo_u32 v13, v1, s37
	s_delay_alu instid0(VALU_DEP_2) | instskip(SKIP_1) | instid1(VALU_DEP_3)
	v_mul_lo_u32 v9, v2, s26
	v_mul_lo_u32 v2, v2, s27
	v_sub_nc_u32_e32 v7, v7, v13
	s_delay_alu instid0(VALU_DEP_3) | instskip(NEXT) | instid1(VALU_DEP_2)
	v_add3_u32 v0, v8, v0, v9
	v_mul_lo_u32 v13, v7, s30
	v_mul_lo_u32 v7, v7, s31
	v_add3_u32 v2, v10, v5, v2
	s_delay_alu instid0(VALU_DEP_3) | instskip(NEXT) | instid1(VALU_DEP_2)
	v_add3_u32 v0, v12, v0, v13
	v_add3_u32 v5, v4, v2, v7
	s_cbranch_scc1 .LBB7_12
; %bb.13:
	s_and_b32 s7, s7, 3
	s_delay_alu instid0(SALU_CYCLE_1)
	s_cmp_eq_u32 s7, 0
	s_cbranch_scc0 .LBB7_24
	s_branch .LBB7_26
.LBB7_14:
	s_or_b32 exec_lo, exec_lo, s30
	s_delay_alu instid0(SALU_CYCLE_1)
	s_mov_b32 s30, exec_lo
	v_cmpx_gt_i32_e64 s27, v11
	s_cbranch_execz .LBB7_137
.LBB7_15:
	s_and_not1_b32 vcc_lo, exec_lo, s24
	s_cbranch_vccnz .LBB7_22
; %bb.16:
	v_dual_mov_b32 v0, 0 :: v_dual_mov_b32 v1, 0
	s_and_not1_b32 vcc_lo, exec_lo, s29
	s_mov_b32 s31, 0
	s_cbranch_vccnz .LBB7_148
; %bb.17:
	v_mov_b32_e32 v0, 0
	s_add_i32 s34, s28, 1
	s_cmp_eq_u32 s23, 2
	s_mov_b32 s33, 0
	s_cbranch_scc1 .LBB7_144
; %bb.18:
	v_dual_mov_b32 v1, 0 :: v_dual_mov_b32 v0, 0
	v_mov_b32_e32 v2, v11
	s_and_b32 s33, s34, 28
	s_mov_b32 s35, 0
	s_mov_b64 s[18:19], s[16:17]
	s_mov_b64 s[20:21], s[0:1]
.LBB7_19:                               ; =>This Inner Loop Header: Depth=1
	s_clause 0x1
	s_load_b256 s[36:43], s[20:21], 0x4
	s_load_b128 s[52:55], s[20:21], 0x24
	s_load_b256 s[44:51], s[18:19], 0x0
	s_add_u32 s20, s20, 48
	s_addc_u32 s21, s21, 0
	s_add_i32 s35, s35, 4
	s_add_u32 s18, s18, 32
	s_addc_u32 s19, s19, 0
	s_cmp_eq_u32 s33, s35
	s_waitcnt lgkmcnt(0)
	v_mul_hi_u32 v3, s37, v2
	s_delay_alu instid0(VALU_DEP_1) | instskip(NEXT) | instid1(VALU_DEP_1)
	v_add_nc_u32_e32 v3, v2, v3
	v_lshrrev_b32_e32 v3, s38, v3
	s_delay_alu instid0(VALU_DEP_1) | instskip(SKIP_1) | instid1(VALU_DEP_2)
	v_mul_hi_u32 v4, s40, v3
	v_mul_lo_u32 v6, v3, s36
	v_add_nc_u32_e32 v4, v3, v4
	s_delay_alu instid0(VALU_DEP_2) | instskip(NEXT) | instid1(VALU_DEP_2)
	v_sub_nc_u32_e32 v2, v2, v6
	v_lshrrev_b32_e32 v4, s41, v4
	s_delay_alu instid0(VALU_DEP_2) | instskip(SKIP_1) | instid1(VALU_DEP_3)
	v_mul_lo_u32 v6, v2, s44
	v_mul_lo_u32 v8, v2, s45
	v_mul_hi_u32 v5, s43, v4
	s_delay_alu instid0(VALU_DEP_1) | instskip(NEXT) | instid1(VALU_DEP_1)
	v_add_nc_u32_e32 v5, v4, v5
	v_lshrrev_b32_e32 v5, s52, v5
	s_delay_alu instid0(VALU_DEP_1) | instskip(SKIP_1) | instid1(VALU_DEP_2)
	v_mul_hi_u32 v7, s54, v5
	v_mul_lo_u32 v9, v5, s42
	v_add_nc_u32_e32 v2, v5, v7
	v_mul_lo_u32 v7, v4, s39
	s_delay_alu instid0(VALU_DEP_3) | instskip(NEXT) | instid1(VALU_DEP_3)
	v_sub_nc_u32_e32 v4, v4, v9
	v_lshrrev_b32_e32 v2, s55, v2
	s_delay_alu instid0(VALU_DEP_2) | instskip(SKIP_2) | instid1(VALU_DEP_4)
	v_mul_lo_u32 v9, v4, s48
	v_mul_lo_u32 v4, v4, s49
	v_sub_nc_u32_e32 v3, v3, v7
	v_mul_lo_u32 v10, v2, s53
	s_delay_alu instid0(VALU_DEP_2) | instskip(SKIP_1) | instid1(VALU_DEP_3)
	v_mul_lo_u32 v7, v3, s46
	v_mul_lo_u32 v3, v3, s47
	v_sub_nc_u32_e32 v5, v5, v10
	s_delay_alu instid0(VALU_DEP_3) | instskip(NEXT) | instid1(VALU_DEP_2)
	v_add3_u32 v0, v6, v0, v7
	v_mul_lo_u32 v10, v5, s50
	v_mul_lo_u32 v5, v5, s51
	v_add3_u32 v1, v8, v1, v3
	s_delay_alu instid0(VALU_DEP_3) | instskip(NEXT) | instid1(VALU_DEP_2)
	v_add3_u32 v0, v9, v0, v10
	v_add3_u32 v1, v4, v1, v5
	s_cbranch_scc0 .LBB7_19
	s_branch .LBB7_145
.LBB7_20:
	s_mov_b32 s6, -1
                                        ; implicit-def: $vgpr0
                                        ; implicit-def: $vgpr5
	s_branch .LBB7_26
.LBB7_21:
	s_mov_b32 s31, -1
                                        ; implicit-def: $vgpr0
                                        ; implicit-def: $vgpr1
	s_branch .LBB7_121
.LBB7_22:
	s_mov_b32 s31, -1
                                        ; implicit-def: $vgpr0
                                        ; implicit-def: $vgpr1
	s_branch .LBB7_148
.LBB7_23:
	v_mov_b32_e32 v1, v11
	v_mov_b32_e32 v5, 0
	s_and_b32 s7, s7, 3
	s_delay_alu instid0(SALU_CYCLE_1)
	s_cmp_eq_u32 s7, 0
	s_cbranch_scc1 .LBB7_26
.LBB7_24:
	s_lshl_b32 s2, s8, 3
	s_mul_i32 s4, s8, 12
	s_add_u32 s2, s2, s0
	s_addc_u32 s3, 0, s1
	s_add_u32 s2, s2, 0xc4
	s_addc_u32 s3, s3, 0
	;; [unrolled: 2-line block ×3, first 2 shown]
	.p2align	6
.LBB7_25:                               ; =>This Inner Loop Header: Depth=1
	s_clause 0x1
	s_load_b64 s[8:9], s[4:5], 0x4
	s_load_b32 s12, s[4:5], 0xc
	s_load_b64 s[10:11], s[2:3], 0x0
	s_add_u32 s4, s4, 12
	s_addc_u32 s5, s5, 0
	s_add_u32 s2, s2, 8
	s_addc_u32 s3, s3, 0
	s_add_i32 s7, s7, -1
	s_delay_alu instid0(SALU_CYCLE_1) | instskip(SKIP_2) | instid1(VALU_DEP_1)
	s_cmp_lg_u32 s7, 0
	s_waitcnt lgkmcnt(0)
	v_mul_hi_u32 v2, s9, v1
	v_add_nc_u32_e32 v2, v1, v2
	s_delay_alu instid0(VALU_DEP_1) | instskip(NEXT) | instid1(VALU_DEP_1)
	v_lshrrev_b32_e32 v2, s12, v2
	v_mul_lo_u32 v4, v2, s8
	s_delay_alu instid0(VALU_DEP_1) | instskip(NEXT) | instid1(VALU_DEP_1)
	v_sub_nc_u32_e32 v1, v1, v4
	v_mad_u64_u32 v[7:8], null, v1, s10, v[0:1]
	v_mad_u64_u32 v[8:9], null, v1, s11, v[5:6]
	s_delay_alu instid0(VALU_DEP_2) | instskip(NEXT) | instid1(VALU_DEP_2)
	v_dual_mov_b32 v1, v2 :: v_dual_mov_b32 v0, v7
	v_mov_b32_e32 v5, v8
	s_cbranch_scc1 .LBB7_25
.LBB7_26:
	s_and_not1_b32 vcc_lo, exec_lo, s6
	s_cbranch_vccnz .LBB7_29
; %bb.27:
	s_clause 0x1
	s_load_b128 s[4:7], s[0:1], 0x4
	s_load_b64 s[2:3], s[0:1], 0xc4
	s_cmp_lt_u32 s22, 2
	s_waitcnt lgkmcnt(0)
	v_mul_hi_u32 v0, s5, v11
	s_delay_alu instid0(VALU_DEP_1) | instskip(NEXT) | instid1(VALU_DEP_1)
	v_add_nc_u32_e32 v0, v11, v0
	v_lshrrev_b32_e32 v1, s6, v0
	s_delay_alu instid0(VALU_DEP_1) | instskip(NEXT) | instid1(VALU_DEP_1)
	v_mul_lo_u32 v0, v1, s4
	v_sub_nc_u32_e32 v2, v11, v0
	s_delay_alu instid0(VALU_DEP_1)
	v_mul_lo_u32 v0, v2, s2
	v_mul_lo_u32 v5, v2, s3
	s_cbranch_scc1 .LBB7_29
; %bb.28:
	s_clause 0x1
	s_load_b128 s[4:7], s[0:1], 0x10
	s_load_b64 s[2:3], s[0:1], 0xcc
	s_waitcnt lgkmcnt(0)
	v_mul_hi_u32 v2, s5, v1
	s_delay_alu instid0(VALU_DEP_1) | instskip(NEXT) | instid1(VALU_DEP_1)
	v_add_nc_u32_e32 v2, v1, v2
	v_lshrrev_b32_e32 v2, s6, v2
	s_delay_alu instid0(VALU_DEP_1) | instskip(NEXT) | instid1(VALU_DEP_1)
	v_mul_lo_u32 v2, v2, s4
	v_sub_nc_u32_e32 v4, v1, v2
	s_delay_alu instid0(VALU_DEP_1) | instskip(SKIP_1) | instid1(VALU_DEP_1)
	v_mad_u64_u32 v[1:2], null, v4, s2, v[0:1]
	v_mad_u64_u32 v[7:8], null, v4, s3, v[5:6]
	v_dual_mov_b32 v0, v1 :: v_dual_mov_b32 v5, v7
.LBB7_29:
	v_cmp_ne_u32_e32 vcc_lo, 1, v3
	v_add_nc_u32_e32 v2, 0x80, v11
	s_cbranch_vccnz .LBB7_35
; %bb.30:
	v_dual_mov_b32 v1, 0 :: v_dual_mov_b32 v8, 0
	s_cmp_lg_u32 s22, 0
	s_mov_b32 s6, 0
	s_cbranch_scc0 .LBB7_39
; %bb.31:
	s_min_u32 s7, s23, 15
	v_mov_b32_e32 v1, 0
	s_add_i32 s7, s7, 1
	s_cmp_eq_u32 s23, 2
	s_mov_b32 s8, 0
	s_cbranch_scc1 .LBB7_36
; %bb.32:
	v_dual_mov_b32 v8, 0 :: v_dual_mov_b32 v1, 0
	v_mov_b32_e32 v4, v2
	s_add_u32 s2, s0, 0xc4
	s_addc_u32 s3, s1, 0
	s_and_b32 s8, s7, 28
	s_mov_b32 s9, 0
	s_mov_b64 s[4:5], s[0:1]
.LBB7_33:                               ; =>This Inner Loop Header: Depth=1
	s_clause 0x1
	s_load_b256 s[12:19], s[4:5], 0x4
	s_load_b128 s[36:39], s[4:5], 0x24
	s_load_b256 s[24:31], s[2:3], 0x0
	s_add_u32 s4, s4, 48
	s_addc_u32 s5, s5, 0
	s_add_i32 s9, s9, 4
	s_add_u32 s2, s2, 32
	s_addc_u32 s3, s3, 0
	s_cmp_lg_u32 s8, s9
	s_waitcnt lgkmcnt(0)
	v_mul_hi_u32 v7, s13, v4
	s_delay_alu instid0(VALU_DEP_1) | instskip(NEXT) | instid1(VALU_DEP_1)
	v_add_nc_u32_e32 v7, v4, v7
	v_lshrrev_b32_e32 v7, s14, v7
	s_delay_alu instid0(VALU_DEP_1) | instskip(SKIP_1) | instid1(VALU_DEP_2)
	v_mul_hi_u32 v9, s16, v7
	v_mul_lo_u32 v12, v7, s12
	v_add_nc_u32_e32 v9, v7, v9
	s_delay_alu instid0(VALU_DEP_2) | instskip(NEXT) | instid1(VALU_DEP_2)
	v_sub_nc_u32_e32 v4, v4, v12
	v_lshrrev_b32_e32 v9, s17, v9
	s_delay_alu instid0(VALU_DEP_2) | instskip(SKIP_1) | instid1(VALU_DEP_3)
	v_mul_lo_u32 v12, v4, s24
	v_mul_lo_u32 v14, v4, s25
	v_mul_hi_u32 v10, s19, v9
	s_delay_alu instid0(VALU_DEP_1) | instskip(NEXT) | instid1(VALU_DEP_1)
	v_add_nc_u32_e32 v10, v9, v10
	v_lshrrev_b32_e32 v10, s36, v10
	s_delay_alu instid0(VALU_DEP_1) | instskip(SKIP_1) | instid1(VALU_DEP_2)
	v_mul_hi_u32 v13, s38, v10
	v_mul_lo_u32 v15, v10, s18
	v_add_nc_u32_e32 v4, v10, v13
	v_mul_lo_u32 v13, v9, s15
	s_delay_alu instid0(VALU_DEP_3) | instskip(NEXT) | instid1(VALU_DEP_3)
	v_sub_nc_u32_e32 v9, v9, v15
	v_lshrrev_b32_e32 v4, s39, v4
	s_delay_alu instid0(VALU_DEP_2) | instskip(SKIP_2) | instid1(VALU_DEP_4)
	v_mul_lo_u32 v15, v9, s28
	v_mul_lo_u32 v9, v9, s29
	v_sub_nc_u32_e32 v7, v7, v13
	v_mul_lo_u32 v16, v4, s37
	s_delay_alu instid0(VALU_DEP_2) | instskip(SKIP_1) | instid1(VALU_DEP_3)
	v_mul_lo_u32 v13, v7, s26
	v_mul_lo_u32 v7, v7, s27
	v_sub_nc_u32_e32 v10, v10, v16
	s_delay_alu instid0(VALU_DEP_3) | instskip(NEXT) | instid1(VALU_DEP_2)
	v_add3_u32 v1, v12, v1, v13
	v_mul_lo_u32 v16, v10, s30
	v_mul_lo_u32 v10, v10, s31
	v_add3_u32 v7, v14, v8, v7
	s_delay_alu instid0(VALU_DEP_3) | instskip(NEXT) | instid1(VALU_DEP_2)
	v_add3_u32 v1, v15, v1, v16
	v_add3_u32 v8, v9, v7, v10
	s_cbranch_scc1 .LBB7_33
; %bb.34:
	s_and_b32 s7, s7, 3
	s_delay_alu instid0(SALU_CYCLE_1)
	s_cmp_eq_u32 s7, 0
	s_cbranch_scc0 .LBB7_37
	s_branch .LBB7_39
.LBB7_35:
	s_mov_b32 s6, -1
                                        ; implicit-def: $vgpr1
                                        ; implicit-def: $vgpr8
	s_branch .LBB7_39
.LBB7_36:
	v_mov_b32_e32 v4, v2
	v_mov_b32_e32 v8, 0
	s_and_b32 s7, s7, 3
	s_delay_alu instid0(SALU_CYCLE_1)
	s_cmp_eq_u32 s7, 0
	s_cbranch_scc1 .LBB7_39
.LBB7_37:
	s_lshl_b32 s2, s8, 3
	s_mul_i32 s4, s8, 12
	s_add_u32 s2, s2, s0
	s_addc_u32 s3, 0, s1
	s_add_u32 s2, s2, 0xc4
	s_addc_u32 s3, s3, 0
	;; [unrolled: 2-line block ×3, first 2 shown]
	.p2align	6
.LBB7_38:                               ; =>This Inner Loop Header: Depth=1
	s_clause 0x1
	s_load_b64 s[8:9], s[4:5], 0x4
	s_load_b32 s12, s[4:5], 0xc
	s_load_b64 s[10:11], s[2:3], 0x0
	s_add_u32 s4, s4, 12
	s_addc_u32 s5, s5, 0
	s_add_u32 s2, s2, 8
	s_addc_u32 s3, s3, 0
	s_add_i32 s7, s7, -1
	s_delay_alu instid0(SALU_CYCLE_1) | instskip(SKIP_2) | instid1(VALU_DEP_1)
	s_cmp_lg_u32 s7, 0
	s_waitcnt lgkmcnt(0)
	v_mul_hi_u32 v7, s9, v4
	v_add_nc_u32_e32 v7, v4, v7
	s_delay_alu instid0(VALU_DEP_1) | instskip(NEXT) | instid1(VALU_DEP_1)
	v_lshrrev_b32_e32 v7, s12, v7
	v_mul_lo_u32 v9, v7, s8
	s_delay_alu instid0(VALU_DEP_1) | instskip(NEXT) | instid1(VALU_DEP_1)
	v_sub_nc_u32_e32 v4, v4, v9
	v_mad_u64_u32 v[9:10], null, v4, s10, v[1:2]
	s_delay_alu instid0(VALU_DEP_1) | instskip(SKIP_1) | instid1(VALU_DEP_2)
	v_mad_u64_u32 v[12:13], null, v4, s11, v[8:9]
	v_dual_mov_b32 v4, v7 :: v_dual_mov_b32 v1, v9
	v_mov_b32_e32 v8, v12
	s_cbranch_scc1 .LBB7_38
.LBB7_39:
	s_and_not1_b32 vcc_lo, exec_lo, s6
	s_cbranch_vccnz .LBB7_42
; %bb.40:
	s_clause 0x1
	s_load_b128 s[4:7], s[0:1], 0x4
	s_load_b64 s[2:3], s[0:1], 0xc4
	s_cmp_lt_u32 s22, 2
	s_waitcnt lgkmcnt(0)
	v_mul_hi_u32 v1, s5, v2
	s_delay_alu instid0(VALU_DEP_1) | instskip(NEXT) | instid1(VALU_DEP_1)
	v_add_nc_u32_e32 v1, v2, v1
	v_lshrrev_b32_e32 v4, s6, v1
	s_delay_alu instid0(VALU_DEP_1) | instskip(NEXT) | instid1(VALU_DEP_1)
	v_mul_lo_u32 v1, v4, s4
	v_sub_nc_u32_e32 v2, v2, v1
	s_delay_alu instid0(VALU_DEP_1)
	v_mul_lo_u32 v1, v2, s2
	v_mul_lo_u32 v8, v2, s3
	s_cbranch_scc1 .LBB7_42
; %bb.41:
	s_clause 0x1
	s_load_b128 s[4:7], s[0:1], 0x10
	s_load_b64 s[2:3], s[0:1], 0xcc
	s_waitcnt lgkmcnt(0)
	v_mul_hi_u32 v2, s5, v4
	s_delay_alu instid0(VALU_DEP_1) | instskip(NEXT) | instid1(VALU_DEP_1)
	v_add_nc_u32_e32 v2, v4, v2
	v_lshrrev_b32_e32 v2, s6, v2
	s_delay_alu instid0(VALU_DEP_1) | instskip(NEXT) | instid1(VALU_DEP_1)
	v_mul_lo_u32 v2, v2, s4
	v_sub_nc_u32_e32 v2, v4, v2
	s_delay_alu instid0(VALU_DEP_1) | instskip(NEXT) | instid1(VALU_DEP_1)
	v_mad_u64_u32 v[9:10], null, v2, s2, v[1:2]
	v_mov_b32_e32 v1, v9
	v_mad_u64_u32 v[12:13], null, v2, s3, v[8:9]
	s_delay_alu instid0(VALU_DEP_1)
	v_mov_b32_e32 v8, v12
.LBB7_42:
	v_cmp_ne_u32_e32 vcc_lo, 1, v3
	v_add_nc_u32_e32 v4, 0x100, v11
	s_cbranch_vccnz .LBB7_48
; %bb.43:
	v_dual_mov_b32 v2, 0 :: v_dual_mov_b32 v7, 0
	s_cmp_lg_u32 s22, 0
	s_mov_b32 s6, 0
	s_cbranch_scc0 .LBB7_52
; %bb.44:
	s_min_u32 s7, s23, 15
	v_mov_b32_e32 v2, 0
	s_add_i32 s7, s7, 1
	s_cmp_eq_u32 s23, 2
	s_mov_b32 s8, 0
	s_cbranch_scc1 .LBB7_49
; %bb.45:
	v_dual_mov_b32 v7, 0 :: v_dual_mov_b32 v2, 0
	v_mov_b32_e32 v9, v4
	s_add_u32 s2, s0, 0xc4
	s_addc_u32 s3, s1, 0
	s_and_b32 s8, s7, 28
	s_mov_b32 s9, 0
	s_mov_b64 s[4:5], s[0:1]
.LBB7_46:                               ; =>This Inner Loop Header: Depth=1
	s_clause 0x1
	s_load_b256 s[12:19], s[4:5], 0x4
	s_load_b128 s[36:39], s[4:5], 0x24
	s_load_b256 s[24:31], s[2:3], 0x0
	s_add_u32 s4, s4, 48
	s_addc_u32 s5, s5, 0
	s_add_i32 s9, s9, 4
	s_add_u32 s2, s2, 32
	s_addc_u32 s3, s3, 0
	s_cmp_lg_u32 s8, s9
	s_waitcnt lgkmcnt(0)
	v_mul_hi_u32 v10, s13, v9
	s_delay_alu instid0(VALU_DEP_1) | instskip(NEXT) | instid1(VALU_DEP_1)
	v_add_nc_u32_e32 v10, v9, v10
	v_lshrrev_b32_e32 v10, s14, v10
	s_delay_alu instid0(VALU_DEP_1) | instskip(SKIP_1) | instid1(VALU_DEP_2)
	v_mul_hi_u32 v11, s16, v10
	v_mul_lo_u32 v13, v10, s12
	v_add_nc_u32_e32 v11, v10, v11
	s_delay_alu instid0(VALU_DEP_2) | instskip(NEXT) | instid1(VALU_DEP_2)
	v_sub_nc_u32_e32 v9, v9, v13
	v_lshrrev_b32_e32 v11, s17, v11
	s_delay_alu instid0(VALU_DEP_2) | instskip(SKIP_1) | instid1(VALU_DEP_3)
	v_mul_lo_u32 v13, v9, s24
	v_mul_lo_u32 v15, v9, s25
	v_mul_hi_u32 v12, s19, v11
	s_delay_alu instid0(VALU_DEP_1) | instskip(NEXT) | instid1(VALU_DEP_1)
	v_add_nc_u32_e32 v12, v11, v12
	v_lshrrev_b32_e32 v12, s36, v12
	s_delay_alu instid0(VALU_DEP_1) | instskip(SKIP_1) | instid1(VALU_DEP_2)
	v_mul_hi_u32 v14, s38, v12
	v_mul_lo_u32 v16, v12, s18
	v_add_nc_u32_e32 v9, v12, v14
	v_mul_lo_u32 v14, v11, s15
	s_delay_alu instid0(VALU_DEP_3) | instskip(NEXT) | instid1(VALU_DEP_3)
	v_sub_nc_u32_e32 v11, v11, v16
	v_lshrrev_b32_e32 v9, s39, v9
	s_delay_alu instid0(VALU_DEP_2) | instskip(SKIP_2) | instid1(VALU_DEP_4)
	v_mul_lo_u32 v16, v11, s28
	v_mul_lo_u32 v11, v11, s29
	v_sub_nc_u32_e32 v10, v10, v14
	v_mul_lo_u32 v17, v9, s37
	s_delay_alu instid0(VALU_DEP_2) | instskip(SKIP_1) | instid1(VALU_DEP_3)
	v_mul_lo_u32 v14, v10, s26
	v_mul_lo_u32 v10, v10, s27
	v_sub_nc_u32_e32 v12, v12, v17
	s_delay_alu instid0(VALU_DEP_3) | instskip(NEXT) | instid1(VALU_DEP_2)
	v_add3_u32 v2, v13, v2, v14
	v_mul_lo_u32 v17, v12, s30
	v_mul_lo_u32 v12, v12, s31
	v_add3_u32 v7, v15, v7, v10
	s_delay_alu instid0(VALU_DEP_3) | instskip(NEXT) | instid1(VALU_DEP_2)
	v_add3_u32 v2, v16, v2, v17
	v_add3_u32 v7, v11, v7, v12
	s_cbranch_scc1 .LBB7_46
; %bb.47:
	s_and_b32 s7, s7, 3
	s_delay_alu instid0(SALU_CYCLE_1)
	s_cmp_eq_u32 s7, 0
	s_cbranch_scc0 .LBB7_50
	s_branch .LBB7_52
.LBB7_48:
	s_mov_b32 s6, -1
                                        ; implicit-def: $vgpr2
                                        ; implicit-def: $vgpr7
	s_branch .LBB7_52
.LBB7_49:
	v_mov_b32_e32 v9, v4
	v_mov_b32_e32 v7, 0
	s_and_b32 s7, s7, 3
	s_delay_alu instid0(SALU_CYCLE_1)
	s_cmp_eq_u32 s7, 0
	s_cbranch_scc1 .LBB7_52
.LBB7_50:
	s_lshl_b32 s2, s8, 3
	s_mul_i32 s4, s8, 12
	s_add_u32 s2, s2, s0
	s_addc_u32 s3, 0, s1
	s_add_u32 s2, s2, 0xc4
	s_addc_u32 s3, s3, 0
	;; [unrolled: 2-line block ×3, first 2 shown]
	.p2align	6
.LBB7_51:                               ; =>This Inner Loop Header: Depth=1
	s_clause 0x1
	s_load_b64 s[8:9], s[4:5], 0x4
	s_load_b32 s12, s[4:5], 0xc
	s_load_b64 s[10:11], s[2:3], 0x0
	s_add_u32 s4, s4, 12
	s_addc_u32 s5, s5, 0
	s_add_u32 s2, s2, 8
	s_addc_u32 s3, s3, 0
	s_add_i32 s7, s7, -1
	s_delay_alu instid0(SALU_CYCLE_1) | instskip(SKIP_2) | instid1(VALU_DEP_1)
	s_cmp_lg_u32 s7, 0
	s_waitcnt lgkmcnt(0)
	v_mul_hi_u32 v10, s9, v9
	v_add_nc_u32_e32 v10, v9, v10
	s_delay_alu instid0(VALU_DEP_1) | instskip(NEXT) | instid1(VALU_DEP_1)
	v_lshrrev_b32_e32 v13, s12, v10
	v_mul_lo_u32 v10, v13, s8
	s_delay_alu instid0(VALU_DEP_1) | instskip(NEXT) | instid1(VALU_DEP_1)
	v_sub_nc_u32_e32 v9, v9, v10
	v_mad_u64_u32 v[10:11], null, v9, s10, v[2:3]
	v_mad_u64_u32 v[11:12], null, v9, s11, v[7:8]
	s_delay_alu instid0(VALU_DEP_2) | instskip(NEXT) | instid1(VALU_DEP_2)
	v_dual_mov_b32 v9, v13 :: v_dual_mov_b32 v2, v10
	v_mov_b32_e32 v7, v11
	s_cbranch_scc1 .LBB7_51
.LBB7_52:
	s_and_not1_b32 vcc_lo, exec_lo, s6
	s_cbranch_vccnz .LBB7_55
; %bb.53:
	s_clause 0x1
	s_load_b128 s[4:7], s[0:1], 0x4
	s_load_b64 s[2:3], s[0:1], 0xc4
	s_cmp_lt_u32 s22, 2
	s_waitcnt lgkmcnt(0)
	v_mul_hi_u32 v2, s5, v4
	s_delay_alu instid0(VALU_DEP_1) | instskip(NEXT) | instid1(VALU_DEP_1)
	v_add_nc_u32_e32 v2, v4, v2
	v_lshrrev_b32_e32 v9, s6, v2
	s_delay_alu instid0(VALU_DEP_1) | instskip(NEXT) | instid1(VALU_DEP_1)
	v_mul_lo_u32 v2, v9, s4
	v_sub_nc_u32_e32 v4, v4, v2
	s_delay_alu instid0(VALU_DEP_1)
	v_mul_lo_u32 v2, v4, s2
	v_mul_lo_u32 v7, v4, s3
	s_cbranch_scc1 .LBB7_55
; %bb.54:
	s_clause 0x1
	s_load_b128 s[4:7], s[0:1], 0x10
	s_load_b64 s[2:3], s[0:1], 0xcc
	s_waitcnt lgkmcnt(0)
	v_mul_hi_u32 v4, s5, v9
	s_delay_alu instid0(VALU_DEP_1) | instskip(NEXT) | instid1(VALU_DEP_1)
	v_add_nc_u32_e32 v4, v9, v4
	v_lshrrev_b32_e32 v4, s6, v4
	s_delay_alu instid0(VALU_DEP_1) | instskip(NEXT) | instid1(VALU_DEP_1)
	v_mul_lo_u32 v4, v4, s4
	v_sub_nc_u32_e32 v4, v9, v4
	s_delay_alu instid0(VALU_DEP_1) | instskip(SKIP_1) | instid1(VALU_DEP_1)
	v_mad_u64_u32 v[9:10], null, v4, s2, v[2:3]
	v_mad_u64_u32 v[10:11], null, v4, s3, v[7:8]
	v_dual_mov_b32 v2, v9 :: v_dual_mov_b32 v7, v10
.LBB7_55:
	v_cmp_ne_u32_e32 vcc_lo, 1, v3
	s_cbranch_vccnz .LBB7_61
; %bb.56:
	v_dual_mov_b32 v3, 0 :: v_dual_mov_b32 v4, 0
	s_cmp_lg_u32 s22, 0
	s_mov_b32 s6, 0
	s_cbranch_scc0 .LBB7_65
; %bb.57:
	s_min_u32 s7, s23, 15
	v_mov_b32_e32 v3, 0
	s_add_i32 s7, s7, 1
	s_cmp_eq_u32 s23, 2
	s_mov_b32 s8, 0
	s_cbranch_scc1 .LBB7_62
; %bb.58:
	v_dual_mov_b32 v4, 0 :: v_dual_mov_b32 v3, 0
	v_mov_b32_e32 v9, v6
	s_add_u32 s2, s0, 0xc4
	s_addc_u32 s3, s1, 0
	s_and_b32 s8, s7, 28
	s_mov_b32 s9, 0
	s_mov_b64 s[4:5], s[0:1]
.LBB7_59:                               ; =>This Inner Loop Header: Depth=1
	s_clause 0x1
	s_load_b256 s[12:19], s[4:5], 0x4
	s_load_b128 s[36:39], s[4:5], 0x24
	s_load_b256 s[24:31], s[2:3], 0x0
	s_add_u32 s4, s4, 48
	s_addc_u32 s5, s5, 0
	s_add_i32 s9, s9, 4
	s_add_u32 s2, s2, 32
	s_addc_u32 s3, s3, 0
	s_cmp_lg_u32 s8, s9
	s_waitcnt lgkmcnt(0)
	v_mul_hi_u32 v10, s13, v9
	s_delay_alu instid0(VALU_DEP_1) | instskip(NEXT) | instid1(VALU_DEP_1)
	v_add_nc_u32_e32 v10, v9, v10
	v_lshrrev_b32_e32 v10, s14, v10
	s_delay_alu instid0(VALU_DEP_1) | instskip(SKIP_1) | instid1(VALU_DEP_2)
	v_mul_hi_u32 v11, s16, v10
	v_mul_lo_u32 v13, v10, s12
	v_add_nc_u32_e32 v11, v10, v11
	s_delay_alu instid0(VALU_DEP_2) | instskip(NEXT) | instid1(VALU_DEP_2)
	v_sub_nc_u32_e32 v9, v9, v13
	v_lshrrev_b32_e32 v11, s17, v11
	s_delay_alu instid0(VALU_DEP_2) | instskip(SKIP_1) | instid1(VALU_DEP_3)
	v_mul_lo_u32 v13, v9, s24
	v_mul_lo_u32 v15, v9, s25
	v_mul_hi_u32 v12, s19, v11
	s_delay_alu instid0(VALU_DEP_1) | instskip(NEXT) | instid1(VALU_DEP_1)
	v_add_nc_u32_e32 v12, v11, v12
	v_lshrrev_b32_e32 v12, s36, v12
	s_delay_alu instid0(VALU_DEP_1) | instskip(SKIP_1) | instid1(VALU_DEP_2)
	v_mul_hi_u32 v14, s38, v12
	v_mul_lo_u32 v16, v12, s18
	v_add_nc_u32_e32 v9, v12, v14
	v_mul_lo_u32 v14, v11, s15
	s_delay_alu instid0(VALU_DEP_3) | instskip(NEXT) | instid1(VALU_DEP_3)
	v_sub_nc_u32_e32 v11, v11, v16
	v_lshrrev_b32_e32 v9, s39, v9
	s_delay_alu instid0(VALU_DEP_2) | instskip(SKIP_2) | instid1(VALU_DEP_4)
	v_mul_lo_u32 v16, v11, s28
	v_mul_lo_u32 v11, v11, s29
	v_sub_nc_u32_e32 v10, v10, v14
	v_mul_lo_u32 v17, v9, s37
	s_delay_alu instid0(VALU_DEP_2) | instskip(SKIP_1) | instid1(VALU_DEP_3)
	v_mul_lo_u32 v14, v10, s26
	v_mul_lo_u32 v10, v10, s27
	v_sub_nc_u32_e32 v12, v12, v17
	s_delay_alu instid0(VALU_DEP_3) | instskip(NEXT) | instid1(VALU_DEP_2)
	v_add3_u32 v3, v13, v3, v14
	v_mul_lo_u32 v17, v12, s30
	v_mul_lo_u32 v12, v12, s31
	v_add3_u32 v4, v15, v4, v10
	s_delay_alu instid0(VALU_DEP_3) | instskip(NEXT) | instid1(VALU_DEP_2)
	v_add3_u32 v3, v16, v3, v17
	v_add3_u32 v4, v11, v4, v12
	s_cbranch_scc1 .LBB7_59
; %bb.60:
	s_and_b32 s7, s7, 3
	s_delay_alu instid0(SALU_CYCLE_1)
	s_cmp_eq_u32 s7, 0
	s_cbranch_scc0 .LBB7_63
	s_branch .LBB7_65
.LBB7_61:
	s_mov_b32 s6, -1
                                        ; implicit-def: $vgpr3
                                        ; implicit-def: $vgpr4
	s_branch .LBB7_65
.LBB7_62:
	v_dual_mov_b32 v9, v6 :: v_dual_mov_b32 v4, 0
	s_and_b32 s7, s7, 3
	s_delay_alu instid0(SALU_CYCLE_1)
	s_cmp_eq_u32 s7, 0
	s_cbranch_scc1 .LBB7_65
.LBB7_63:
	s_lshl_b32 s2, s8, 3
	s_mul_i32 s4, s8, 12
	s_add_u32 s2, s2, s0
	s_addc_u32 s3, 0, s1
	s_add_u32 s2, s2, 0xc4
	s_addc_u32 s3, s3, 0
	;; [unrolled: 2-line block ×3, first 2 shown]
	.p2align	6
.LBB7_64:                               ; =>This Inner Loop Header: Depth=1
	s_clause 0x1
	s_load_b64 s[8:9], s[4:5], 0x4
	s_load_b32 s12, s[4:5], 0xc
	s_load_b64 s[10:11], s[2:3], 0x0
	s_add_u32 s4, s4, 12
	s_addc_u32 s5, s5, 0
	s_add_u32 s2, s2, 8
	s_addc_u32 s3, s3, 0
	s_add_i32 s7, s7, -1
	s_delay_alu instid0(SALU_CYCLE_1) | instskip(SKIP_2) | instid1(VALU_DEP_1)
	s_cmp_lg_u32 s7, 0
	s_waitcnt lgkmcnt(0)
	v_mul_hi_u32 v10, s9, v9
	v_add_nc_u32_e32 v10, v9, v10
	s_delay_alu instid0(VALU_DEP_1) | instskip(NEXT) | instid1(VALU_DEP_1)
	v_lshrrev_b32_e32 v13, s12, v10
	v_mul_lo_u32 v10, v13, s8
	s_delay_alu instid0(VALU_DEP_1) | instskip(NEXT) | instid1(VALU_DEP_1)
	v_sub_nc_u32_e32 v9, v9, v10
	v_mad_u64_u32 v[10:11], null, v9, s10, v[3:4]
	v_mad_u64_u32 v[11:12], null, v9, s11, v[4:5]
	v_mov_b32_e32 v9, v13
	s_delay_alu instid0(VALU_DEP_2)
	v_dual_mov_b32 v3, v10 :: v_dual_mov_b32 v4, v11
	s_cbranch_scc1 .LBB7_64
.LBB7_65:
	s_and_not1_b32 vcc_lo, exec_lo, s6
	s_cbranch_vccnz .LBB7_68
; %bb.66:
	s_clause 0x1
	s_load_b128 s[4:7], s[0:1], 0x4
	s_load_b64 s[2:3], s[0:1], 0xc4
	s_cmp_lt_u32 s22, 2
	s_waitcnt lgkmcnt(0)
	v_mul_hi_u32 v3, s5, v6
	s_delay_alu instid0(VALU_DEP_1) | instskip(NEXT) | instid1(VALU_DEP_1)
	v_add_nc_u32_e32 v3, v6, v3
	v_lshrrev_b32_e32 v9, s6, v3
	s_delay_alu instid0(VALU_DEP_1) | instskip(NEXT) | instid1(VALU_DEP_1)
	v_mul_lo_u32 v3, v9, s4
	v_sub_nc_u32_e32 v4, v6, v3
	s_delay_alu instid0(VALU_DEP_1)
	v_mul_lo_u32 v3, v4, s2
	v_mul_lo_u32 v4, v4, s3
	s_cbranch_scc1 .LBB7_68
; %bb.67:
	s_clause 0x1
	s_load_b128 s[4:7], s[0:1], 0x10
	s_load_b64 s[2:3], s[0:1], 0xcc
	s_waitcnt lgkmcnt(0)
	v_mul_hi_u32 v6, s5, v9
	s_delay_alu instid0(VALU_DEP_1) | instskip(NEXT) | instid1(VALU_DEP_1)
	v_add_nc_u32_e32 v6, v9, v6
	v_lshrrev_b32_e32 v6, s6, v6
	s_delay_alu instid0(VALU_DEP_1) | instskip(NEXT) | instid1(VALU_DEP_1)
	v_mul_lo_u32 v6, v6, s4
	v_sub_nc_u32_e32 v6, v9, v6
	s_delay_alu instid0(VALU_DEP_1) | instskip(SKIP_1) | instid1(VALU_DEP_1)
	v_mad_u64_u32 v[9:10], null, v6, s2, v[3:4]
	v_mad_u64_u32 v[10:11], null, v6, s3, v[4:5]
	v_dual_mov_b32 v3, v9 :: v_dual_mov_b32 v4, v10
.LBB7_68:
	s_load_b128 s[0:3], s[0:1], 0x148
	s_waitcnt lgkmcnt(0)
	global_load_b64 v[9:10], v5, s[2:3]
                                        ; implicit-def: $vgpr5_vgpr6
	s_waitcnt vmcnt(0)
	v_cmp_ge_f64_e64 s4, 0x40200000, |v[9:10]|
	s_delay_alu instid0(VALU_DEP_1) | instskip(NEXT) | instid1(SALU_CYCLE_1)
	s_and_saveexec_b32 s5, s4
	s_xor_b32 s4, exec_lo, s5
	s_cbranch_execz .LBB7_74
; %bb.69:
	v_fma_f64 v[5:6], |v[9:10]|, 0.5, -2.0
	s_mov_b32 s6, 0xc38a0576
	s_mov_b32 s7, 0xbc7857d0
	;; [unrolled: 1-line block ×4, first 2 shown]
	s_mov_b32 s5, exec_lo
	s_delay_alu instid0(VALU_DEP_1) | instskip(SKIP_3) | instid1(VALU_DEP_1)
	v_fma_f64 v[11:12], v[5:6], s[8:9], s[6:7]
	s_mov_b32 s9, 0xbc499f2a
	s_mov_b32 s6, 0xe593bfac
	;; [unrolled: 1-line block ×3, first 2 shown]
	v_fma_f64 v[13:14], v[5:6], v[11:12], s[8:9]
	s_delay_alu instid0(VALU_DEP_1) | instskip(SKIP_2) | instid1(VALU_DEP_1)
	v_add_f64 v[13:14], v[13:14], s[6:7]
	s_mov_b32 s6, 0x7e0d1573
	s_mov_b32 s7, 0xbcd3eaaa
	v_fma_f64 v[11:12], v[5:6], v[13:14], -v[11:12]
	s_delay_alu instid0(VALU_DEP_1) | instskip(SKIP_2) | instid1(VALU_DEP_1)
	v_add_f64 v[11:12], v[11:12], s[6:7]
	s_mov_b32 s6, 0x615290c
	s_mov_b32 s7, 0x3d011d7f
	v_fma_f64 v[13:14], v[5:6], v[11:12], -v[13:14]
	;; [unrolled: 5-line block ×26, first 2 shown]
	s_delay_alu instid0(VALU_DEP_1) | instskip(NEXT) | instid1(VALU_DEP_1)
	v_add_f64 v[5:6], v[5:6], s[6:7]
	v_add_f64 v[11:12], v[5:6], -v[13:14]
                                        ; implicit-def: $vgpr5_vgpr6
	v_cmpx_ngt_f64_e32 0, v[9:10]
	s_xor_b32 s5, exec_lo, s5
	s_cbranch_execz .LBB7_71
; %bb.70:
	s_mov_b32 s6, 0x652b82fe
	s_mov_b32 s7, 0x3ff71547
	;; [unrolled: 1-line block ×3, first 2 shown]
	v_mul_f64 v[5:6], |v[9:10]|, s[6:7]
	s_mov_b32 s6, 0xfefa39ef
	s_mov_b32 s7, 0xbfe62e42
	;; [unrolled: 1-line block ×3, first 2 shown]
	s_delay_alu instid0(VALU_DEP_3) | instskip(SKIP_1) | instid1(VALU_DEP_3)
	v_mul_f64 v[11:12], v[11:12], 0.5
	v_cmp_nlt_f64_e64 vcc_lo, 0x40900000, |v[9:10]|
	v_rndne_f64_e32 v[5:6], v[5:6]
	s_delay_alu instid0(VALU_DEP_1) | instskip(SKIP_4) | instid1(VALU_DEP_3)
	v_fma_f64 v[13:14], v[5:6], s[6:7], |v[9:10]|
	s_mov_b32 s6, 0x3b39803f
	s_mov_b32 s7, 0xbc7abc9e
	v_cvt_i32_f64_e32 v17, v[5:6]
	v_mul_f64 v[9:10], |v[9:10]|, v[11:12]
                                        ; implicit-def: $vgpr11_vgpr12
	v_fma_f64 v[13:14], v[5:6], s[6:7], v[13:14]
	s_mov_b32 s6, 0xfca7ab0c
	s_mov_b32 s7, 0x3e928af3
	s_delay_alu instid0(VALU_DEP_1) | instid1(SALU_CYCLE_1)
	v_fma_f64 v[15:16], v[13:14], s[8:9], s[6:7]
	s_mov_b32 s6, 0x623fde64
	s_mov_b32 s7, 0x3ec71dee
	s_delay_alu instid0(VALU_DEP_1) | instid1(SALU_CYCLE_1)
	;; [unrolled: 4-line block ×9, first 2 shown]
	v_fma_f64 v[15:16], v[13:14], v[15:16], s[6:7]
	s_delay_alu instid0(VALU_DEP_1) | instskip(NEXT) | instid1(VALU_DEP_1)
	v_fma_f64 v[15:16], v[13:14], v[15:16], 1.0
	v_fma_f64 v[5:6], v[13:14], v[15:16], 1.0
	s_delay_alu instid0(VALU_DEP_1) | instskip(NEXT) | instid1(VALU_DEP_1)
	v_ldexp_f64 v[5:6], v[5:6], v17
	v_cndmask_b32_e32 v6, 0x7ff00000, v6, vcc_lo
	s_delay_alu instid0(VALU_DEP_2) | instskip(NEXT) | instid1(VALU_DEP_1)
	v_cndmask_b32_e32 v5, 0, v5, vcc_lo
	v_mul_f64 v[5:6], v[5:6], v[9:10]
                                        ; implicit-def: $vgpr9_vgpr10
.LBB7_71:
	s_and_not1_saveexec_b32 s5, s5
	s_cbranch_execz .LBB7_73
; %bb.72:
	s_mov_b32 s6, 0x652b82fe
	s_mov_b32 s7, 0x3ff71547
	s_mov_b32 s8, 0x6a5dcb37
	v_mul_f64 v[5:6], |v[9:10]|, s[6:7]
	s_mov_b32 s6, 0xfefa39ef
	s_mov_b32 s7, 0xbfe62e42
	;; [unrolled: 1-line block ×3, first 2 shown]
	s_delay_alu instid0(VALU_DEP_3) | instskip(SKIP_1) | instid1(VALU_DEP_3)
	v_mul_f64 v[11:12], v[11:12], -0.5
	v_cmp_nlt_f64_e64 vcc_lo, 0x40900000, |v[9:10]|
	v_rndne_f64_e32 v[5:6], v[5:6]
	s_delay_alu instid0(VALU_DEP_1) | instskip(SKIP_4) | instid1(VALU_DEP_3)
	v_fma_f64 v[13:14], v[5:6], s[6:7], |v[9:10]|
	s_mov_b32 s6, 0x3b39803f
	s_mov_b32 s7, 0xbc7abc9e
	v_cvt_i32_f64_e32 v17, v[5:6]
	v_mul_f64 v[9:10], |v[9:10]|, v[11:12]
	v_fma_f64 v[13:14], v[5:6], s[6:7], v[13:14]
	s_mov_b32 s6, 0xfca7ab0c
	s_mov_b32 s7, 0x3e928af3
	s_delay_alu instid0(VALU_DEP_1) | instid1(SALU_CYCLE_1)
	v_fma_f64 v[15:16], v[13:14], s[8:9], s[6:7]
	s_mov_b32 s6, 0x623fde64
	s_mov_b32 s7, 0x3ec71dee
	s_delay_alu instid0(VALU_DEP_1) | instid1(SALU_CYCLE_1)
	v_fma_f64 v[15:16], v[13:14], v[15:16], s[6:7]
	s_mov_b32 s6, 0x7c89e6b0
	s_mov_b32 s7, 0x3efa0199
	s_delay_alu instid0(VALU_DEP_1) | instid1(SALU_CYCLE_1)
	v_fma_f64 v[15:16], v[13:14], v[15:16], s[6:7]
	s_mov_b32 s6, 0x14761f6e
	s_mov_b32 s7, 0x3f2a01a0
	s_delay_alu instid0(VALU_DEP_1) | instid1(SALU_CYCLE_1)
	v_fma_f64 v[15:16], v[13:14], v[15:16], s[6:7]
	s_mov_b32 s6, 0x1852b7b0
	s_mov_b32 s7, 0x3f56c16c
	s_delay_alu instid0(VALU_DEP_1) | instid1(SALU_CYCLE_1)
	v_fma_f64 v[15:16], v[13:14], v[15:16], s[6:7]
	s_mov_b32 s6, 0x11122322
	s_mov_b32 s7, 0x3f811111
	s_delay_alu instid0(VALU_DEP_1) | instid1(SALU_CYCLE_1)
	v_fma_f64 v[15:16], v[13:14], v[15:16], s[6:7]
	s_mov_b32 s6, 0x555502a1
	s_mov_b32 s7, 0x3fa55555
	s_delay_alu instid0(VALU_DEP_1) | instid1(SALU_CYCLE_1)
	v_fma_f64 v[15:16], v[13:14], v[15:16], s[6:7]
	s_mov_b32 s6, 0x55555511
	s_mov_b32 s7, 0x3fc55555
	s_delay_alu instid0(VALU_DEP_1) | instid1(SALU_CYCLE_1)
	v_fma_f64 v[15:16], v[13:14], v[15:16], s[6:7]
	s_mov_b32 s6, 11
	s_mov_b32 s7, 0x3fe00000
	s_delay_alu instid0(VALU_DEP_1) | instid1(SALU_CYCLE_1)
	v_fma_f64 v[15:16], v[13:14], v[15:16], s[6:7]
	s_delay_alu instid0(VALU_DEP_1) | instskip(NEXT) | instid1(VALU_DEP_1)
	v_fma_f64 v[15:16], v[13:14], v[15:16], 1.0
	v_fma_f64 v[5:6], v[13:14], v[15:16], 1.0
	s_delay_alu instid0(VALU_DEP_1) | instskip(NEXT) | instid1(VALU_DEP_1)
	v_ldexp_f64 v[5:6], v[5:6], v17
	v_cndmask_b32_e32 v6, 0x7ff00000, v6, vcc_lo
	s_delay_alu instid0(VALU_DEP_2) | instskip(NEXT) | instid1(VALU_DEP_1)
	v_cndmask_b32_e32 v5, 0, v5, vcc_lo
	v_mul_f64 v[5:6], v[5:6], v[9:10]
.LBB7_73:
	s_or_b32 exec_lo, exec_lo, s5
                                        ; implicit-def: $vgpr9_vgpr10
.LBB7_74:
	s_and_not1_saveexec_b32 s4, s4
	s_cbranch_execz .LBB7_80
; %bb.75:
	v_dual_mov_b32 v5, v9 :: v_dual_and_b32 v6, 0x7fffffff, v10
	s_mov_b32 s6, 0xea87b950
	s_mov_b32 s7, 0x3c545b8a
	;; [unrolled: 1-line block ×4, first 2 shown]
	v_div_scale_f64 v[11:12], null, v[5:6], v[5:6], 0x40400000
	v_div_scale_f64 v[5:6], vcc_lo, 0x40400000, v[5:6], 0x40400000
	s_mov_b32 s10, 0x2e9e5443
	s_mov_b32 s11, 0xbe90dbfd
	s_mov_b32 s5, exec_lo
	s_delay_alu instid0(VALU_DEP_2) | instskip(SKIP_2) | instid1(VALU_DEP_1)
	v_rcp_f64_e32 v[13:14], v[11:12]
	s_waitcnt_depctr 0xfff
	v_fma_f64 v[15:16], -v[11:12], v[13:14], 1.0
	v_fma_f64 v[13:14], v[13:14], v[15:16], v[13:14]
	s_delay_alu instid0(VALU_DEP_1) | instskip(NEXT) | instid1(VALU_DEP_1)
	v_fma_f64 v[15:16], -v[11:12], v[13:14], 1.0
	v_fma_f64 v[13:14], v[13:14], v[15:16], v[13:14]
	s_delay_alu instid0(VALU_DEP_1) | instskip(NEXT) | instid1(VALU_DEP_1)
	v_mul_f64 v[15:16], v[5:6], v[13:14]
	v_fma_f64 v[5:6], -v[11:12], v[15:16], v[5:6]
	s_delay_alu instid0(VALU_DEP_1) | instskip(NEXT) | instid1(VALU_DEP_1)
	v_div_fmas_f64 v[5:6], v[5:6], v[13:14], v[15:16]
	v_div_fixup_f64 v[5:6], v[5:6], |v[9:10]|, 0x40400000
	s_delay_alu instid0(VALU_DEP_1) | instskip(NEXT) | instid1(VALU_DEP_1)
	v_add_f64 v[5:6], v[5:6], -2.0
	v_fma_f64 v[11:12], v[5:6], s[8:9], s[6:7]
	s_mov_b32 s9, 0xbc61556d
	s_mov_b32 s6, 0xb2532277
	;; [unrolled: 1-line block ×3, first 2 shown]
	s_delay_alu instid0(VALU_DEP_1) | instskip(SKIP_2) | instid1(VALU_DEP_1)
	v_fma_f64 v[13:14], v[5:6], v[11:12], s[8:9]
	s_mov_b32 s8, 0x9ad53528
	s_mov_b32 s9, 0xbe30790b
	v_add_f64 v[13:14], v[13:14], s[6:7]
	s_mov_b32 s6, 0x9c773320
	s_mov_b32 s7, 0xbc82806c
	s_delay_alu instid0(VALU_DEP_1) | instskip(NEXT) | instid1(VALU_DEP_1)
	v_fma_f64 v[11:12], v[5:6], v[13:14], -v[11:12]
	v_add_f64 v[11:12], v[11:12], s[6:7]
	s_mov_b32 s6, 0xfceb588a
	s_mov_b32 s7, 0x3cb55915
	s_delay_alu instid0(VALU_DEP_1) | instskip(NEXT) | instid1(VALU_DEP_1)
	v_fma_f64 v[13:14], v[5:6], v[11:12], -v[13:14]
	;; [unrolled: 5-line block ×15, first 2 shown]
	v_add_f64 v[11:12], v[11:12], s[6:7]
	s_mov_b32 s6, 0x652b82fe
	s_mov_b32 s7, 0x3ff71547
	s_delay_alu instid0(SALU_CYCLE_1) | instskip(SKIP_2) | instid1(VALU_DEP_2)
	v_mul_f64 v[15:16], |v[9:10]|, s[6:7]
	s_mov_b32 s6, 0xfefa39ef
	s_mov_b32 s7, 0xbfe62e42
	v_fma_f64 v[13:14], v[5:6], v[11:12], -v[13:14]
	s_delay_alu instid0(VALU_DEP_2) | instskip(NEXT) | instid1(VALU_DEP_2)
	v_rndne_f64_e32 v[15:16], v[15:16]
	v_add_f64 v[13:14], v[13:14], s[8:9]
	s_mov_b32 s8, 0x94bb46c1
	s_mov_b32 s9, 0xbe5c4153
	s_delay_alu instid0(VALU_DEP_2) | instskip(SKIP_2) | instid1(VALU_DEP_2)
	v_fma_f64 v[17:18], v[15:16], s[6:7], |v[9:10]|
	s_mov_b32 s6, 0x3b39803f
	s_mov_b32 s7, 0xbc7abc9e
	v_fma_f64 v[11:12], v[5:6], v[13:14], -v[11:12]
	s_delay_alu instid0(VALU_DEP_2) | instskip(SKIP_3) | instid1(VALU_DEP_3)
	v_fma_f64 v[17:18], v[15:16], s[6:7], v[17:18]
	s_mov_b32 s6, 0xfca7ab0c
	s_mov_b32 s7, 0x3e928af3
	v_cvt_i32_f64_e32 v15, v[15:16]
	v_add_f64 v[11:12], v[11:12], s[8:9]
	s_mov_b32 s8, 0x6a5dcb37
	s_mov_b32 s9, 0x3e5ade15
	s_delay_alu instid0(VALU_DEP_3) | instid1(SALU_CYCLE_1)
	v_fma_f64 v[19:20], v[17:18], s[8:9], s[6:7]
	s_mov_b32 s6, 0x623fde64
	s_mov_b32 s7, 0x3ec71dee
	;; [unrolled: 1-line block ×4, first 2 shown]
	s_delay_alu instid0(VALU_DEP_2) | instskip(NEXT) | instid1(VALU_DEP_2)
	v_fma_f64 v[13:14], v[5:6], v[11:12], -v[13:14]
	v_fma_f64 v[19:20], v[17:18], v[19:20], s[6:7]
	s_mov_b32 s6, 0x7c89e6b0
	s_mov_b32 s7, 0x3efa0199
	s_delay_alu instid0(VALU_DEP_2) | instskip(NEXT) | instid1(VALU_DEP_2)
	v_add_f64 v[13:14], v[13:14], s[10:11]
	v_fma_f64 v[19:20], v[17:18], v[19:20], s[6:7]
	s_mov_b32 s6, 0x14761f6e
	s_mov_b32 s7, 0x3f2a01a0
	s_delay_alu instid0(VALU_DEP_2) | instskip(NEXT) | instid1(VALU_DEP_2)
	v_fma_f64 v[11:12], v[5:6], v[13:14], -v[11:12]
	v_fma_f64 v[19:20], v[17:18], v[19:20], s[6:7]
	s_mov_b32 s6, 0x1852b7b0
	s_mov_b32 s7, 0x3f56c16c
	s_delay_alu instid0(VALU_DEP_2) | instskip(SKIP_2) | instid1(VALU_DEP_2)
	v_add_f64 v[11:12], v[11:12], s[8:9]
	s_mov_b32 s8, 0x804aa9a6
	s_mov_b32 s9, 0xbf1cfd7f
	v_fma_f64 v[19:20], v[17:18], v[19:20], s[6:7]
	s_mov_b32 s6, 0x11122322
	s_mov_b32 s7, 0x3f811111
	s_delay_alu instid0(VALU_DEP_2) | instskip(NEXT) | instid1(VALU_DEP_2)
	v_fma_f64 v[13:14], v[5:6], v[11:12], -v[13:14]
	v_fma_f64 v[19:20], v[17:18], v[19:20], s[6:7]
	s_mov_b32 s6, 0x555502a1
	s_mov_b32 s7, 0x3fa55555
	s_delay_alu instid0(VALU_DEP_2) | instskip(SKIP_2) | instid1(VALU_DEP_2)
	v_add_f64 v[13:14], v[13:14], s[8:9]
	s_mov_b32 s8, 0x53fcdb4c
	s_mov_b32 s9, 0xbf83fda0
	v_fma_f64 v[19:20], v[17:18], v[19:20], s[6:7]
	s_mov_b32 s6, 0x55555511
	s_mov_b32 s7, 0x3fc55555
	s_delay_alu instid0(VALU_DEP_2) | instskip(NEXT) | instid1(VALU_DEP_2)
	v_fma_f64 v[11:12], v[5:6], v[13:14], -v[11:12]
	v_fma_f64 v[19:20], v[17:18], v[19:20], s[6:7]
	s_mov_b32 s6, 11
	s_mov_b32 s7, 0x3fe00000
	s_delay_alu instid0(VALU_DEP_2) | instskip(SKIP_2) | instid1(VALU_DEP_1)
	v_add_f64 v[11:12], v[11:12], s[8:9]
	s_mov_b32 s8, 0xb55b1514
	s_mov_b32 s9, 0x3fe8ea18
	v_fma_f64 v[5:6], v[5:6], v[11:12], -v[13:14]
	s_delay_alu instid0(VALU_DEP_3) | instskip(NEXT) | instid1(VALU_DEP_2)
	v_fma_f64 v[11:12], v[17:18], v[19:20], s[6:7]
	v_add_f64 v[5:6], v[5:6], s[8:9]
	s_delay_alu instid0(VALU_DEP_2) | instskip(NEXT) | instid1(VALU_DEP_2)
	v_fma_f64 v[11:12], v[17:18], v[11:12], 1.0
	v_add_f64 v[5:6], v[5:6], -v[13:14]
	s_delay_alu instid0(VALU_DEP_2) | instskip(NEXT) | instid1(VALU_DEP_2)
	v_fma_f64 v[13:14], v[17:18], v[11:12], 1.0
	v_mul_f64 v[11:12], v[5:6], 0.5
                                        ; implicit-def: $vgpr5_vgpr6
	v_cmpx_ngt_f64_e32 0, v[9:10]
	s_xor_b32 s5, exec_lo, s5
	s_cbranch_execz .LBB7_77
; %bb.76:
	v_cmp_gt_f64_e64 s6, 0x10000000, |v[9:10]|
	s_delay_alu instid0(VALU_DEP_4) | instskip(SKIP_1) | instid1(VALU_DEP_3)
	v_ldexp_f64 v[13:14], v[13:14], v15
	v_cmp_nlt_f64_e64 vcc_lo, 0x40900000, |v[9:10]|
	v_cndmask_b32_e64 v5, 0, 1, s6
	v_cndmask_b32_e64 v15, 0, 0xffffff80, s6
	s_delay_alu instid0(VALU_DEP_2) | instskip(NEXT) | instid1(VALU_DEP_1)
	v_dual_cndmask_b32 v14, 0x7ff00000, v14 :: v_dual_lshlrev_b32 v5, 8, v5
	v_ldexp_f64 v[5:6], |v[9:10]|, v5
	s_delay_alu instid0(VALU_DEP_1) | instskip(SKIP_3) | instid1(VALU_DEP_1)
	v_rsq_f64_e32 v[16:17], v[5:6]
	s_waitcnt_depctr 0xfff
	v_mul_f64 v[18:19], v[5:6], v[16:17]
	v_mul_f64 v[16:17], v[16:17], 0.5
	v_fma_f64 v[20:21], -v[16:17], v[18:19], 0.5
	s_delay_alu instid0(VALU_DEP_1) | instskip(SKIP_1) | instid1(VALU_DEP_2)
	v_fma_f64 v[18:19], v[18:19], v[20:21], v[18:19]
	v_fma_f64 v[16:17], v[16:17], v[20:21], v[16:17]
	v_fma_f64 v[20:21], -v[18:19], v[18:19], v[5:6]
	s_delay_alu instid0(VALU_DEP_1) | instskip(NEXT) | instid1(VALU_DEP_1)
	v_fma_f64 v[18:19], v[20:21], v[16:17], v[18:19]
	v_fma_f64 v[20:21], -v[18:19], v[18:19], v[5:6]
	s_delay_alu instid0(VALU_DEP_1) | instskip(NEXT) | instid1(VALU_DEP_1)
	v_fma_f64 v[9:10], v[20:21], v[16:17], v[18:19]
	v_ldexp_f64 v[9:10], v[9:10], v15
	v_cndmask_b32_e32 v13, 0, v13, vcc_lo
	v_cmp_class_f64_e64 vcc_lo, v[5:6], 0x260
	s_delay_alu instid0(VALU_DEP_3) | instskip(NEXT) | instid1(VALU_DEP_3)
	v_cndmask_b32_e32 v6, v10, v6, vcc_lo
	v_mul_f64 v[11:12], v[13:14], v[11:12]
	v_cndmask_b32_e32 v5, v9, v5, vcc_lo
	s_delay_alu instid0(VALU_DEP_1) | instskip(NEXT) | instid1(VALU_DEP_1)
	v_div_scale_f64 v[9:10], null, v[5:6], v[5:6], v[11:12]
	v_rcp_f64_e32 v[13:14], v[9:10]
	s_waitcnt_depctr 0xfff
	v_fma_f64 v[15:16], -v[9:10], v[13:14], 1.0
	s_delay_alu instid0(VALU_DEP_1) | instskip(NEXT) | instid1(VALU_DEP_1)
	v_fma_f64 v[13:14], v[13:14], v[15:16], v[13:14]
	v_fma_f64 v[15:16], -v[9:10], v[13:14], 1.0
	s_delay_alu instid0(VALU_DEP_1) | instskip(SKIP_1) | instid1(VALU_DEP_1)
	v_fma_f64 v[13:14], v[13:14], v[15:16], v[13:14]
	v_div_scale_f64 v[15:16], vcc_lo, v[11:12], v[5:6], v[11:12]
	v_mul_f64 v[17:18], v[15:16], v[13:14]
	s_delay_alu instid0(VALU_DEP_1) | instskip(NEXT) | instid1(VALU_DEP_1)
	v_fma_f64 v[9:10], -v[9:10], v[17:18], v[15:16]
                                        ; implicit-def: $vgpr15
	v_div_fmas_f64 v[9:10], v[9:10], v[13:14], v[17:18]
                                        ; implicit-def: $vgpr13_vgpr14
	s_delay_alu instid0(VALU_DEP_1)
	v_div_fixup_f64 v[5:6], v[9:10], v[5:6], v[11:12]
                                        ; implicit-def: $vgpr9_vgpr10
                                        ; implicit-def: $vgpr11_vgpr12
.LBB7_77:
	s_and_not1_saveexec_b32 s5, s5
	s_cbranch_execz .LBB7_79
; %bb.78:
	v_cmp_gt_f64_e64 s6, 0x10000000, |v[9:10]|
	s_delay_alu instid0(VALU_DEP_4) | instskip(SKIP_1) | instid1(VALU_DEP_3)
	v_ldexp_f64 v[13:14], -v[13:14], v15
	v_cmp_nlt_f64_e64 vcc_lo, 0x40900000, |v[9:10]|
	v_cndmask_b32_e64 v5, 0, 1, s6
	v_cndmask_b32_e64 v15, 0, 0xffffff80, s6
	s_delay_alu instid0(VALU_DEP_2) | instskip(NEXT) | instid1(VALU_DEP_1)
	v_dual_cndmask_b32 v14, 0xfff00000, v14 :: v_dual_lshlrev_b32 v5, 8, v5
	v_ldexp_f64 v[5:6], |v[9:10]|, v5
	s_delay_alu instid0(VALU_DEP_1) | instskip(SKIP_3) | instid1(VALU_DEP_1)
	v_rsq_f64_e32 v[16:17], v[5:6]
	s_waitcnt_depctr 0xfff
	v_mul_f64 v[18:19], v[5:6], v[16:17]
	v_mul_f64 v[16:17], v[16:17], 0.5
	v_fma_f64 v[20:21], -v[16:17], v[18:19], 0.5
	s_delay_alu instid0(VALU_DEP_1) | instskip(SKIP_1) | instid1(VALU_DEP_2)
	v_fma_f64 v[18:19], v[18:19], v[20:21], v[18:19]
	v_fma_f64 v[16:17], v[16:17], v[20:21], v[16:17]
	v_fma_f64 v[20:21], -v[18:19], v[18:19], v[5:6]
	s_delay_alu instid0(VALU_DEP_1) | instskip(NEXT) | instid1(VALU_DEP_1)
	v_fma_f64 v[18:19], v[20:21], v[16:17], v[18:19]
	v_fma_f64 v[20:21], -v[18:19], v[18:19], v[5:6]
	s_delay_alu instid0(VALU_DEP_1) | instskip(NEXT) | instid1(VALU_DEP_1)
	v_fma_f64 v[9:10], v[20:21], v[16:17], v[18:19]
	v_ldexp_f64 v[9:10], v[9:10], v15
	v_cndmask_b32_e32 v13, 0, v13, vcc_lo
	v_cmp_class_f64_e64 vcc_lo, v[5:6], 0x260
	s_delay_alu instid0(VALU_DEP_3) | instskip(NEXT) | instid1(VALU_DEP_3)
	v_cndmask_b32_e32 v6, v10, v6, vcc_lo
	v_mul_f64 v[11:12], v[13:14], v[11:12]
	v_cndmask_b32_e32 v5, v9, v5, vcc_lo
	s_delay_alu instid0(VALU_DEP_1) | instskip(NEXT) | instid1(VALU_DEP_1)
	v_div_scale_f64 v[9:10], null, v[5:6], v[5:6], v[11:12]
	v_rcp_f64_e32 v[13:14], v[9:10]
	s_waitcnt_depctr 0xfff
	v_fma_f64 v[15:16], -v[9:10], v[13:14], 1.0
	s_delay_alu instid0(VALU_DEP_1) | instskip(NEXT) | instid1(VALU_DEP_1)
	v_fma_f64 v[13:14], v[13:14], v[15:16], v[13:14]
	v_fma_f64 v[15:16], -v[9:10], v[13:14], 1.0
	s_delay_alu instid0(VALU_DEP_1) | instskip(SKIP_1) | instid1(VALU_DEP_1)
	v_fma_f64 v[13:14], v[13:14], v[15:16], v[13:14]
	v_div_scale_f64 v[15:16], vcc_lo, v[11:12], v[5:6], v[11:12]
	v_mul_f64 v[17:18], v[15:16], v[13:14]
	s_delay_alu instid0(VALU_DEP_1) | instskip(NEXT) | instid1(VALU_DEP_1)
	v_fma_f64 v[9:10], -v[9:10], v[17:18], v[15:16]
	v_div_fmas_f64 v[9:10], v[9:10], v[13:14], v[17:18]
	s_delay_alu instid0(VALU_DEP_1)
	v_div_fixup_f64 v[5:6], v[9:10], v[5:6], v[11:12]
.LBB7_79:
	s_or_b32 exec_lo, exec_lo, s5
.LBB7_80:
	s_delay_alu instid0(SALU_CYCLE_1) | instskip(SKIP_3) | instid1(VALU_DEP_1)
	s_or_b32 exec_lo, exec_lo, s4
	global_load_b64 v[10:11], v8, s[2:3]
                                        ; implicit-def: $vgpr8_vgpr9
	s_waitcnt vmcnt(0)
	v_cmp_ge_f64_e64 s4, 0x40200000, |v[10:11]|
	s_and_saveexec_b32 s5, s4
	s_delay_alu instid0(SALU_CYCLE_1)
	s_xor_b32 s4, exec_lo, s5
	s_cbranch_execz .LBB7_86
; %bb.81:
	v_fma_f64 v[8:9], |v[10:11]|, 0.5, -2.0
	s_mov_b32 s6, 0xc38a0576
	s_mov_b32 s7, 0xbc7857d0
	s_mov_b32 s9, 0x3c499f2a
	s_mov_b32 s8, 0xc3c4014
	s_mov_b32 s5, exec_lo
	s_delay_alu instid0(VALU_DEP_1) | instskip(SKIP_3) | instid1(VALU_DEP_1)
	v_fma_f64 v[12:13], v[8:9], s[8:9], s[6:7]
	s_mov_b32 s9, 0xbc499f2a
	s_mov_b32 s6, 0xe593bfac
	;; [unrolled: 1-line block ×3, first 2 shown]
	v_fma_f64 v[14:15], v[8:9], v[12:13], s[8:9]
	s_delay_alu instid0(VALU_DEP_1) | instskip(SKIP_2) | instid1(VALU_DEP_1)
	v_add_f64 v[14:15], v[14:15], s[6:7]
	s_mov_b32 s6, 0x7e0d1573
	s_mov_b32 s7, 0xbcd3eaaa
	v_fma_f64 v[12:13], v[8:9], v[14:15], -v[12:13]
	s_delay_alu instid0(VALU_DEP_1) | instskip(SKIP_2) | instid1(VALU_DEP_1)
	v_add_f64 v[12:13], v[12:13], s[6:7]
	s_mov_b32 s6, 0x615290c
	s_mov_b32 s7, 0x3d011d7f
	v_fma_f64 v[14:15], v[8:9], v[12:13], -v[14:15]
	;; [unrolled: 5-line block ×26, first 2 shown]
	s_delay_alu instid0(VALU_DEP_1) | instskip(NEXT) | instid1(VALU_DEP_1)
	v_add_f64 v[8:9], v[8:9], s[6:7]
	v_add_f64 v[12:13], v[8:9], -v[14:15]
                                        ; implicit-def: $vgpr8_vgpr9
	v_cmpx_ngt_f64_e32 0, v[10:11]
	s_xor_b32 s5, exec_lo, s5
	s_cbranch_execz .LBB7_83
; %bb.82:
	s_mov_b32 s6, 0x652b82fe
	s_mov_b32 s7, 0x3ff71547
	;; [unrolled: 1-line block ×3, first 2 shown]
	v_mul_f64 v[8:9], |v[10:11]|, s[6:7]
	s_mov_b32 s6, 0xfefa39ef
	s_mov_b32 s7, 0xbfe62e42
	;; [unrolled: 1-line block ×3, first 2 shown]
	s_delay_alu instid0(VALU_DEP_3) | instskip(SKIP_1) | instid1(VALU_DEP_3)
	v_mul_f64 v[12:13], v[12:13], 0.5
	v_cmp_nlt_f64_e64 vcc_lo, 0x40900000, |v[10:11]|
	v_rndne_f64_e32 v[8:9], v[8:9]
	s_delay_alu instid0(VALU_DEP_1) | instskip(SKIP_4) | instid1(VALU_DEP_3)
	v_fma_f64 v[14:15], v[8:9], s[6:7], |v[10:11]|
	s_mov_b32 s6, 0x3b39803f
	s_mov_b32 s7, 0xbc7abc9e
	v_cvt_i32_f64_e32 v18, v[8:9]
	v_mul_f64 v[10:11], |v[10:11]|, v[12:13]
                                        ; implicit-def: $vgpr12_vgpr13
	v_fma_f64 v[14:15], v[8:9], s[6:7], v[14:15]
	s_mov_b32 s6, 0xfca7ab0c
	s_mov_b32 s7, 0x3e928af3
	s_delay_alu instid0(VALU_DEP_1) | instid1(SALU_CYCLE_1)
	v_fma_f64 v[16:17], v[14:15], s[8:9], s[6:7]
	s_mov_b32 s6, 0x623fde64
	s_mov_b32 s7, 0x3ec71dee
	s_delay_alu instid0(VALU_DEP_1) | instid1(SALU_CYCLE_1)
	;; [unrolled: 4-line block ×9, first 2 shown]
	v_fma_f64 v[16:17], v[14:15], v[16:17], s[6:7]
	s_delay_alu instid0(VALU_DEP_1) | instskip(NEXT) | instid1(VALU_DEP_1)
	v_fma_f64 v[16:17], v[14:15], v[16:17], 1.0
	v_fma_f64 v[8:9], v[14:15], v[16:17], 1.0
	s_delay_alu instid0(VALU_DEP_1) | instskip(NEXT) | instid1(VALU_DEP_1)
	v_ldexp_f64 v[8:9], v[8:9], v18
	v_cndmask_b32_e32 v9, 0x7ff00000, v9, vcc_lo
	s_delay_alu instid0(VALU_DEP_2) | instskip(NEXT) | instid1(VALU_DEP_1)
	v_cndmask_b32_e32 v8, 0, v8, vcc_lo
	v_mul_f64 v[8:9], v[8:9], v[10:11]
                                        ; implicit-def: $vgpr10_vgpr11
.LBB7_83:
	s_and_not1_saveexec_b32 s5, s5
	s_cbranch_execz .LBB7_85
; %bb.84:
	s_mov_b32 s6, 0x652b82fe
	s_mov_b32 s7, 0x3ff71547
	;; [unrolled: 1-line block ×3, first 2 shown]
	v_mul_f64 v[8:9], |v[10:11]|, s[6:7]
	s_mov_b32 s6, 0xfefa39ef
	s_mov_b32 s7, 0xbfe62e42
	;; [unrolled: 1-line block ×3, first 2 shown]
	s_delay_alu instid0(VALU_DEP_3) | instskip(SKIP_1) | instid1(VALU_DEP_3)
	v_mul_f64 v[12:13], v[12:13], -0.5
	v_cmp_nlt_f64_e64 vcc_lo, 0x40900000, |v[10:11]|
	v_rndne_f64_e32 v[8:9], v[8:9]
	s_delay_alu instid0(VALU_DEP_1) | instskip(SKIP_4) | instid1(VALU_DEP_3)
	v_fma_f64 v[14:15], v[8:9], s[6:7], |v[10:11]|
	s_mov_b32 s6, 0x3b39803f
	s_mov_b32 s7, 0xbc7abc9e
	v_cvt_i32_f64_e32 v18, v[8:9]
	v_mul_f64 v[10:11], |v[10:11]|, v[12:13]
	v_fma_f64 v[14:15], v[8:9], s[6:7], v[14:15]
	s_mov_b32 s6, 0xfca7ab0c
	s_mov_b32 s7, 0x3e928af3
	s_delay_alu instid0(VALU_DEP_1) | instid1(SALU_CYCLE_1)
	v_fma_f64 v[16:17], v[14:15], s[8:9], s[6:7]
	s_mov_b32 s6, 0x623fde64
	s_mov_b32 s7, 0x3ec71dee
	s_delay_alu instid0(VALU_DEP_1) | instid1(SALU_CYCLE_1)
	;; [unrolled: 4-line block ×9, first 2 shown]
	v_fma_f64 v[16:17], v[14:15], v[16:17], s[6:7]
	s_delay_alu instid0(VALU_DEP_1) | instskip(NEXT) | instid1(VALU_DEP_1)
	v_fma_f64 v[16:17], v[14:15], v[16:17], 1.0
	v_fma_f64 v[8:9], v[14:15], v[16:17], 1.0
	s_delay_alu instid0(VALU_DEP_1) | instskip(NEXT) | instid1(VALU_DEP_1)
	v_ldexp_f64 v[8:9], v[8:9], v18
	v_cndmask_b32_e32 v9, 0x7ff00000, v9, vcc_lo
	s_delay_alu instid0(VALU_DEP_2) | instskip(NEXT) | instid1(VALU_DEP_1)
	v_cndmask_b32_e32 v8, 0, v8, vcc_lo
	v_mul_f64 v[8:9], v[8:9], v[10:11]
.LBB7_85:
	s_or_b32 exec_lo, exec_lo, s5
                                        ; implicit-def: $vgpr10_vgpr11
.LBB7_86:
	s_and_not1_saveexec_b32 s4, s4
	s_cbranch_execz .LBB7_92
; %bb.87:
	v_dual_mov_b32 v8, v10 :: v_dual_and_b32 v9, 0x7fffffff, v11
	s_mov_b32 s6, 0xea87b950
	s_mov_b32 s7, 0x3c545b8a
	;; [unrolled: 1-line block ×4, first 2 shown]
	v_div_scale_f64 v[12:13], null, v[8:9], v[8:9], 0x40400000
	v_div_scale_f64 v[8:9], vcc_lo, 0x40400000, v[8:9], 0x40400000
	s_mov_b32 s10, 0x2e9e5443
	s_mov_b32 s11, 0xbe90dbfd
	s_mov_b32 s5, exec_lo
	s_delay_alu instid0(VALU_DEP_2) | instskip(SKIP_2) | instid1(VALU_DEP_1)
	v_rcp_f64_e32 v[14:15], v[12:13]
	s_waitcnt_depctr 0xfff
	v_fma_f64 v[16:17], -v[12:13], v[14:15], 1.0
	v_fma_f64 v[14:15], v[14:15], v[16:17], v[14:15]
	s_delay_alu instid0(VALU_DEP_1) | instskip(NEXT) | instid1(VALU_DEP_1)
	v_fma_f64 v[16:17], -v[12:13], v[14:15], 1.0
	v_fma_f64 v[14:15], v[14:15], v[16:17], v[14:15]
	s_delay_alu instid0(VALU_DEP_1) | instskip(NEXT) | instid1(VALU_DEP_1)
	v_mul_f64 v[16:17], v[8:9], v[14:15]
	v_fma_f64 v[8:9], -v[12:13], v[16:17], v[8:9]
	s_delay_alu instid0(VALU_DEP_1) | instskip(NEXT) | instid1(VALU_DEP_1)
	v_div_fmas_f64 v[8:9], v[8:9], v[14:15], v[16:17]
	v_div_fixup_f64 v[8:9], v[8:9], |v[10:11]|, 0x40400000
	s_delay_alu instid0(VALU_DEP_1) | instskip(NEXT) | instid1(VALU_DEP_1)
	v_add_f64 v[8:9], v[8:9], -2.0
	v_fma_f64 v[12:13], v[8:9], s[8:9], s[6:7]
	s_mov_b32 s9, 0xbc61556d
	s_mov_b32 s6, 0xb2532277
	;; [unrolled: 1-line block ×3, first 2 shown]
	s_delay_alu instid0(VALU_DEP_1) | instskip(SKIP_2) | instid1(VALU_DEP_1)
	v_fma_f64 v[14:15], v[8:9], v[12:13], s[8:9]
	s_mov_b32 s8, 0x9ad53528
	s_mov_b32 s9, 0xbe30790b
	v_add_f64 v[14:15], v[14:15], s[6:7]
	s_mov_b32 s6, 0x9c773320
	s_mov_b32 s7, 0xbc82806c
	s_delay_alu instid0(VALU_DEP_1) | instskip(NEXT) | instid1(VALU_DEP_1)
	v_fma_f64 v[12:13], v[8:9], v[14:15], -v[12:13]
	v_add_f64 v[12:13], v[12:13], s[6:7]
	s_mov_b32 s6, 0xfceb588a
	s_mov_b32 s7, 0x3cb55915
	s_delay_alu instid0(VALU_DEP_1) | instskip(NEXT) | instid1(VALU_DEP_1)
	v_fma_f64 v[14:15], v[8:9], v[12:13], -v[14:15]
	;; [unrolled: 5-line block ×15, first 2 shown]
	v_add_f64 v[12:13], v[12:13], s[6:7]
	s_mov_b32 s6, 0x652b82fe
	s_mov_b32 s7, 0x3ff71547
	s_delay_alu instid0(SALU_CYCLE_1) | instskip(SKIP_2) | instid1(VALU_DEP_2)
	v_mul_f64 v[16:17], |v[10:11]|, s[6:7]
	s_mov_b32 s6, 0xfefa39ef
	s_mov_b32 s7, 0xbfe62e42
	v_fma_f64 v[14:15], v[8:9], v[12:13], -v[14:15]
	s_delay_alu instid0(VALU_DEP_2) | instskip(NEXT) | instid1(VALU_DEP_2)
	v_rndne_f64_e32 v[16:17], v[16:17]
	v_add_f64 v[14:15], v[14:15], s[8:9]
	s_mov_b32 s8, 0x94bb46c1
	s_mov_b32 s9, 0xbe5c4153
	s_delay_alu instid0(VALU_DEP_2) | instskip(SKIP_2) | instid1(VALU_DEP_2)
	v_fma_f64 v[18:19], v[16:17], s[6:7], |v[10:11]|
	s_mov_b32 s6, 0x3b39803f
	s_mov_b32 s7, 0xbc7abc9e
	v_fma_f64 v[12:13], v[8:9], v[14:15], -v[12:13]
	s_delay_alu instid0(VALU_DEP_2) | instskip(SKIP_3) | instid1(VALU_DEP_3)
	v_fma_f64 v[18:19], v[16:17], s[6:7], v[18:19]
	s_mov_b32 s6, 0xfca7ab0c
	s_mov_b32 s7, 0x3e928af3
	v_cvt_i32_f64_e32 v16, v[16:17]
	v_add_f64 v[12:13], v[12:13], s[8:9]
	s_mov_b32 s8, 0x6a5dcb37
	s_mov_b32 s9, 0x3e5ade15
	s_delay_alu instid0(VALU_DEP_3) | instid1(SALU_CYCLE_1)
	v_fma_f64 v[20:21], v[18:19], s[8:9], s[6:7]
	s_mov_b32 s6, 0x623fde64
	s_mov_b32 s7, 0x3ec71dee
	;; [unrolled: 1-line block ×4, first 2 shown]
	s_delay_alu instid0(VALU_DEP_2) | instskip(NEXT) | instid1(VALU_DEP_2)
	v_fma_f64 v[14:15], v[8:9], v[12:13], -v[14:15]
	v_fma_f64 v[20:21], v[18:19], v[20:21], s[6:7]
	s_mov_b32 s6, 0x7c89e6b0
	s_mov_b32 s7, 0x3efa0199
	s_delay_alu instid0(VALU_DEP_2) | instskip(NEXT) | instid1(VALU_DEP_2)
	v_add_f64 v[14:15], v[14:15], s[10:11]
	v_fma_f64 v[20:21], v[18:19], v[20:21], s[6:7]
	s_mov_b32 s6, 0x14761f6e
	s_mov_b32 s7, 0x3f2a01a0
	s_delay_alu instid0(VALU_DEP_2) | instskip(NEXT) | instid1(VALU_DEP_2)
	v_fma_f64 v[12:13], v[8:9], v[14:15], -v[12:13]
	v_fma_f64 v[20:21], v[18:19], v[20:21], s[6:7]
	s_mov_b32 s6, 0x1852b7b0
	s_mov_b32 s7, 0x3f56c16c
	s_delay_alu instid0(VALU_DEP_2) | instskip(SKIP_2) | instid1(VALU_DEP_2)
	v_add_f64 v[12:13], v[12:13], s[8:9]
	s_mov_b32 s8, 0x804aa9a6
	s_mov_b32 s9, 0xbf1cfd7f
	v_fma_f64 v[20:21], v[18:19], v[20:21], s[6:7]
	s_mov_b32 s6, 0x11122322
	s_mov_b32 s7, 0x3f811111
	s_delay_alu instid0(VALU_DEP_2) | instskip(NEXT) | instid1(VALU_DEP_2)
	v_fma_f64 v[14:15], v[8:9], v[12:13], -v[14:15]
	v_fma_f64 v[20:21], v[18:19], v[20:21], s[6:7]
	s_mov_b32 s6, 0x555502a1
	s_mov_b32 s7, 0x3fa55555
	s_delay_alu instid0(VALU_DEP_2) | instskip(SKIP_2) | instid1(VALU_DEP_2)
	v_add_f64 v[14:15], v[14:15], s[8:9]
	s_mov_b32 s8, 0x53fcdb4c
	s_mov_b32 s9, 0xbf83fda0
	v_fma_f64 v[20:21], v[18:19], v[20:21], s[6:7]
	s_mov_b32 s6, 0x55555511
	s_mov_b32 s7, 0x3fc55555
	s_delay_alu instid0(VALU_DEP_2) | instskip(NEXT) | instid1(VALU_DEP_2)
	v_fma_f64 v[12:13], v[8:9], v[14:15], -v[12:13]
	v_fma_f64 v[20:21], v[18:19], v[20:21], s[6:7]
	s_mov_b32 s6, 11
	s_mov_b32 s7, 0x3fe00000
	s_delay_alu instid0(VALU_DEP_2) | instskip(SKIP_2) | instid1(VALU_DEP_1)
	v_add_f64 v[12:13], v[12:13], s[8:9]
	s_mov_b32 s8, 0xb55b1514
	s_mov_b32 s9, 0x3fe8ea18
	v_fma_f64 v[8:9], v[8:9], v[12:13], -v[14:15]
	s_delay_alu instid0(VALU_DEP_3) | instskip(NEXT) | instid1(VALU_DEP_2)
	v_fma_f64 v[12:13], v[18:19], v[20:21], s[6:7]
	v_add_f64 v[8:9], v[8:9], s[8:9]
	s_delay_alu instid0(VALU_DEP_2) | instskip(NEXT) | instid1(VALU_DEP_2)
	v_fma_f64 v[12:13], v[18:19], v[12:13], 1.0
	v_add_f64 v[8:9], v[8:9], -v[14:15]
	s_delay_alu instid0(VALU_DEP_2) | instskip(NEXT) | instid1(VALU_DEP_2)
	v_fma_f64 v[14:15], v[18:19], v[12:13], 1.0
	v_mul_f64 v[12:13], v[8:9], 0.5
                                        ; implicit-def: $vgpr8_vgpr9
	v_cmpx_ngt_f64_e32 0, v[10:11]
	s_xor_b32 s5, exec_lo, s5
	s_cbranch_execz .LBB7_89
; %bb.88:
	v_cmp_gt_f64_e64 s6, 0x10000000, |v[10:11]|
	s_delay_alu instid0(VALU_DEP_4) | instskip(SKIP_1) | instid1(VALU_DEP_3)
	v_ldexp_f64 v[14:15], v[14:15], v16
	v_cmp_nlt_f64_e64 vcc_lo, 0x40900000, |v[10:11]|
	v_cndmask_b32_e64 v8, 0, 1, s6
	v_cndmask_b32_e64 v16, 0, 0xffffff80, s6
	s_delay_alu instid0(VALU_DEP_2) | instskip(NEXT) | instid1(VALU_DEP_1)
	v_dual_cndmask_b32 v15, 0x7ff00000, v15 :: v_dual_lshlrev_b32 v8, 8, v8
	v_ldexp_f64 v[8:9], |v[10:11]|, v8
	s_delay_alu instid0(VALU_DEP_1) | instskip(SKIP_3) | instid1(VALU_DEP_1)
	v_rsq_f64_e32 v[17:18], v[8:9]
	s_waitcnt_depctr 0xfff
	v_mul_f64 v[19:20], v[8:9], v[17:18]
	v_mul_f64 v[17:18], v[17:18], 0.5
	v_fma_f64 v[21:22], -v[17:18], v[19:20], 0.5
	s_delay_alu instid0(VALU_DEP_1) | instskip(SKIP_1) | instid1(VALU_DEP_2)
	v_fma_f64 v[19:20], v[19:20], v[21:22], v[19:20]
	v_fma_f64 v[17:18], v[17:18], v[21:22], v[17:18]
	v_fma_f64 v[21:22], -v[19:20], v[19:20], v[8:9]
	s_delay_alu instid0(VALU_DEP_1) | instskip(NEXT) | instid1(VALU_DEP_1)
	v_fma_f64 v[19:20], v[21:22], v[17:18], v[19:20]
	v_fma_f64 v[21:22], -v[19:20], v[19:20], v[8:9]
	s_delay_alu instid0(VALU_DEP_1) | instskip(NEXT) | instid1(VALU_DEP_1)
	v_fma_f64 v[10:11], v[21:22], v[17:18], v[19:20]
	v_ldexp_f64 v[10:11], v[10:11], v16
	v_cndmask_b32_e32 v14, 0, v14, vcc_lo
	v_cmp_class_f64_e64 vcc_lo, v[8:9], 0x260
	s_delay_alu instid0(VALU_DEP_3) | instskip(NEXT) | instid1(VALU_DEP_3)
	v_cndmask_b32_e32 v9, v11, v9, vcc_lo
	v_mul_f64 v[12:13], v[14:15], v[12:13]
	v_cndmask_b32_e32 v8, v10, v8, vcc_lo
	s_delay_alu instid0(VALU_DEP_1) | instskip(NEXT) | instid1(VALU_DEP_1)
	v_div_scale_f64 v[10:11], null, v[8:9], v[8:9], v[12:13]
	v_rcp_f64_e32 v[14:15], v[10:11]
	s_waitcnt_depctr 0xfff
	v_fma_f64 v[16:17], -v[10:11], v[14:15], 1.0
	s_delay_alu instid0(VALU_DEP_1) | instskip(NEXT) | instid1(VALU_DEP_1)
	v_fma_f64 v[14:15], v[14:15], v[16:17], v[14:15]
	v_fma_f64 v[16:17], -v[10:11], v[14:15], 1.0
	s_delay_alu instid0(VALU_DEP_1) | instskip(SKIP_1) | instid1(VALU_DEP_1)
	v_fma_f64 v[14:15], v[14:15], v[16:17], v[14:15]
	v_div_scale_f64 v[16:17], vcc_lo, v[12:13], v[8:9], v[12:13]
	v_mul_f64 v[18:19], v[16:17], v[14:15]
	s_delay_alu instid0(VALU_DEP_1) | instskip(NEXT) | instid1(VALU_DEP_1)
	v_fma_f64 v[10:11], -v[10:11], v[18:19], v[16:17]
                                        ; implicit-def: $vgpr16
	v_div_fmas_f64 v[10:11], v[10:11], v[14:15], v[18:19]
                                        ; implicit-def: $vgpr14_vgpr15
	s_delay_alu instid0(VALU_DEP_1)
	v_div_fixup_f64 v[8:9], v[10:11], v[8:9], v[12:13]
                                        ; implicit-def: $vgpr10_vgpr11
                                        ; implicit-def: $vgpr12_vgpr13
.LBB7_89:
	s_and_not1_saveexec_b32 s5, s5
	s_cbranch_execz .LBB7_91
; %bb.90:
	v_cmp_gt_f64_e64 s6, 0x10000000, |v[10:11]|
	s_delay_alu instid0(VALU_DEP_4) | instskip(SKIP_1) | instid1(VALU_DEP_3)
	v_ldexp_f64 v[14:15], -v[14:15], v16
	v_cmp_nlt_f64_e64 vcc_lo, 0x40900000, |v[10:11]|
	v_cndmask_b32_e64 v8, 0, 1, s6
	v_cndmask_b32_e64 v16, 0, 0xffffff80, s6
	s_delay_alu instid0(VALU_DEP_2) | instskip(NEXT) | instid1(VALU_DEP_1)
	v_dual_cndmask_b32 v15, 0xfff00000, v15 :: v_dual_lshlrev_b32 v8, 8, v8
	v_ldexp_f64 v[8:9], |v[10:11]|, v8
	s_delay_alu instid0(VALU_DEP_1) | instskip(SKIP_3) | instid1(VALU_DEP_1)
	v_rsq_f64_e32 v[17:18], v[8:9]
	s_waitcnt_depctr 0xfff
	v_mul_f64 v[19:20], v[8:9], v[17:18]
	v_mul_f64 v[17:18], v[17:18], 0.5
	v_fma_f64 v[21:22], -v[17:18], v[19:20], 0.5
	s_delay_alu instid0(VALU_DEP_1) | instskip(SKIP_1) | instid1(VALU_DEP_2)
	v_fma_f64 v[19:20], v[19:20], v[21:22], v[19:20]
	v_fma_f64 v[17:18], v[17:18], v[21:22], v[17:18]
	v_fma_f64 v[21:22], -v[19:20], v[19:20], v[8:9]
	s_delay_alu instid0(VALU_DEP_1) | instskip(NEXT) | instid1(VALU_DEP_1)
	v_fma_f64 v[19:20], v[21:22], v[17:18], v[19:20]
	v_fma_f64 v[21:22], -v[19:20], v[19:20], v[8:9]
	s_delay_alu instid0(VALU_DEP_1) | instskip(NEXT) | instid1(VALU_DEP_1)
	v_fma_f64 v[10:11], v[21:22], v[17:18], v[19:20]
	v_ldexp_f64 v[10:11], v[10:11], v16
	v_cndmask_b32_e32 v14, 0, v14, vcc_lo
	v_cmp_class_f64_e64 vcc_lo, v[8:9], 0x260
	s_delay_alu instid0(VALU_DEP_3) | instskip(NEXT) | instid1(VALU_DEP_3)
	v_cndmask_b32_e32 v9, v11, v9, vcc_lo
	v_mul_f64 v[12:13], v[14:15], v[12:13]
	v_cndmask_b32_e32 v8, v10, v8, vcc_lo
	s_delay_alu instid0(VALU_DEP_1) | instskip(NEXT) | instid1(VALU_DEP_1)
	v_div_scale_f64 v[10:11], null, v[8:9], v[8:9], v[12:13]
	v_rcp_f64_e32 v[14:15], v[10:11]
	s_waitcnt_depctr 0xfff
	v_fma_f64 v[16:17], -v[10:11], v[14:15], 1.0
	s_delay_alu instid0(VALU_DEP_1) | instskip(NEXT) | instid1(VALU_DEP_1)
	v_fma_f64 v[14:15], v[14:15], v[16:17], v[14:15]
	v_fma_f64 v[16:17], -v[10:11], v[14:15], 1.0
	s_delay_alu instid0(VALU_DEP_1) | instskip(SKIP_1) | instid1(VALU_DEP_1)
	v_fma_f64 v[14:15], v[14:15], v[16:17], v[14:15]
	v_div_scale_f64 v[16:17], vcc_lo, v[12:13], v[8:9], v[12:13]
	v_mul_f64 v[18:19], v[16:17], v[14:15]
	s_delay_alu instid0(VALU_DEP_1) | instskip(NEXT) | instid1(VALU_DEP_1)
	v_fma_f64 v[10:11], -v[10:11], v[18:19], v[16:17]
	v_div_fmas_f64 v[10:11], v[10:11], v[14:15], v[18:19]
	s_delay_alu instid0(VALU_DEP_1)
	v_div_fixup_f64 v[8:9], v[10:11], v[8:9], v[12:13]
.LBB7_91:
	s_or_b32 exec_lo, exec_lo, s5
.LBB7_92:
	s_delay_alu instid0(SALU_CYCLE_1) | instskip(SKIP_3) | instid1(VALU_DEP_1)
	s_or_b32 exec_lo, exec_lo, s4
	global_load_b64 v[12:13], v7, s[2:3]
                                        ; implicit-def: $vgpr10_vgpr11
	s_waitcnt vmcnt(0)
	v_cmp_ge_f64_e64 s4, 0x40200000, |v[12:13]|
	s_and_saveexec_b32 s5, s4
	s_delay_alu instid0(SALU_CYCLE_1)
	s_xor_b32 s4, exec_lo, s5
	s_cbranch_execz .LBB7_98
; %bb.93:
	v_fma_f64 v[10:11], |v[12:13]|, 0.5, -2.0
	s_mov_b32 s6, 0xc38a0576
	s_mov_b32 s7, 0xbc7857d0
	;; [unrolled: 1-line block ×4, first 2 shown]
	s_mov_b32 s5, exec_lo
	s_delay_alu instid0(VALU_DEP_1) | instskip(SKIP_3) | instid1(VALU_DEP_1)
	v_fma_f64 v[14:15], v[10:11], s[8:9], s[6:7]
	s_mov_b32 s9, 0xbc499f2a
	s_mov_b32 s6, 0xe593bfac
	;; [unrolled: 1-line block ×3, first 2 shown]
	v_fma_f64 v[16:17], v[10:11], v[14:15], s[8:9]
	s_delay_alu instid0(VALU_DEP_1) | instskip(SKIP_2) | instid1(VALU_DEP_1)
	v_add_f64 v[16:17], v[16:17], s[6:7]
	s_mov_b32 s6, 0x7e0d1573
	s_mov_b32 s7, 0xbcd3eaaa
	v_fma_f64 v[14:15], v[10:11], v[16:17], -v[14:15]
	s_delay_alu instid0(VALU_DEP_1) | instskip(SKIP_2) | instid1(VALU_DEP_1)
	v_add_f64 v[14:15], v[14:15], s[6:7]
	s_mov_b32 s6, 0x615290c
	s_mov_b32 s7, 0x3d011d7f
	v_fma_f64 v[16:17], v[10:11], v[14:15], -v[16:17]
	;; [unrolled: 5-line block ×26, first 2 shown]
	s_delay_alu instid0(VALU_DEP_1) | instskip(NEXT) | instid1(VALU_DEP_1)
	v_add_f64 v[10:11], v[10:11], s[6:7]
	v_add_f64 v[14:15], v[10:11], -v[16:17]
                                        ; implicit-def: $vgpr10_vgpr11
	v_cmpx_ngt_f64_e32 0, v[12:13]
	s_xor_b32 s5, exec_lo, s5
	s_cbranch_execz .LBB7_95
; %bb.94:
	s_mov_b32 s6, 0x652b82fe
	s_mov_b32 s7, 0x3ff71547
	s_mov_b32 s8, 0x6a5dcb37
	v_mul_f64 v[10:11], |v[12:13]|, s[6:7]
	s_mov_b32 s6, 0xfefa39ef
	s_mov_b32 s7, 0xbfe62e42
	;; [unrolled: 1-line block ×3, first 2 shown]
	s_delay_alu instid0(VALU_DEP_3) | instskip(SKIP_1) | instid1(VALU_DEP_3)
	v_mul_f64 v[14:15], v[14:15], 0.5
	v_cmp_nlt_f64_e64 vcc_lo, 0x40900000, |v[12:13]|
	v_rndne_f64_e32 v[10:11], v[10:11]
	s_delay_alu instid0(VALU_DEP_1) | instskip(SKIP_4) | instid1(VALU_DEP_3)
	v_fma_f64 v[16:17], v[10:11], s[6:7], |v[12:13]|
	s_mov_b32 s6, 0x3b39803f
	s_mov_b32 s7, 0xbc7abc9e
	v_cvt_i32_f64_e32 v7, v[10:11]
	v_mul_f64 v[12:13], |v[12:13]|, v[14:15]
                                        ; implicit-def: $vgpr14_vgpr15
	v_fma_f64 v[16:17], v[10:11], s[6:7], v[16:17]
	s_mov_b32 s6, 0xfca7ab0c
	s_mov_b32 s7, 0x3e928af3
	s_delay_alu instid0(VALU_DEP_1) | instid1(SALU_CYCLE_1)
	v_fma_f64 v[18:19], v[16:17], s[8:9], s[6:7]
	s_mov_b32 s6, 0x623fde64
	s_mov_b32 s7, 0x3ec71dee
	s_delay_alu instid0(VALU_DEP_1) | instid1(SALU_CYCLE_1)
	;; [unrolled: 4-line block ×9, first 2 shown]
	v_fma_f64 v[18:19], v[16:17], v[18:19], s[6:7]
	s_delay_alu instid0(VALU_DEP_1) | instskip(NEXT) | instid1(VALU_DEP_1)
	v_fma_f64 v[18:19], v[16:17], v[18:19], 1.0
	v_fma_f64 v[10:11], v[16:17], v[18:19], 1.0
	s_delay_alu instid0(VALU_DEP_1) | instskip(NEXT) | instid1(VALU_DEP_1)
	v_ldexp_f64 v[10:11], v[10:11], v7
	v_cndmask_b32_e32 v11, 0x7ff00000, v11, vcc_lo
	s_delay_alu instid0(VALU_DEP_2) | instskip(NEXT) | instid1(VALU_DEP_1)
	v_cndmask_b32_e32 v10, 0, v10, vcc_lo
	v_mul_f64 v[10:11], v[10:11], v[12:13]
                                        ; implicit-def: $vgpr12_vgpr13
.LBB7_95:
	s_and_not1_saveexec_b32 s5, s5
	s_cbranch_execz .LBB7_97
; %bb.96:
	s_mov_b32 s6, 0x652b82fe
	s_mov_b32 s7, 0x3ff71547
	;; [unrolled: 1-line block ×3, first 2 shown]
	v_mul_f64 v[10:11], |v[12:13]|, s[6:7]
	s_mov_b32 s6, 0xfefa39ef
	s_mov_b32 s7, 0xbfe62e42
	;; [unrolled: 1-line block ×3, first 2 shown]
	s_delay_alu instid0(VALU_DEP_3) | instskip(SKIP_1) | instid1(VALU_DEP_3)
	v_mul_f64 v[14:15], v[14:15], -0.5
	v_cmp_nlt_f64_e64 vcc_lo, 0x40900000, |v[12:13]|
	v_rndne_f64_e32 v[10:11], v[10:11]
	s_delay_alu instid0(VALU_DEP_1) | instskip(SKIP_4) | instid1(VALU_DEP_3)
	v_fma_f64 v[16:17], v[10:11], s[6:7], |v[12:13]|
	s_mov_b32 s6, 0x3b39803f
	s_mov_b32 s7, 0xbc7abc9e
	v_cvt_i32_f64_e32 v7, v[10:11]
	v_mul_f64 v[12:13], |v[12:13]|, v[14:15]
	v_fma_f64 v[16:17], v[10:11], s[6:7], v[16:17]
	s_mov_b32 s6, 0xfca7ab0c
	s_mov_b32 s7, 0x3e928af3
	s_delay_alu instid0(VALU_DEP_1) | instid1(SALU_CYCLE_1)
	v_fma_f64 v[18:19], v[16:17], s[8:9], s[6:7]
	s_mov_b32 s6, 0x623fde64
	s_mov_b32 s7, 0x3ec71dee
	s_delay_alu instid0(VALU_DEP_1) | instid1(SALU_CYCLE_1)
	;; [unrolled: 4-line block ×9, first 2 shown]
	v_fma_f64 v[18:19], v[16:17], v[18:19], s[6:7]
	s_delay_alu instid0(VALU_DEP_1) | instskip(NEXT) | instid1(VALU_DEP_1)
	v_fma_f64 v[18:19], v[16:17], v[18:19], 1.0
	v_fma_f64 v[10:11], v[16:17], v[18:19], 1.0
	s_delay_alu instid0(VALU_DEP_1) | instskip(NEXT) | instid1(VALU_DEP_1)
	v_ldexp_f64 v[10:11], v[10:11], v7
	v_cndmask_b32_e32 v11, 0x7ff00000, v11, vcc_lo
	s_delay_alu instid0(VALU_DEP_2) | instskip(NEXT) | instid1(VALU_DEP_1)
	v_cndmask_b32_e32 v10, 0, v10, vcc_lo
	v_mul_f64 v[10:11], v[10:11], v[12:13]
.LBB7_97:
	s_or_b32 exec_lo, exec_lo, s5
                                        ; implicit-def: $vgpr12_vgpr13
.LBB7_98:
	s_and_not1_saveexec_b32 s4, s4
	s_cbranch_execz .LBB7_104
; %bb.99:
	v_dual_mov_b32 v10, v12 :: v_dual_and_b32 v11, 0x7fffffff, v13
	s_mov_b32 s6, 0xea87b950
	s_mov_b32 s7, 0x3c545b8a
	;; [unrolled: 1-line block ×4, first 2 shown]
	v_div_scale_f64 v[14:15], null, v[10:11], v[10:11], 0x40400000
	v_div_scale_f64 v[10:11], vcc_lo, 0x40400000, v[10:11], 0x40400000
	s_mov_b32 s10, 0x2e9e5443
	s_mov_b32 s11, 0xbe90dbfd
	s_mov_b32 s5, exec_lo
	s_delay_alu instid0(VALU_DEP_2) | instskip(SKIP_2) | instid1(VALU_DEP_1)
	v_rcp_f64_e32 v[16:17], v[14:15]
	s_waitcnt_depctr 0xfff
	v_fma_f64 v[18:19], -v[14:15], v[16:17], 1.0
	v_fma_f64 v[16:17], v[16:17], v[18:19], v[16:17]
	s_delay_alu instid0(VALU_DEP_1) | instskip(NEXT) | instid1(VALU_DEP_1)
	v_fma_f64 v[18:19], -v[14:15], v[16:17], 1.0
	v_fma_f64 v[16:17], v[16:17], v[18:19], v[16:17]
	s_delay_alu instid0(VALU_DEP_1) | instskip(NEXT) | instid1(VALU_DEP_1)
	v_mul_f64 v[18:19], v[10:11], v[16:17]
	v_fma_f64 v[10:11], -v[14:15], v[18:19], v[10:11]
	s_delay_alu instid0(VALU_DEP_1) | instskip(NEXT) | instid1(VALU_DEP_1)
	v_div_fmas_f64 v[10:11], v[10:11], v[16:17], v[18:19]
	v_div_fixup_f64 v[10:11], v[10:11], |v[12:13]|, 0x40400000
	s_delay_alu instid0(VALU_DEP_1) | instskip(NEXT) | instid1(VALU_DEP_1)
	v_add_f64 v[10:11], v[10:11], -2.0
	v_fma_f64 v[14:15], v[10:11], s[8:9], s[6:7]
	s_mov_b32 s9, 0xbc61556d
	s_mov_b32 s6, 0xb2532277
	;; [unrolled: 1-line block ×3, first 2 shown]
	s_delay_alu instid0(VALU_DEP_1) | instskip(SKIP_2) | instid1(VALU_DEP_1)
	v_fma_f64 v[16:17], v[10:11], v[14:15], s[8:9]
	s_mov_b32 s8, 0x9ad53528
	s_mov_b32 s9, 0xbe30790b
	v_add_f64 v[16:17], v[16:17], s[6:7]
	s_mov_b32 s6, 0x9c773320
	s_mov_b32 s7, 0xbc82806c
	s_delay_alu instid0(VALU_DEP_1) | instskip(NEXT) | instid1(VALU_DEP_1)
	v_fma_f64 v[14:15], v[10:11], v[16:17], -v[14:15]
	v_add_f64 v[14:15], v[14:15], s[6:7]
	s_mov_b32 s6, 0xfceb588a
	s_mov_b32 s7, 0x3cb55915
	s_delay_alu instid0(VALU_DEP_1) | instskip(NEXT) | instid1(VALU_DEP_1)
	v_fma_f64 v[16:17], v[10:11], v[14:15], -v[16:17]
	;; [unrolled: 5-line block ×15, first 2 shown]
	v_add_f64 v[14:15], v[14:15], s[6:7]
	s_mov_b32 s6, 0x652b82fe
	s_mov_b32 s7, 0x3ff71547
	s_delay_alu instid0(SALU_CYCLE_1) | instskip(SKIP_2) | instid1(VALU_DEP_2)
	v_mul_f64 v[18:19], |v[12:13]|, s[6:7]
	s_mov_b32 s6, 0xfefa39ef
	s_mov_b32 s7, 0xbfe62e42
	v_fma_f64 v[16:17], v[10:11], v[14:15], -v[16:17]
	s_delay_alu instid0(VALU_DEP_2) | instskip(NEXT) | instid1(VALU_DEP_2)
	v_rndne_f64_e32 v[18:19], v[18:19]
	v_add_f64 v[16:17], v[16:17], s[8:9]
	s_mov_b32 s8, 0x94bb46c1
	s_mov_b32 s9, 0xbe5c4153
	s_delay_alu instid0(VALU_DEP_2) | instskip(SKIP_3) | instid1(VALU_DEP_3)
	v_fma_f64 v[20:21], v[18:19], s[6:7], |v[12:13]|
	s_mov_b32 s6, 0x3b39803f
	s_mov_b32 s7, 0xbc7abc9e
	v_cvt_i32_f64_e32 v7, v[18:19]
	v_fma_f64 v[14:15], v[10:11], v[16:17], -v[14:15]
	s_delay_alu instid0(VALU_DEP_3) | instskip(SKIP_2) | instid1(VALU_DEP_2)
	v_fma_f64 v[20:21], v[18:19], s[6:7], v[20:21]
	s_mov_b32 s6, 0xfca7ab0c
	s_mov_b32 s7, 0x3e928af3
	v_add_f64 v[14:15], v[14:15], s[8:9]
	s_mov_b32 s8, 0x6a5dcb37
	s_mov_b32 s9, 0x3e5ade15
	s_delay_alu instid0(VALU_DEP_2) | instid1(SALU_CYCLE_1)
	v_fma_f64 v[22:23], v[20:21], s[8:9], s[6:7]
	s_mov_b32 s6, 0x623fde64
	s_mov_b32 s7, 0x3ec71dee
	;; [unrolled: 1-line block ×4, first 2 shown]
	s_delay_alu instid0(VALU_DEP_2) | instskip(NEXT) | instid1(VALU_DEP_2)
	v_fma_f64 v[16:17], v[10:11], v[14:15], -v[16:17]
	v_fma_f64 v[22:23], v[20:21], v[22:23], s[6:7]
	s_mov_b32 s6, 0x7c89e6b0
	s_mov_b32 s7, 0x3efa0199
	s_delay_alu instid0(VALU_DEP_2) | instskip(NEXT) | instid1(VALU_DEP_2)
	v_add_f64 v[16:17], v[16:17], s[10:11]
	v_fma_f64 v[22:23], v[20:21], v[22:23], s[6:7]
	s_mov_b32 s6, 0x14761f6e
	s_mov_b32 s7, 0x3f2a01a0
	s_delay_alu instid0(VALU_DEP_2) | instskip(NEXT) | instid1(VALU_DEP_2)
	v_fma_f64 v[14:15], v[10:11], v[16:17], -v[14:15]
	v_fma_f64 v[22:23], v[20:21], v[22:23], s[6:7]
	s_mov_b32 s6, 0x1852b7b0
	s_mov_b32 s7, 0x3f56c16c
	s_delay_alu instid0(VALU_DEP_2) | instskip(SKIP_2) | instid1(VALU_DEP_2)
	v_add_f64 v[14:15], v[14:15], s[8:9]
	s_mov_b32 s8, 0x804aa9a6
	s_mov_b32 s9, 0xbf1cfd7f
	v_fma_f64 v[22:23], v[20:21], v[22:23], s[6:7]
	s_mov_b32 s6, 0x11122322
	s_mov_b32 s7, 0x3f811111
	s_delay_alu instid0(VALU_DEP_2) | instskip(NEXT) | instid1(VALU_DEP_2)
	v_fma_f64 v[16:17], v[10:11], v[14:15], -v[16:17]
	v_fma_f64 v[22:23], v[20:21], v[22:23], s[6:7]
	s_mov_b32 s6, 0x555502a1
	s_mov_b32 s7, 0x3fa55555
	s_delay_alu instid0(VALU_DEP_2) | instskip(SKIP_2) | instid1(VALU_DEP_2)
	v_add_f64 v[16:17], v[16:17], s[8:9]
	s_mov_b32 s8, 0x53fcdb4c
	s_mov_b32 s9, 0xbf83fda0
	v_fma_f64 v[22:23], v[20:21], v[22:23], s[6:7]
	s_mov_b32 s6, 0x55555511
	s_mov_b32 s7, 0x3fc55555
	s_delay_alu instid0(VALU_DEP_2) | instskip(NEXT) | instid1(VALU_DEP_2)
	v_fma_f64 v[14:15], v[10:11], v[16:17], -v[14:15]
	v_fma_f64 v[22:23], v[20:21], v[22:23], s[6:7]
	s_mov_b32 s6, 11
	s_mov_b32 s7, 0x3fe00000
	s_delay_alu instid0(VALU_DEP_2) | instskip(SKIP_2) | instid1(VALU_DEP_1)
	v_add_f64 v[14:15], v[14:15], s[8:9]
	s_mov_b32 s8, 0xb55b1514
	s_mov_b32 s9, 0x3fe8ea18
	v_fma_f64 v[10:11], v[10:11], v[14:15], -v[16:17]
	s_delay_alu instid0(VALU_DEP_3) | instskip(NEXT) | instid1(VALU_DEP_2)
	v_fma_f64 v[14:15], v[20:21], v[22:23], s[6:7]
	v_add_f64 v[10:11], v[10:11], s[8:9]
	s_delay_alu instid0(VALU_DEP_2) | instskip(NEXT) | instid1(VALU_DEP_2)
	v_fma_f64 v[14:15], v[20:21], v[14:15], 1.0
	v_add_f64 v[10:11], v[10:11], -v[16:17]
	s_delay_alu instid0(VALU_DEP_2) | instskip(NEXT) | instid1(VALU_DEP_2)
	v_fma_f64 v[16:17], v[20:21], v[14:15], 1.0
	v_mul_f64 v[14:15], v[10:11], 0.5
                                        ; implicit-def: $vgpr10_vgpr11
	v_cmpx_ngt_f64_e32 0, v[12:13]
	s_xor_b32 s5, exec_lo, s5
	s_cbranch_execz .LBB7_101
; %bb.100:
	v_cmp_gt_f64_e64 s6, 0x10000000, |v[12:13]|
	s_delay_alu instid0(VALU_DEP_4) | instskip(SKIP_1) | instid1(VALU_DEP_3)
	v_ldexp_f64 v[16:17], v[16:17], v7
	v_cmp_nlt_f64_e64 vcc_lo, 0x40900000, |v[12:13]|
	v_cndmask_b32_e64 v10, 0, 1, s6
	v_cndmask_b32_e64 v7, 0, 0xffffff80, s6
	s_delay_alu instid0(VALU_DEP_2) | instskip(NEXT) | instid1(VALU_DEP_1)
	v_dual_cndmask_b32 v17, 0x7ff00000, v17 :: v_dual_lshlrev_b32 v10, 8, v10
	v_ldexp_f64 v[10:11], |v[12:13]|, v10
	s_delay_alu instid0(VALU_DEP_1) | instskip(SKIP_3) | instid1(VALU_DEP_1)
	v_rsq_f64_e32 v[18:19], v[10:11]
	s_waitcnt_depctr 0xfff
	v_mul_f64 v[20:21], v[10:11], v[18:19]
	v_mul_f64 v[18:19], v[18:19], 0.5
	v_fma_f64 v[22:23], -v[18:19], v[20:21], 0.5
	s_delay_alu instid0(VALU_DEP_1) | instskip(SKIP_1) | instid1(VALU_DEP_2)
	v_fma_f64 v[20:21], v[20:21], v[22:23], v[20:21]
	v_fma_f64 v[18:19], v[18:19], v[22:23], v[18:19]
	v_fma_f64 v[22:23], -v[20:21], v[20:21], v[10:11]
	s_delay_alu instid0(VALU_DEP_1) | instskip(NEXT) | instid1(VALU_DEP_1)
	v_fma_f64 v[20:21], v[22:23], v[18:19], v[20:21]
	v_fma_f64 v[22:23], -v[20:21], v[20:21], v[10:11]
	s_delay_alu instid0(VALU_DEP_1) | instskip(NEXT) | instid1(VALU_DEP_1)
	v_fma_f64 v[12:13], v[22:23], v[18:19], v[20:21]
	v_ldexp_f64 v[12:13], v[12:13], v7
	v_cndmask_b32_e32 v16, 0, v16, vcc_lo
	v_cmp_class_f64_e64 vcc_lo, v[10:11], 0x260
                                        ; implicit-def: $vgpr7
	s_delay_alu instid0(VALU_DEP_3) | instskip(NEXT) | instid1(VALU_DEP_3)
	v_cndmask_b32_e32 v11, v13, v11, vcc_lo
	v_mul_f64 v[14:15], v[16:17], v[14:15]
	v_cndmask_b32_e32 v10, v12, v10, vcc_lo
	s_delay_alu instid0(VALU_DEP_1) | instskip(NEXT) | instid1(VALU_DEP_1)
	v_div_scale_f64 v[12:13], null, v[10:11], v[10:11], v[14:15]
	v_rcp_f64_e32 v[16:17], v[12:13]
	s_waitcnt_depctr 0xfff
	v_fma_f64 v[18:19], -v[12:13], v[16:17], 1.0
	s_delay_alu instid0(VALU_DEP_1) | instskip(NEXT) | instid1(VALU_DEP_1)
	v_fma_f64 v[16:17], v[16:17], v[18:19], v[16:17]
	v_fma_f64 v[18:19], -v[12:13], v[16:17], 1.0
	s_delay_alu instid0(VALU_DEP_1) | instskip(SKIP_1) | instid1(VALU_DEP_1)
	v_fma_f64 v[16:17], v[16:17], v[18:19], v[16:17]
	v_div_scale_f64 v[18:19], vcc_lo, v[14:15], v[10:11], v[14:15]
	v_mul_f64 v[20:21], v[18:19], v[16:17]
	s_delay_alu instid0(VALU_DEP_1) | instskip(NEXT) | instid1(VALU_DEP_1)
	v_fma_f64 v[12:13], -v[12:13], v[20:21], v[18:19]
	v_div_fmas_f64 v[12:13], v[12:13], v[16:17], v[20:21]
                                        ; implicit-def: $vgpr16_vgpr17
	s_delay_alu instid0(VALU_DEP_1)
	v_div_fixup_f64 v[10:11], v[12:13], v[10:11], v[14:15]
                                        ; implicit-def: $vgpr12_vgpr13
                                        ; implicit-def: $vgpr14_vgpr15
.LBB7_101:
	s_and_not1_saveexec_b32 s5, s5
	s_cbranch_execz .LBB7_103
; %bb.102:
	v_cmp_gt_f64_e64 s6, 0x10000000, |v[12:13]|
	s_delay_alu instid0(VALU_DEP_4) | instskip(SKIP_1) | instid1(VALU_DEP_3)
	v_ldexp_f64 v[16:17], -v[16:17], v7
	v_cmp_nlt_f64_e64 vcc_lo, 0x40900000, |v[12:13]|
	v_cndmask_b32_e64 v10, 0, 1, s6
	v_cndmask_b32_e64 v7, 0, 0xffffff80, s6
	s_delay_alu instid0(VALU_DEP_2) | instskip(NEXT) | instid1(VALU_DEP_1)
	v_dual_cndmask_b32 v17, 0xfff00000, v17 :: v_dual_lshlrev_b32 v10, 8, v10
	v_ldexp_f64 v[10:11], |v[12:13]|, v10
	s_delay_alu instid0(VALU_DEP_1) | instskip(SKIP_3) | instid1(VALU_DEP_1)
	v_rsq_f64_e32 v[18:19], v[10:11]
	s_waitcnt_depctr 0xfff
	v_mul_f64 v[20:21], v[10:11], v[18:19]
	v_mul_f64 v[18:19], v[18:19], 0.5
	v_fma_f64 v[22:23], -v[18:19], v[20:21], 0.5
	s_delay_alu instid0(VALU_DEP_1) | instskip(SKIP_1) | instid1(VALU_DEP_2)
	v_fma_f64 v[20:21], v[20:21], v[22:23], v[20:21]
	v_fma_f64 v[18:19], v[18:19], v[22:23], v[18:19]
	v_fma_f64 v[22:23], -v[20:21], v[20:21], v[10:11]
	s_delay_alu instid0(VALU_DEP_1) | instskip(NEXT) | instid1(VALU_DEP_1)
	v_fma_f64 v[20:21], v[22:23], v[18:19], v[20:21]
	v_fma_f64 v[22:23], -v[20:21], v[20:21], v[10:11]
	s_delay_alu instid0(VALU_DEP_1) | instskip(NEXT) | instid1(VALU_DEP_1)
	v_fma_f64 v[12:13], v[22:23], v[18:19], v[20:21]
	v_ldexp_f64 v[12:13], v[12:13], v7
	v_cndmask_b32_e32 v16, 0, v16, vcc_lo
	v_cmp_class_f64_e64 vcc_lo, v[10:11], 0x260
	s_delay_alu instid0(VALU_DEP_3) | instskip(NEXT) | instid1(VALU_DEP_3)
	v_cndmask_b32_e32 v11, v13, v11, vcc_lo
	v_mul_f64 v[14:15], v[16:17], v[14:15]
	v_cndmask_b32_e32 v10, v12, v10, vcc_lo
	s_delay_alu instid0(VALU_DEP_1) | instskip(NEXT) | instid1(VALU_DEP_1)
	v_div_scale_f64 v[12:13], null, v[10:11], v[10:11], v[14:15]
	v_rcp_f64_e32 v[16:17], v[12:13]
	s_waitcnt_depctr 0xfff
	v_fma_f64 v[18:19], -v[12:13], v[16:17], 1.0
	s_delay_alu instid0(VALU_DEP_1) | instskip(NEXT) | instid1(VALU_DEP_1)
	v_fma_f64 v[16:17], v[16:17], v[18:19], v[16:17]
	v_fma_f64 v[18:19], -v[12:13], v[16:17], 1.0
	s_delay_alu instid0(VALU_DEP_1) | instskip(SKIP_1) | instid1(VALU_DEP_1)
	v_fma_f64 v[16:17], v[16:17], v[18:19], v[16:17]
	v_div_scale_f64 v[18:19], vcc_lo, v[14:15], v[10:11], v[14:15]
	v_mul_f64 v[20:21], v[18:19], v[16:17]
	s_delay_alu instid0(VALU_DEP_1) | instskip(NEXT) | instid1(VALU_DEP_1)
	v_fma_f64 v[12:13], -v[12:13], v[20:21], v[18:19]
	v_div_fmas_f64 v[12:13], v[12:13], v[16:17], v[20:21]
	s_delay_alu instid0(VALU_DEP_1)
	v_div_fixup_f64 v[10:11], v[12:13], v[10:11], v[14:15]
.LBB7_103:
	s_or_b32 exec_lo, exec_lo, s5
.LBB7_104:
	s_delay_alu instid0(SALU_CYCLE_1) | instskip(SKIP_3) | instid1(VALU_DEP_1)
	s_or_b32 exec_lo, exec_lo, s4
	global_load_b64 v[12:13], v4, s[2:3]
                                        ; implicit-def: $vgpr16_vgpr17
	s_waitcnt vmcnt(0)
	v_cmp_ge_f64_e64 s2, 0x40200000, |v[12:13]|
	s_and_saveexec_b32 s3, s2
	s_delay_alu instid0(SALU_CYCLE_1)
	s_xor_b32 s2, exec_lo, s3
	s_cbranch_execz .LBB7_110
; %bb.105:
	v_fma_f64 v[14:15], |v[12:13]|, 0.5, -2.0
	s_mov_b32 s4, 0xc38a0576
	s_mov_b32 s5, 0xbc7857d0
	;; [unrolled: 1-line block ×4, first 2 shown]
	s_mov_b32 s3, exec_lo
	s_delay_alu instid0(VALU_DEP_1) | instskip(SKIP_3) | instid1(VALU_DEP_1)
	v_fma_f64 v[16:17], v[14:15], s[6:7], s[4:5]
	s_mov_b32 s7, 0xbc499f2a
	s_mov_b32 s4, 0xe593bfac
	;; [unrolled: 1-line block ×3, first 2 shown]
	v_fma_f64 v[18:19], v[14:15], v[16:17], s[6:7]
	s_delay_alu instid0(VALU_DEP_1) | instskip(SKIP_2) | instid1(VALU_DEP_1)
	v_add_f64 v[18:19], v[18:19], s[4:5]
	s_mov_b32 s4, 0x7e0d1573
	s_mov_b32 s5, 0xbcd3eaaa
	v_fma_f64 v[16:17], v[14:15], v[18:19], -v[16:17]
	s_delay_alu instid0(VALU_DEP_1) | instskip(SKIP_2) | instid1(VALU_DEP_1)
	v_add_f64 v[16:17], v[16:17], s[4:5]
	s_mov_b32 s4, 0x615290c
	s_mov_b32 s5, 0x3d011d7f
	v_fma_f64 v[18:19], v[14:15], v[16:17], -v[18:19]
	;; [unrolled: 5-line block ×26, first 2 shown]
                                        ; implicit-def: $vgpr16_vgpr17
	s_delay_alu instid0(VALU_DEP_1) | instskip(NEXT) | instid1(VALU_DEP_1)
	v_add_f64 v[14:15], v[14:15], s[4:5]
	v_add_f64 v[14:15], v[14:15], -v[18:19]
	v_cmpx_ngt_f64_e32 0, v[12:13]
	s_xor_b32 s3, exec_lo, s3
	s_cbranch_execz .LBB7_107
; %bb.106:
	s_mov_b32 s4, 0x652b82fe
	s_mov_b32 s5, 0x3ff71547
	;; [unrolled: 1-line block ×3, first 2 shown]
	v_mul_f64 v[16:17], |v[12:13]|, s[4:5]
	s_mov_b32 s4, 0xfefa39ef
	s_mov_b32 s5, 0xbfe62e42
	;; [unrolled: 1-line block ×3, first 2 shown]
	s_delay_alu instid0(VALU_DEP_3) | instskip(SKIP_1) | instid1(VALU_DEP_3)
	v_mul_f64 v[14:15], v[14:15], 0.5
	v_cmp_nlt_f64_e64 vcc_lo, 0x40900000, |v[12:13]|
	v_rndne_f64_e32 v[16:17], v[16:17]
	s_delay_alu instid0(VALU_DEP_1) | instskip(SKIP_4) | instid1(VALU_DEP_3)
	v_fma_f64 v[18:19], v[16:17], s[4:5], |v[12:13]|
	s_mov_b32 s4, 0x3b39803f
	s_mov_b32 s5, 0xbc7abc9e
	v_cvt_i32_f64_e32 v4, v[16:17]
	v_mul_f64 v[12:13], |v[12:13]|, v[14:15]
	v_fma_f64 v[18:19], v[16:17], s[4:5], v[18:19]
	s_mov_b32 s4, 0xfca7ab0c
	s_mov_b32 s5, 0x3e928af3
	s_delay_alu instid0(VALU_DEP_1) | instid1(SALU_CYCLE_1)
	v_fma_f64 v[20:21], v[18:19], s[6:7], s[4:5]
	s_mov_b32 s4, 0x623fde64
	s_mov_b32 s5, 0x3ec71dee
	s_delay_alu instid0(VALU_DEP_1) | instid1(SALU_CYCLE_1)
	v_fma_f64 v[20:21], v[18:19], v[20:21], s[4:5]
	s_mov_b32 s4, 0x7c89e6b0
	s_mov_b32 s5, 0x3efa0199
	s_delay_alu instid0(VALU_DEP_1) | instid1(SALU_CYCLE_1)
	v_fma_f64 v[20:21], v[18:19], v[20:21], s[4:5]
	s_mov_b32 s4, 0x14761f6e
	s_mov_b32 s5, 0x3f2a01a0
	s_delay_alu instid0(VALU_DEP_1) | instid1(SALU_CYCLE_1)
	v_fma_f64 v[20:21], v[18:19], v[20:21], s[4:5]
	s_mov_b32 s4, 0x1852b7b0
	s_mov_b32 s5, 0x3f56c16c
	s_delay_alu instid0(VALU_DEP_1) | instid1(SALU_CYCLE_1)
	v_fma_f64 v[20:21], v[18:19], v[20:21], s[4:5]
	s_mov_b32 s4, 0x11122322
	s_mov_b32 s5, 0x3f811111
	s_delay_alu instid0(VALU_DEP_1) | instid1(SALU_CYCLE_1)
	v_fma_f64 v[20:21], v[18:19], v[20:21], s[4:5]
	s_mov_b32 s4, 0x555502a1
	s_mov_b32 s5, 0x3fa55555
	s_delay_alu instid0(VALU_DEP_1) | instid1(SALU_CYCLE_1)
	v_fma_f64 v[20:21], v[18:19], v[20:21], s[4:5]
	s_mov_b32 s4, 0x55555511
	s_mov_b32 s5, 0x3fc55555
	s_delay_alu instid0(VALU_DEP_1) | instid1(SALU_CYCLE_1)
	v_fma_f64 v[20:21], v[18:19], v[20:21], s[4:5]
	s_mov_b32 s4, 11
	s_mov_b32 s5, 0x3fe00000
	s_delay_alu instid0(VALU_DEP_1) | instid1(SALU_CYCLE_1)
	v_fma_f64 v[20:21], v[18:19], v[20:21], s[4:5]
	s_delay_alu instid0(VALU_DEP_1) | instskip(NEXT) | instid1(VALU_DEP_1)
	v_fma_f64 v[20:21], v[18:19], v[20:21], 1.0
	v_fma_f64 v[16:17], v[18:19], v[20:21], 1.0
	s_delay_alu instid0(VALU_DEP_1) | instskip(NEXT) | instid1(VALU_DEP_1)
	v_ldexp_f64 v[16:17], v[16:17], v4
	v_cndmask_b32_e32 v15, 0x7ff00000, v17, vcc_lo
	s_delay_alu instid0(VALU_DEP_2) | instskip(NEXT) | instid1(VALU_DEP_1)
	v_cndmask_b32_e32 v14, 0, v16, vcc_lo
	v_mul_f64 v[16:17], v[14:15], v[12:13]
                                        ; implicit-def: $vgpr12_vgpr13
                                        ; implicit-def: $vgpr14_vgpr15
.LBB7_107:
	s_and_not1_saveexec_b32 s3, s3
	s_cbranch_execz .LBB7_109
; %bb.108:
	s_mov_b32 s4, 0x652b82fe
	s_mov_b32 s5, 0x3ff71547
	;; [unrolled: 1-line block ×3, first 2 shown]
	v_mul_f64 v[16:17], |v[12:13]|, s[4:5]
	s_mov_b32 s4, 0xfefa39ef
	s_mov_b32 s5, 0xbfe62e42
	;; [unrolled: 1-line block ×3, first 2 shown]
	s_delay_alu instid0(VALU_DEP_3) | instskip(SKIP_1) | instid1(VALU_DEP_3)
	v_mul_f64 v[14:15], v[14:15], -0.5
	v_cmp_nlt_f64_e64 vcc_lo, 0x40900000, |v[12:13]|
	v_rndne_f64_e32 v[16:17], v[16:17]
	s_delay_alu instid0(VALU_DEP_1) | instskip(SKIP_4) | instid1(VALU_DEP_3)
	v_fma_f64 v[18:19], v[16:17], s[4:5], |v[12:13]|
	s_mov_b32 s4, 0x3b39803f
	s_mov_b32 s5, 0xbc7abc9e
	v_cvt_i32_f64_e32 v4, v[16:17]
	v_mul_f64 v[12:13], |v[12:13]|, v[14:15]
	v_fma_f64 v[18:19], v[16:17], s[4:5], v[18:19]
	s_mov_b32 s4, 0xfca7ab0c
	s_mov_b32 s5, 0x3e928af3
	s_delay_alu instid0(VALU_DEP_1) | instid1(SALU_CYCLE_1)
	v_fma_f64 v[20:21], v[18:19], s[6:7], s[4:5]
	s_mov_b32 s4, 0x623fde64
	s_mov_b32 s5, 0x3ec71dee
	s_delay_alu instid0(VALU_DEP_1) | instid1(SALU_CYCLE_1)
	;; [unrolled: 4-line block ×9, first 2 shown]
	v_fma_f64 v[20:21], v[18:19], v[20:21], s[4:5]
	s_delay_alu instid0(VALU_DEP_1) | instskip(NEXT) | instid1(VALU_DEP_1)
	v_fma_f64 v[20:21], v[18:19], v[20:21], 1.0
	v_fma_f64 v[16:17], v[18:19], v[20:21], 1.0
	s_delay_alu instid0(VALU_DEP_1) | instskip(NEXT) | instid1(VALU_DEP_1)
	v_ldexp_f64 v[16:17], v[16:17], v4
	v_cndmask_b32_e32 v15, 0x7ff00000, v17, vcc_lo
	s_delay_alu instid0(VALU_DEP_2) | instskip(NEXT) | instid1(VALU_DEP_1)
	v_cndmask_b32_e32 v14, 0, v16, vcc_lo
	v_mul_f64 v[16:17], v[14:15], v[12:13]
.LBB7_109:
	s_or_b32 exec_lo, exec_lo, s3
                                        ; implicit-def: $vgpr12_vgpr13
.LBB7_110:
	s_and_not1_saveexec_b32 s2, s2
	s_cbranch_execz .LBB7_116
; %bb.111:
	v_dual_mov_b32 v14, v12 :: v_dual_and_b32 v15, 0x7fffffff, v13
	s_mov_b32 s4, 0xea87b950
	s_mov_b32 s5, 0x3c545b8a
	;; [unrolled: 1-line block ×4, first 2 shown]
	v_div_scale_f64 v[16:17], null, v[14:15], v[14:15], 0x40400000
	v_div_scale_f64 v[14:15], vcc_lo, 0x40400000, v[14:15], 0x40400000
	s_mov_b32 s8, 0x2e9e5443
	s_mov_b32 s9, 0xbe90dbfd
	s_mov_b32 s3, exec_lo
	s_delay_alu instid0(VALU_DEP_2) | instskip(SKIP_2) | instid1(VALU_DEP_1)
	v_rcp_f64_e32 v[18:19], v[16:17]
	s_waitcnt_depctr 0xfff
	v_fma_f64 v[20:21], -v[16:17], v[18:19], 1.0
	v_fma_f64 v[18:19], v[18:19], v[20:21], v[18:19]
	s_delay_alu instid0(VALU_DEP_1) | instskip(NEXT) | instid1(VALU_DEP_1)
	v_fma_f64 v[20:21], -v[16:17], v[18:19], 1.0
	v_fma_f64 v[18:19], v[18:19], v[20:21], v[18:19]
	s_delay_alu instid0(VALU_DEP_1) | instskip(NEXT) | instid1(VALU_DEP_1)
	v_mul_f64 v[20:21], v[14:15], v[18:19]
	v_fma_f64 v[14:15], -v[16:17], v[20:21], v[14:15]
	s_delay_alu instid0(VALU_DEP_1) | instskip(NEXT) | instid1(VALU_DEP_1)
	v_div_fmas_f64 v[14:15], v[14:15], v[18:19], v[20:21]
	v_div_fixup_f64 v[14:15], v[14:15], |v[12:13]|, 0x40400000
	s_delay_alu instid0(VALU_DEP_1) | instskip(NEXT) | instid1(VALU_DEP_1)
	v_add_f64 v[14:15], v[14:15], -2.0
	v_fma_f64 v[16:17], v[14:15], s[6:7], s[4:5]
	s_mov_b32 s7, 0xbc61556d
	s_mov_b32 s4, 0xb2532277
	;; [unrolled: 1-line block ×3, first 2 shown]
	s_delay_alu instid0(VALU_DEP_1) | instskip(SKIP_2) | instid1(VALU_DEP_1)
	v_fma_f64 v[18:19], v[14:15], v[16:17], s[6:7]
	s_mov_b32 s6, 0x9ad53528
	s_mov_b32 s7, 0xbe30790b
	v_add_f64 v[18:19], v[18:19], s[4:5]
	s_mov_b32 s4, 0x9c773320
	s_mov_b32 s5, 0xbc82806c
	s_delay_alu instid0(VALU_DEP_1) | instskip(NEXT) | instid1(VALU_DEP_1)
	v_fma_f64 v[16:17], v[14:15], v[18:19], -v[16:17]
	v_add_f64 v[16:17], v[16:17], s[4:5]
	s_mov_b32 s4, 0xfceb588a
	s_mov_b32 s5, 0x3cb55915
	s_delay_alu instid0(VALU_DEP_1) | instskip(NEXT) | instid1(VALU_DEP_1)
	v_fma_f64 v[18:19], v[14:15], v[16:17], -v[18:19]
	;; [unrolled: 5-line block ×15, first 2 shown]
	v_add_f64 v[16:17], v[16:17], s[4:5]
	s_mov_b32 s4, 0x652b82fe
	s_mov_b32 s5, 0x3ff71547
	s_delay_alu instid0(SALU_CYCLE_1) | instskip(SKIP_2) | instid1(VALU_DEP_2)
	v_mul_f64 v[20:21], |v[12:13]|, s[4:5]
	s_mov_b32 s4, 0xfefa39ef
	s_mov_b32 s5, 0xbfe62e42
	v_fma_f64 v[18:19], v[14:15], v[16:17], -v[18:19]
	s_delay_alu instid0(VALU_DEP_2) | instskip(NEXT) | instid1(VALU_DEP_2)
	v_rndne_f64_e32 v[20:21], v[20:21]
	v_add_f64 v[18:19], v[18:19], s[6:7]
	s_mov_b32 s6, 0x94bb46c1
	s_mov_b32 s7, 0xbe5c4153
	s_delay_alu instid0(VALU_DEP_2) | instskip(SKIP_3) | instid1(VALU_DEP_3)
	v_fma_f64 v[22:23], v[20:21], s[4:5], |v[12:13]|
	s_mov_b32 s4, 0x3b39803f
	s_mov_b32 s5, 0xbc7abc9e
	v_cvt_i32_f64_e32 v4, v[20:21]
	v_fma_f64 v[16:17], v[14:15], v[18:19], -v[16:17]
	s_delay_alu instid0(VALU_DEP_3) | instskip(SKIP_2) | instid1(VALU_DEP_2)
	v_fma_f64 v[22:23], v[20:21], s[4:5], v[22:23]
	s_mov_b32 s4, 0xfca7ab0c
	s_mov_b32 s5, 0x3e928af3
	v_add_f64 v[16:17], v[16:17], s[6:7]
	s_mov_b32 s6, 0x6a5dcb37
	s_mov_b32 s7, 0x3e5ade15
	s_delay_alu instid0(VALU_DEP_2) | instid1(SALU_CYCLE_1)
	v_fma_f64 v[24:25], v[22:23], s[6:7], s[4:5]
	s_mov_b32 s4, 0x623fde64
	s_mov_b32 s5, 0x3ec71dee
	;; [unrolled: 1-line block ×4, first 2 shown]
	s_delay_alu instid0(VALU_DEP_2) | instskip(NEXT) | instid1(VALU_DEP_2)
	v_fma_f64 v[18:19], v[14:15], v[16:17], -v[18:19]
	v_fma_f64 v[24:25], v[22:23], v[24:25], s[4:5]
	s_mov_b32 s4, 0x7c89e6b0
	s_mov_b32 s5, 0x3efa0199
	s_delay_alu instid0(VALU_DEP_2) | instskip(NEXT) | instid1(VALU_DEP_2)
	v_add_f64 v[18:19], v[18:19], s[8:9]
	v_fma_f64 v[24:25], v[22:23], v[24:25], s[4:5]
	s_mov_b32 s4, 0x14761f6e
	s_mov_b32 s5, 0x3f2a01a0
	s_delay_alu instid0(VALU_DEP_2) | instskip(NEXT) | instid1(VALU_DEP_2)
	v_fma_f64 v[16:17], v[14:15], v[18:19], -v[16:17]
	v_fma_f64 v[24:25], v[22:23], v[24:25], s[4:5]
	s_mov_b32 s4, 0x1852b7b0
	s_mov_b32 s5, 0x3f56c16c
	s_delay_alu instid0(VALU_DEP_2) | instskip(SKIP_2) | instid1(VALU_DEP_2)
	v_add_f64 v[16:17], v[16:17], s[6:7]
	s_mov_b32 s6, 0x804aa9a6
	s_mov_b32 s7, 0xbf1cfd7f
	v_fma_f64 v[24:25], v[22:23], v[24:25], s[4:5]
	s_mov_b32 s4, 0x11122322
	s_mov_b32 s5, 0x3f811111
	s_delay_alu instid0(VALU_DEP_2) | instskip(NEXT) | instid1(VALU_DEP_2)
	v_fma_f64 v[18:19], v[14:15], v[16:17], -v[18:19]
	v_fma_f64 v[24:25], v[22:23], v[24:25], s[4:5]
	s_mov_b32 s4, 0x555502a1
	s_mov_b32 s5, 0x3fa55555
	s_delay_alu instid0(VALU_DEP_2) | instskip(SKIP_2) | instid1(VALU_DEP_2)
	v_add_f64 v[18:19], v[18:19], s[6:7]
	s_mov_b32 s6, 0x53fcdb4c
	s_mov_b32 s7, 0xbf83fda0
	v_fma_f64 v[24:25], v[22:23], v[24:25], s[4:5]
	s_mov_b32 s4, 0x55555511
	s_mov_b32 s5, 0x3fc55555
	s_delay_alu instid0(VALU_DEP_2) | instskip(NEXT) | instid1(VALU_DEP_2)
	v_fma_f64 v[16:17], v[14:15], v[18:19], -v[16:17]
	v_fma_f64 v[24:25], v[22:23], v[24:25], s[4:5]
	s_mov_b32 s4, 11
	s_mov_b32 s5, 0x3fe00000
	s_delay_alu instid0(VALU_DEP_2) | instskip(SKIP_2) | instid1(VALU_DEP_1)
	v_add_f64 v[16:17], v[16:17], s[6:7]
	s_mov_b32 s6, 0xb55b1514
	s_mov_b32 s7, 0x3fe8ea18
	v_fma_f64 v[14:15], v[14:15], v[16:17], -v[18:19]
	s_delay_alu instid0(VALU_DEP_3) | instskip(NEXT) | instid1(VALU_DEP_2)
	v_fma_f64 v[16:17], v[22:23], v[24:25], s[4:5]
	v_add_f64 v[14:15], v[14:15], s[6:7]
	s_delay_alu instid0(VALU_DEP_2) | instskip(NEXT) | instid1(VALU_DEP_2)
	v_fma_f64 v[16:17], v[22:23], v[16:17], 1.0
	v_add_f64 v[14:15], v[14:15], -v[18:19]
	s_delay_alu instid0(VALU_DEP_2) | instskip(NEXT) | instid1(VALU_DEP_2)
	v_fma_f64 v[18:19], v[22:23], v[16:17], 1.0
                                        ; implicit-def: $vgpr16_vgpr17
	v_mul_f64 v[14:15], v[14:15], 0.5
	v_cmpx_ngt_f64_e32 0, v[12:13]
	s_xor_b32 s3, exec_lo, s3
	s_cbranch_execz .LBB7_113
; %bb.112:
	v_cmp_gt_f64_e64 s4, 0x10000000, |v[12:13]|
	s_delay_alu instid0(VALU_DEP_4) | instskip(SKIP_1) | instid1(VALU_DEP_3)
	v_ldexp_f64 v[18:19], v[18:19], v4
	v_cmp_nlt_f64_e64 vcc_lo, 0x40900000, |v[12:13]|
	v_cndmask_b32_e64 v7, 0, 1, s4
	v_cndmask_b32_e64 v4, 0, 0xffffff80, s4
	s_delay_alu instid0(VALU_DEP_4) | instskip(NEXT) | instid1(VALU_DEP_3)
	v_cndmask_b32_e32 v19, 0x7ff00000, v19, vcc_lo
	v_dual_cndmask_b32 v18, 0, v18 :: v_dual_lshlrev_b32 v7, 8, v7
	s_delay_alu instid0(VALU_DEP_1) | instskip(NEXT) | instid1(VALU_DEP_2)
	v_mul_f64 v[14:15], v[18:19], v[14:15]
	v_ldexp_f64 v[16:17], |v[12:13]|, v7
	s_delay_alu instid0(VALU_DEP_1) | instskip(SKIP_4) | instid1(VALU_DEP_1)
	v_rsq_f64_e32 v[20:21], v[16:17]
	v_cmp_class_f64_e64 vcc_lo, v[16:17], 0x260
	s_waitcnt_depctr 0xfff
	v_mul_f64 v[22:23], v[16:17], v[20:21]
	v_mul_f64 v[20:21], v[20:21], 0.5
	v_fma_f64 v[24:25], -v[20:21], v[22:23], 0.5
	s_delay_alu instid0(VALU_DEP_1) | instskip(SKIP_1) | instid1(VALU_DEP_2)
	v_fma_f64 v[22:23], v[22:23], v[24:25], v[22:23]
	v_fma_f64 v[20:21], v[20:21], v[24:25], v[20:21]
	v_fma_f64 v[24:25], -v[22:23], v[22:23], v[16:17]
	s_delay_alu instid0(VALU_DEP_1) | instskip(NEXT) | instid1(VALU_DEP_1)
	v_fma_f64 v[22:23], v[24:25], v[20:21], v[22:23]
	v_fma_f64 v[24:25], -v[22:23], v[22:23], v[16:17]
	s_delay_alu instid0(VALU_DEP_1) | instskip(NEXT) | instid1(VALU_DEP_1)
	v_fma_f64 v[12:13], v[24:25], v[20:21], v[22:23]
	v_ldexp_f64 v[12:13], v[12:13], v4
                                        ; implicit-def: $vgpr4
	s_delay_alu instid0(VALU_DEP_1) | instskip(NEXT) | instid1(VALU_DEP_1)
	v_dual_cndmask_b32 v13, v13, v17 :: v_dual_cndmask_b32 v12, v12, v16
	v_div_scale_f64 v[16:17], null, v[12:13], v[12:13], v[14:15]
	s_delay_alu instid0(VALU_DEP_1) | instskip(SKIP_2) | instid1(VALU_DEP_1)
	v_rcp_f64_e32 v[18:19], v[16:17]
	s_waitcnt_depctr 0xfff
	v_fma_f64 v[20:21], -v[16:17], v[18:19], 1.0
	v_fma_f64 v[18:19], v[18:19], v[20:21], v[18:19]
	s_delay_alu instid0(VALU_DEP_1) | instskip(NEXT) | instid1(VALU_DEP_1)
	v_fma_f64 v[20:21], -v[16:17], v[18:19], 1.0
	v_fma_f64 v[18:19], v[18:19], v[20:21], v[18:19]
	v_div_scale_f64 v[20:21], vcc_lo, v[14:15], v[12:13], v[14:15]
	s_delay_alu instid0(VALU_DEP_1) | instskip(NEXT) | instid1(VALU_DEP_1)
	v_mul_f64 v[22:23], v[20:21], v[18:19]
	v_fma_f64 v[16:17], -v[16:17], v[22:23], v[20:21]
	s_delay_alu instid0(VALU_DEP_1) | instskip(NEXT) | instid1(VALU_DEP_1)
	v_div_fmas_f64 v[16:17], v[16:17], v[18:19], v[22:23]
                                        ; implicit-def: $vgpr18_vgpr19
	v_div_fixup_f64 v[16:17], v[16:17], v[12:13], v[14:15]
                                        ; implicit-def: $vgpr12_vgpr13
                                        ; implicit-def: $vgpr14_vgpr15
.LBB7_113:
	s_and_not1_saveexec_b32 s3, s3
	s_cbranch_execz .LBB7_115
; %bb.114:
	v_cmp_gt_f64_e64 s4, 0x10000000, |v[12:13]|
	s_delay_alu instid0(VALU_DEP_4) | instskip(SKIP_1) | instid1(VALU_DEP_3)
	v_ldexp_f64 v[18:19], -v[18:19], v4
	v_cmp_nlt_f64_e64 vcc_lo, 0x40900000, |v[12:13]|
	v_cndmask_b32_e64 v7, 0, 1, s4
	v_cndmask_b32_e64 v4, 0, 0xffffff80, s4
	s_delay_alu instid0(VALU_DEP_4) | instskip(NEXT) | instid1(VALU_DEP_3)
	v_cndmask_b32_e32 v19, 0xfff00000, v19, vcc_lo
	v_dual_cndmask_b32 v18, 0, v18 :: v_dual_lshlrev_b32 v7, 8, v7
	s_delay_alu instid0(VALU_DEP_1) | instskip(NEXT) | instid1(VALU_DEP_2)
	v_mul_f64 v[14:15], v[18:19], v[14:15]
	v_ldexp_f64 v[16:17], |v[12:13]|, v7
	s_delay_alu instid0(VALU_DEP_1) | instskip(SKIP_4) | instid1(VALU_DEP_1)
	v_rsq_f64_e32 v[20:21], v[16:17]
	v_cmp_class_f64_e64 vcc_lo, v[16:17], 0x260
	s_waitcnt_depctr 0xfff
	v_mul_f64 v[22:23], v[16:17], v[20:21]
	v_mul_f64 v[20:21], v[20:21], 0.5
	v_fma_f64 v[24:25], -v[20:21], v[22:23], 0.5
	s_delay_alu instid0(VALU_DEP_1) | instskip(SKIP_1) | instid1(VALU_DEP_2)
	v_fma_f64 v[22:23], v[22:23], v[24:25], v[22:23]
	v_fma_f64 v[20:21], v[20:21], v[24:25], v[20:21]
	v_fma_f64 v[24:25], -v[22:23], v[22:23], v[16:17]
	s_delay_alu instid0(VALU_DEP_1) | instskip(NEXT) | instid1(VALU_DEP_1)
	v_fma_f64 v[22:23], v[24:25], v[20:21], v[22:23]
	v_fma_f64 v[24:25], -v[22:23], v[22:23], v[16:17]
	s_delay_alu instid0(VALU_DEP_1) | instskip(NEXT) | instid1(VALU_DEP_1)
	v_fma_f64 v[12:13], v[24:25], v[20:21], v[22:23]
	v_ldexp_f64 v[12:13], v[12:13], v4
	s_delay_alu instid0(VALU_DEP_1) | instskip(NEXT) | instid1(VALU_DEP_1)
	v_dual_cndmask_b32 v13, v13, v17 :: v_dual_cndmask_b32 v12, v12, v16
	v_div_scale_f64 v[16:17], null, v[12:13], v[12:13], v[14:15]
	s_delay_alu instid0(VALU_DEP_1) | instskip(SKIP_2) | instid1(VALU_DEP_1)
	v_rcp_f64_e32 v[18:19], v[16:17]
	s_waitcnt_depctr 0xfff
	v_fma_f64 v[20:21], -v[16:17], v[18:19], 1.0
	v_fma_f64 v[18:19], v[18:19], v[20:21], v[18:19]
	s_delay_alu instid0(VALU_DEP_1) | instskip(NEXT) | instid1(VALU_DEP_1)
	v_fma_f64 v[20:21], -v[16:17], v[18:19], 1.0
	v_fma_f64 v[18:19], v[18:19], v[20:21], v[18:19]
	v_div_scale_f64 v[20:21], vcc_lo, v[14:15], v[12:13], v[14:15]
	s_delay_alu instid0(VALU_DEP_1) | instskip(NEXT) | instid1(VALU_DEP_1)
	v_mul_f64 v[22:23], v[20:21], v[18:19]
	v_fma_f64 v[16:17], -v[16:17], v[22:23], v[20:21]
	s_delay_alu instid0(VALU_DEP_1) | instskip(NEXT) | instid1(VALU_DEP_1)
	v_div_fmas_f64 v[16:17], v[16:17], v[18:19], v[22:23]
	v_div_fixup_f64 v[16:17], v[16:17], v[12:13], v[14:15]
.LBB7_115:
	s_or_b32 exec_lo, exec_lo, s3
.LBB7_116:
	s_delay_alu instid0(SALU_CYCLE_1)
	s_or_b32 exec_lo, exec_lo, s2
	s_clause 0x3
	global_store_b64 v0, v[5:6], s[0:1]
	global_store_b64 v1, v[8:9], s[0:1]
	;; [unrolled: 1-line block ×4, first 2 shown]
	s_nop 0
	s_sendmsg sendmsg(MSG_DEALLOC_VGPRS)
	s_endpgm
.LBB7_117:
	v_dual_mov_b32 v2, v11 :: v_dual_mov_b32 v1, 0
.LBB7_118:
	s_and_b32 s34, s34, 3
	s_delay_alu instid0(SALU_CYCLE_1)
	s_cmp_eq_u32 s34, 0
	s_cbranch_scc1 .LBB7_121
; %bb.119:
	s_lshl_b32 s18, s33, 3
	s_mul_i32 s20, s33, 12
	s_add_u32 s18, s18, s0
	s_addc_u32 s19, s1, 0
	s_add_u32 s18, s18, 0xc4
	s_addc_u32 s19, s19, 0
	;; [unrolled: 2-line block ×3, first 2 shown]
	.p2align	6
.LBB7_120:                              ; =>This Inner Loop Header: Depth=1
	s_clause 0x1
	s_load_b64 s[36:37], s[20:21], 0x4
	s_load_b32 s33, s[20:21], 0xc
	s_load_b64 s[38:39], s[18:19], 0x0
	s_add_u32 s20, s20, 12
	s_addc_u32 s21, s21, 0
	s_add_u32 s18, s18, 8
	s_addc_u32 s19, s19, 0
	s_add_i32 s34, s34, -1
	s_delay_alu instid0(SALU_CYCLE_1) | instskip(SKIP_2) | instid1(VALU_DEP_1)
	s_cmp_lg_u32 s34, 0
	s_waitcnt lgkmcnt(0)
	v_mul_hi_u32 v3, s37, v2
	v_add_nc_u32_e32 v3, v2, v3
	s_delay_alu instid0(VALU_DEP_1) | instskip(NEXT) | instid1(VALU_DEP_1)
	v_lshrrev_b32_e32 v6, s33, v3
	v_mul_lo_u32 v3, v6, s36
	s_delay_alu instid0(VALU_DEP_1) | instskip(NEXT) | instid1(VALU_DEP_1)
	v_sub_nc_u32_e32 v2, v2, v3
	v_mad_u64_u32 v[3:4], null, v2, s38, v[0:1]
	v_mad_u64_u32 v[4:5], null, v2, s39, v[1:2]
	v_mov_b32_e32 v2, v6
	s_delay_alu instid0(VALU_DEP_2)
	v_dual_mov_b32 v0, v3 :: v_dual_mov_b32 v1, v4
	s_cbranch_scc1 .LBB7_120
.LBB7_121:
	s_and_not1_b32 vcc_lo, exec_lo, s31
	s_cbranch_vccnz .LBB7_124
; %bb.122:
	s_waitcnt lgkmcnt(0)
	v_mul_hi_u32 v0, s13, v11
	s_and_not1_b32 vcc_lo, exec_lo, s26
	s_delay_alu instid0(VALU_DEP_1) | instskip(NEXT) | instid1(VALU_DEP_1)
	v_add_nc_u32_e32 v0, v11, v0
	v_lshrrev_b32_e32 v2, s14, v0
	s_delay_alu instid0(VALU_DEP_1) | instskip(NEXT) | instid1(VALU_DEP_1)
	v_mul_lo_u32 v0, v2, s12
	v_sub_nc_u32_e32 v1, v11, v0
	s_delay_alu instid0(VALU_DEP_1)
	v_mul_lo_u32 v0, v1, s8
	v_mul_lo_u32 v1, v1, s9
	s_cbranch_vccnz .LBB7_124
; %bb.123:
	v_mul_hi_u32 v3, s2, v2
	s_delay_alu instid0(VALU_DEP_1) | instskip(NEXT) | instid1(VALU_DEP_1)
	v_add_nc_u32_e32 v3, v2, v3
	v_lshrrev_b32_e32 v3, s3, v3
	s_delay_alu instid0(VALU_DEP_1) | instskip(NEXT) | instid1(VALU_DEP_1)
	v_mul_lo_u32 v3, v3, s15
	v_sub_nc_u32_e32 v5, v2, v3
	s_delay_alu instid0(VALU_DEP_1) | instskip(NEXT) | instid1(VALU_DEP_1)
	v_mad_u64_u32 v[2:3], null, v5, s10, v[0:1]
	v_mad_u64_u32 v[3:4], null, v5, s11, v[1:2]
	s_delay_alu instid0(VALU_DEP_1)
	v_dual_mov_b32 v0, v2 :: v_dual_mov_b32 v1, v3
.LBB7_124:
	s_waitcnt lgkmcnt(0)
	global_load_b64 v[1:2], v1, s[6:7]
                                        ; implicit-def: $vgpr5_vgpr6
	s_waitcnt vmcnt(0)
	v_cmp_ge_f64_e64 s18, 0x40200000, |v[1:2]|
	s_delay_alu instid0(VALU_DEP_1) | instskip(NEXT) | instid1(SALU_CYCLE_1)
	s_and_saveexec_b32 s19, s18
	s_xor_b32 s18, exec_lo, s19
	s_cbranch_execz .LBB7_130
; %bb.125:
	v_fma_f64 v[3:4], |v[1:2]|, 0.5, -2.0
	s_mov_b32 s20, 0xc38a0576
	s_mov_b32 s21, 0xbc7857d0
	;; [unrolled: 1-line block ×4, first 2 shown]
	s_mov_b32 s19, exec_lo
	s_delay_alu instid0(VALU_DEP_1) | instskip(SKIP_3) | instid1(VALU_DEP_1)
	v_fma_f64 v[5:6], v[3:4], s[34:35], s[20:21]
	s_mov_b32 s35, 0xbc499f2a
	s_mov_b32 s20, 0xe593bfac
	;; [unrolled: 1-line block ×3, first 2 shown]
	v_fma_f64 v[7:8], v[3:4], v[5:6], s[34:35]
	s_delay_alu instid0(VALU_DEP_1) | instskip(SKIP_2) | instid1(VALU_DEP_1)
	v_add_f64 v[7:8], v[7:8], s[20:21]
	s_mov_b32 s20, 0x7e0d1573
	s_mov_b32 s21, 0xbcd3eaaa
	v_fma_f64 v[5:6], v[3:4], v[7:8], -v[5:6]
	s_delay_alu instid0(VALU_DEP_1) | instskip(SKIP_2) | instid1(VALU_DEP_1)
	v_add_f64 v[5:6], v[5:6], s[20:21]
	s_mov_b32 s20, 0x615290c
	s_mov_b32 s21, 0x3d011d7f
	v_fma_f64 v[7:8], v[3:4], v[5:6], -v[7:8]
	;; [unrolled: 5-line block ×26, first 2 shown]
                                        ; implicit-def: $vgpr5_vgpr6
	s_delay_alu instid0(VALU_DEP_1) | instskip(NEXT) | instid1(VALU_DEP_1)
	v_add_f64 v[3:4], v[3:4], s[20:21]
	v_add_f64 v[3:4], v[3:4], -v[7:8]
	v_cmpx_ngt_f64_e32 0, v[1:2]
	s_xor_b32 s19, exec_lo, s19
	s_cbranch_execz .LBB7_127
; %bb.126:
	s_mov_b32 s20, 0x652b82fe
	s_mov_b32 s21, 0x3ff71547
	;; [unrolled: 1-line block ×3, first 2 shown]
	v_mul_f64 v[5:6], |v[1:2]|, s[20:21]
	s_mov_b32 s20, 0xfefa39ef
	s_mov_b32 s21, 0xbfe62e42
	;; [unrolled: 1-line block ×3, first 2 shown]
	s_delay_alu instid0(VALU_DEP_3) | instskip(SKIP_1) | instid1(VALU_DEP_3)
	v_mul_f64 v[3:4], v[3:4], 0.5
	v_cmp_nlt_f64_e64 vcc_lo, 0x40900000, |v[1:2]|
	v_rndne_f64_e32 v[5:6], v[5:6]
	s_delay_alu instid0(VALU_DEP_1) | instskip(SKIP_4) | instid1(VALU_DEP_3)
	v_fma_f64 v[7:8], v[5:6], s[20:21], |v[1:2]|
	s_mov_b32 s20, 0x3b39803f
	s_mov_b32 s21, 0xbc7abc9e
	v_cvt_i32_f64_e32 v12, v[5:6]
	v_mul_f64 v[1:2], |v[1:2]|, v[3:4]
	v_fma_f64 v[7:8], v[5:6], s[20:21], v[7:8]
	s_mov_b32 s20, 0xfca7ab0c
	s_mov_b32 s21, 0x3e928af3
	s_delay_alu instid0(VALU_DEP_1) | instid1(SALU_CYCLE_1)
	v_fma_f64 v[9:10], v[7:8], s[34:35], s[20:21]
	s_mov_b32 s20, 0x623fde64
	s_mov_b32 s21, 0x3ec71dee
	s_delay_alu instid0(VALU_DEP_1) | instid1(SALU_CYCLE_1)
	;; [unrolled: 4-line block ×9, first 2 shown]
	v_fma_f64 v[9:10], v[7:8], v[9:10], s[20:21]
	s_delay_alu instid0(VALU_DEP_1) | instskip(NEXT) | instid1(VALU_DEP_1)
	v_fma_f64 v[9:10], v[7:8], v[9:10], 1.0
	v_fma_f64 v[5:6], v[7:8], v[9:10], 1.0
	s_delay_alu instid0(VALU_DEP_1) | instskip(NEXT) | instid1(VALU_DEP_1)
	v_ldexp_f64 v[5:6], v[5:6], v12
	v_cndmask_b32_e32 v4, 0x7ff00000, v6, vcc_lo
	s_delay_alu instid0(VALU_DEP_2) | instskip(NEXT) | instid1(VALU_DEP_1)
	v_cndmask_b32_e32 v3, 0, v5, vcc_lo
	v_mul_f64 v[5:6], v[3:4], v[1:2]
                                        ; implicit-def: $vgpr1_vgpr2
                                        ; implicit-def: $vgpr3_vgpr4
.LBB7_127:
	s_and_not1_saveexec_b32 s19, s19
	s_cbranch_execz .LBB7_129
; %bb.128:
	s_mov_b32 s20, 0x652b82fe
	s_mov_b32 s21, 0x3ff71547
	;; [unrolled: 1-line block ×3, first 2 shown]
	v_mul_f64 v[5:6], |v[1:2]|, s[20:21]
	s_mov_b32 s20, 0xfefa39ef
	s_mov_b32 s21, 0xbfe62e42
	;; [unrolled: 1-line block ×3, first 2 shown]
	s_delay_alu instid0(VALU_DEP_3) | instskip(SKIP_1) | instid1(VALU_DEP_3)
	v_mul_f64 v[3:4], v[3:4], -0.5
	v_cmp_nlt_f64_e64 vcc_lo, 0x40900000, |v[1:2]|
	v_rndne_f64_e32 v[5:6], v[5:6]
	s_delay_alu instid0(VALU_DEP_1) | instskip(SKIP_4) | instid1(VALU_DEP_3)
	v_fma_f64 v[7:8], v[5:6], s[20:21], |v[1:2]|
	s_mov_b32 s20, 0x3b39803f
	s_mov_b32 s21, 0xbc7abc9e
	v_cvt_i32_f64_e32 v12, v[5:6]
	v_mul_f64 v[1:2], |v[1:2]|, v[3:4]
	v_fma_f64 v[7:8], v[5:6], s[20:21], v[7:8]
	s_mov_b32 s20, 0xfca7ab0c
	s_mov_b32 s21, 0x3e928af3
	s_delay_alu instid0(VALU_DEP_1) | instid1(SALU_CYCLE_1)
	v_fma_f64 v[9:10], v[7:8], s[34:35], s[20:21]
	s_mov_b32 s20, 0x623fde64
	s_mov_b32 s21, 0x3ec71dee
	s_delay_alu instid0(VALU_DEP_1) | instid1(SALU_CYCLE_1)
	v_fma_f64 v[9:10], v[7:8], v[9:10], s[20:21]
	s_mov_b32 s20, 0x7c89e6b0
	s_mov_b32 s21, 0x3efa0199
	s_delay_alu instid0(VALU_DEP_1) | instid1(SALU_CYCLE_1)
	v_fma_f64 v[9:10], v[7:8], v[9:10], s[20:21]
	s_mov_b32 s20, 0x14761f6e
	s_mov_b32 s21, 0x3f2a01a0
	s_delay_alu instid0(VALU_DEP_1) | instid1(SALU_CYCLE_1)
	v_fma_f64 v[9:10], v[7:8], v[9:10], s[20:21]
	s_mov_b32 s20, 0x1852b7b0
	s_mov_b32 s21, 0x3f56c16c
	s_delay_alu instid0(VALU_DEP_1) | instid1(SALU_CYCLE_1)
	v_fma_f64 v[9:10], v[7:8], v[9:10], s[20:21]
	s_mov_b32 s20, 0x11122322
	s_mov_b32 s21, 0x3f811111
	s_delay_alu instid0(VALU_DEP_1) | instid1(SALU_CYCLE_1)
	v_fma_f64 v[9:10], v[7:8], v[9:10], s[20:21]
	s_mov_b32 s20, 0x555502a1
	s_mov_b32 s21, 0x3fa55555
	s_delay_alu instid0(VALU_DEP_1) | instid1(SALU_CYCLE_1)
	v_fma_f64 v[9:10], v[7:8], v[9:10], s[20:21]
	s_mov_b32 s20, 0x55555511
	s_mov_b32 s21, 0x3fc55555
	s_delay_alu instid0(VALU_DEP_1) | instid1(SALU_CYCLE_1)
	v_fma_f64 v[9:10], v[7:8], v[9:10], s[20:21]
	s_mov_b32 s20, 11
	s_mov_b32 s21, 0x3fe00000
	s_delay_alu instid0(VALU_DEP_1) | instid1(SALU_CYCLE_1)
	v_fma_f64 v[9:10], v[7:8], v[9:10], s[20:21]
	s_delay_alu instid0(VALU_DEP_1) | instskip(NEXT) | instid1(VALU_DEP_1)
	v_fma_f64 v[9:10], v[7:8], v[9:10], 1.0
	v_fma_f64 v[5:6], v[7:8], v[9:10], 1.0
	s_delay_alu instid0(VALU_DEP_1) | instskip(NEXT) | instid1(VALU_DEP_1)
	v_ldexp_f64 v[5:6], v[5:6], v12
	v_cndmask_b32_e32 v4, 0x7ff00000, v6, vcc_lo
	s_delay_alu instid0(VALU_DEP_2) | instskip(NEXT) | instid1(VALU_DEP_1)
	v_cndmask_b32_e32 v3, 0, v5, vcc_lo
	v_mul_f64 v[5:6], v[3:4], v[1:2]
.LBB7_129:
	s_or_b32 exec_lo, exec_lo, s19
                                        ; implicit-def: $vgpr1_vgpr2
.LBB7_130:
	s_and_not1_saveexec_b32 s18, s18
	s_cbranch_execz .LBB7_136
; %bb.131:
	v_dual_mov_b32 v3, v1 :: v_dual_and_b32 v4, 0x7fffffff, v2
	s_mov_b32 s20, 0xea87b950
	s_mov_b32 s21, 0x3c545b8a
	;; [unrolled: 1-line block ×4, first 2 shown]
	v_div_scale_f64 v[5:6], null, v[3:4], v[3:4], 0x40400000
	v_div_scale_f64 v[3:4], vcc_lo, 0x40400000, v[3:4], 0x40400000
	s_mov_b32 s36, 0x94bb46c1
	s_mov_b32 s37, 0xbe5c4153
	s_mov_b32 s19, exec_lo
	s_delay_alu instid0(VALU_DEP_2) | instskip(SKIP_2) | instid1(VALU_DEP_1)
	v_rcp_f64_e32 v[7:8], v[5:6]
	s_waitcnt_depctr 0xfff
	v_fma_f64 v[9:10], -v[5:6], v[7:8], 1.0
	v_fma_f64 v[7:8], v[7:8], v[9:10], v[7:8]
	s_delay_alu instid0(VALU_DEP_1) | instskip(NEXT) | instid1(VALU_DEP_1)
	v_fma_f64 v[9:10], -v[5:6], v[7:8], 1.0
	v_fma_f64 v[7:8], v[7:8], v[9:10], v[7:8]
	s_delay_alu instid0(VALU_DEP_1) | instskip(NEXT) | instid1(VALU_DEP_1)
	v_mul_f64 v[9:10], v[3:4], v[7:8]
	v_fma_f64 v[3:4], -v[5:6], v[9:10], v[3:4]
	s_delay_alu instid0(VALU_DEP_1) | instskip(NEXT) | instid1(VALU_DEP_1)
	v_div_fmas_f64 v[3:4], v[3:4], v[7:8], v[9:10]
	v_div_fixup_f64 v[3:4], v[3:4], |v[1:2]|, 0x40400000
	s_delay_alu instid0(VALU_DEP_1) | instskip(NEXT) | instid1(VALU_DEP_1)
	v_add_f64 v[5:6], v[3:4], -2.0
	v_fma_f64 v[3:4], v[5:6], s[34:35], s[20:21]
	s_mov_b32 s35, 0xbc61556d
	s_mov_b32 s20, 0xb2532277
	s_mov_b32 s21, 0xbc8acea3
	s_delay_alu instid0(VALU_DEP_1) | instskip(SKIP_2) | instid1(VALU_DEP_1)
	v_fma_f64 v[7:8], v[5:6], v[3:4], s[34:35]
	s_mov_b32 s34, 0x5423dd80
	s_mov_b32 s35, 0xbe0334ca
	v_add_f64 v[7:8], v[7:8], s[20:21]
	s_mov_b32 s20, 0x9c773320
	s_mov_b32 s21, 0xbc82806c
	s_delay_alu instid0(VALU_DEP_1) | instskip(NEXT) | instid1(VALU_DEP_1)
	v_fma_f64 v[3:4], v[5:6], v[7:8], -v[3:4]
	v_add_f64 v[3:4], v[3:4], s[20:21]
	s_mov_b32 s20, 0xfceb588a
	s_mov_b32 s21, 0x3cb55915
	s_delay_alu instid0(VALU_DEP_1) | instskip(NEXT) | instid1(VALU_DEP_1)
	v_fma_f64 v[7:8], v[5:6], v[3:4], -v[7:8]
	;; [unrolled: 5-line block ×14, first 2 shown]
	v_add_f64 v[7:8], v[7:8], s[20:21]
	s_mov_b32 s20, 0x652b82fe
	s_mov_b32 s21, 0x3ff71547
	s_delay_alu instid0(SALU_CYCLE_1) | instskip(SKIP_2) | instid1(VALU_DEP_2)
	v_mul_f64 v[9:10], |v[1:2]|, s[20:21]
	s_mov_b32 s20, 0xfefa39ef
	s_mov_b32 s21, 0xbfe62e42
	v_fma_f64 v[3:4], v[5:6], v[7:8], -v[3:4]
	s_delay_alu instid0(VALU_DEP_2) | instskip(NEXT) | instid1(VALU_DEP_2)
	v_rndne_f64_e32 v[12:13], v[9:10]
	v_add_f64 v[3:4], v[3:4], s[34:35]
	s_mov_b32 s34, 0x9ad53528
	s_mov_b32 s35, 0xbe30790b
	s_delay_alu instid0(VALU_DEP_2) | instskip(SKIP_2) | instid1(VALU_DEP_2)
	v_fma_f64 v[9:10], v[12:13], s[20:21], |v[1:2]|
	s_mov_b32 s20, 0x3b39803f
	s_mov_b32 s21, 0xbc7abc9e
	v_fma_f64 v[7:8], v[5:6], v[3:4], -v[7:8]
	s_delay_alu instid0(VALU_DEP_2) | instskip(SKIP_3) | instid1(VALU_DEP_3)
	v_fma_f64 v[9:10], v[12:13], s[20:21], v[9:10]
	s_mov_b32 s20, 0xfca7ab0c
	s_mov_b32 s21, 0x3e928af3
	v_cvt_i32_f64_e32 v12, v[12:13]
	v_add_f64 v[7:8], v[7:8], s[34:35]
	s_mov_b32 s34, 0x6a5dcb37
	s_mov_b32 s35, 0x3e5ade15
	s_delay_alu instid0(VALU_DEP_3) | instid1(SALU_CYCLE_1)
	v_fma_f64 v[14:15], v[9:10], s[34:35], s[20:21]
	s_mov_b32 s20, 0x623fde64
	s_mov_b32 s21, 0x3ec71dee
	;; [unrolled: 1-line block ×4, first 2 shown]
	s_delay_alu instid0(VALU_DEP_2) | instskip(NEXT) | instid1(VALU_DEP_2)
	v_fma_f64 v[3:4], v[5:6], v[7:8], -v[3:4]
	v_fma_f64 v[14:15], v[9:10], v[14:15], s[20:21]
	s_mov_b32 s20, 0x7c89e6b0
	s_mov_b32 s21, 0x3efa0199
	s_delay_alu instid0(VALU_DEP_2) | instskip(NEXT) | instid1(VALU_DEP_2)
	v_add_f64 v[3:4], v[3:4], s[36:37]
	v_fma_f64 v[14:15], v[9:10], v[14:15], s[20:21]
	s_mov_b32 s20, 0x14761f6e
	s_mov_b32 s21, 0x3f2a01a0
	s_delay_alu instid0(VALU_DEP_2) | instskip(NEXT) | instid1(VALU_DEP_2)
	v_fma_f64 v[7:8], v[5:6], v[3:4], -v[7:8]
	v_fma_f64 v[14:15], v[9:10], v[14:15], s[20:21]
	s_mov_b32 s20, 0x1852b7b0
	s_mov_b32 s21, 0x3f56c16c
	s_delay_alu instid0(VALU_DEP_2) | instskip(SKIP_2) | instid1(VALU_DEP_2)
	v_add_f64 v[7:8], v[7:8], s[34:35]
	s_mov_b32 s34, 0x49ca0373
	s_mov_b32 s35, 0xbed048df
	v_fma_f64 v[14:15], v[9:10], v[14:15], s[20:21]
	s_mov_b32 s20, 0x11122322
	s_mov_b32 s21, 0x3f811111
	s_delay_alu instid0(VALU_DEP_2) | instskip(NEXT) | instid1(VALU_DEP_1)
	v_fma_f64 v[3:4], v[5:6], v[7:8], -v[3:4]
	v_add_f64 v[16:17], v[3:4], s[34:35]
	s_delay_alu instid0(VALU_DEP_3) | instskip(SKIP_4) | instid1(VALU_DEP_2)
	v_fma_f64 v[3:4], v[9:10], v[14:15], s[20:21]
	s_mov_b32 s20, 0x555502a1
	s_mov_b32 s34, 0x804aa9a6
	;; [unrolled: 1-line block ×4, first 2 shown]
	v_fma_f64 v[7:8], v[5:6], v[16:17], -v[7:8]
	s_delay_alu instid0(VALU_DEP_2) | instskip(SKIP_2) | instid1(VALU_DEP_2)
	v_fma_f64 v[14:15], v[9:10], v[3:4], s[20:21]
	s_mov_b32 s20, 0x55555511
	s_mov_b32 s21, 0x3fc55555
	v_add_f64 v[3:4], v[7:8], s[34:35]
	s_delay_alu instid0(VALU_DEP_2) | instskip(SKIP_4) | instid1(VALU_DEP_2)
	v_fma_f64 v[7:8], v[9:10], v[14:15], s[20:21]
	s_mov_b32 s20, 11
	s_mov_b32 s34, 0x53fcdb4c
	;; [unrolled: 1-line block ×4, first 2 shown]
	v_fma_f64 v[14:15], v[5:6], v[3:4], -v[16:17]
	s_delay_alu instid0(VALU_DEP_2) | instskip(SKIP_2) | instid1(VALU_DEP_2)
	v_fma_f64 v[7:8], v[9:10], v[7:8], s[20:21]
	s_mov_b32 s20, 0xb55b1514
	s_mov_b32 s21, 0x3fe8ea18
	v_add_f64 v[14:15], v[14:15], s[34:35]
	s_delay_alu instid0(VALU_DEP_2) | instskip(NEXT) | instid1(VALU_DEP_2)
	v_fma_f64 v[7:8], v[9:10], v[7:8], 1.0
	v_fma_f64 v[5:6], v[5:6], v[14:15], -v[3:4]
	s_delay_alu instid0(VALU_DEP_2) | instskip(NEXT) | instid1(VALU_DEP_2)
	v_fma_f64 v[7:8], v[9:10], v[7:8], 1.0
	v_add_f64 v[9:10], v[5:6], s[20:21]
                                        ; implicit-def: $vgpr5_vgpr6
	v_cmpx_ngt_f64_e32 0, v[1:2]
	s_xor_b32 s19, exec_lo, s19
	s_cbranch_execz .LBB7_133
; %bb.132:
	v_cmp_gt_f64_e64 s20, 0x10000000, |v[1:2]|
	s_delay_alu instid0(VALU_DEP_4) | instskip(SKIP_2) | instid1(VALU_DEP_4)
	v_ldexp_f64 v[7:8], v[7:8], v12
	v_cmp_nlt_f64_e64 vcc_lo, 0x40900000, |v[1:2]|
	v_add_f64 v[3:4], v[9:10], -v[3:4]
	v_cndmask_b32_e64 v5, 0, 1, s20
	v_cndmask_b32_e64 v9, 0, 0xffffff80, s20
	v_cndmask_b32_e32 v8, 0x7ff00000, v8, vcc_lo
	s_delay_alu instid0(VALU_DEP_4) | instskip(NEXT) | instid1(VALU_DEP_4)
	v_mul_f64 v[3:4], v[3:4], 0.5
	v_lshlrev_b32_e32 v5, 8, v5
	s_delay_alu instid0(VALU_DEP_1) | instskip(NEXT) | instid1(VALU_DEP_1)
	v_ldexp_f64 v[5:6], |v[1:2]|, v5
	v_rsq_f64_e32 v[13:14], v[5:6]
	s_waitcnt_depctr 0xfff
	v_mul_f64 v[15:16], v[5:6], v[13:14]
	v_mul_f64 v[13:14], v[13:14], 0.5
	s_delay_alu instid0(VALU_DEP_1) | instskip(NEXT) | instid1(VALU_DEP_1)
	v_fma_f64 v[17:18], -v[13:14], v[15:16], 0.5
	v_fma_f64 v[15:16], v[15:16], v[17:18], v[15:16]
	v_fma_f64 v[13:14], v[13:14], v[17:18], v[13:14]
	s_delay_alu instid0(VALU_DEP_2) | instskip(NEXT) | instid1(VALU_DEP_1)
	v_fma_f64 v[17:18], -v[15:16], v[15:16], v[5:6]
	v_fma_f64 v[15:16], v[17:18], v[13:14], v[15:16]
	s_delay_alu instid0(VALU_DEP_1) | instskip(NEXT) | instid1(VALU_DEP_1)
	v_fma_f64 v[17:18], -v[15:16], v[15:16], v[5:6]
	v_fma_f64 v[1:2], v[17:18], v[13:14], v[15:16]
	s_delay_alu instid0(VALU_DEP_1) | instskip(SKIP_2) | instid1(VALU_DEP_3)
	v_ldexp_f64 v[1:2], v[1:2], v9
	v_cndmask_b32_e32 v7, 0, v7, vcc_lo
	v_cmp_class_f64_e64 vcc_lo, v[5:6], 0x260
	v_cndmask_b32_e32 v2, v2, v6, vcc_lo
	s_delay_alu instid0(VALU_DEP_3) | instskip(SKIP_1) | instid1(VALU_DEP_1)
	v_mul_f64 v[3:4], v[7:8], v[3:4]
	v_cndmask_b32_e32 v1, v1, v5, vcc_lo
	v_div_scale_f64 v[5:6], null, v[1:2], v[1:2], v[3:4]
	s_delay_alu instid0(VALU_DEP_1) | instskip(SKIP_2) | instid1(VALU_DEP_1)
	v_rcp_f64_e32 v[7:8], v[5:6]
	s_waitcnt_depctr 0xfff
	v_fma_f64 v[9:10], -v[5:6], v[7:8], 1.0
	v_fma_f64 v[7:8], v[7:8], v[9:10], v[7:8]
	s_delay_alu instid0(VALU_DEP_1) | instskip(NEXT) | instid1(VALU_DEP_1)
	v_fma_f64 v[9:10], -v[5:6], v[7:8], 1.0
	v_fma_f64 v[7:8], v[7:8], v[9:10], v[7:8]
	v_div_scale_f64 v[9:10], vcc_lo, v[3:4], v[1:2], v[3:4]
	s_delay_alu instid0(VALU_DEP_1) | instskip(NEXT) | instid1(VALU_DEP_1)
	v_mul_f64 v[12:13], v[9:10], v[7:8]
	v_fma_f64 v[5:6], -v[5:6], v[12:13], v[9:10]
                                        ; implicit-def: $vgpr9_vgpr10
	s_delay_alu instid0(VALU_DEP_1) | instskip(NEXT) | instid1(VALU_DEP_1)
	v_div_fmas_f64 v[5:6], v[5:6], v[7:8], v[12:13]
                                        ; implicit-def: $vgpr7_vgpr8
                                        ; implicit-def: $vgpr12
	v_div_fixup_f64 v[5:6], v[5:6], v[1:2], v[3:4]
                                        ; implicit-def: $vgpr3_vgpr4
                                        ; implicit-def: $vgpr1_vgpr2
.LBB7_133:
	s_and_not1_saveexec_b32 s19, s19
	s_cbranch_execz .LBB7_135
; %bb.134:
	v_cmp_gt_f64_e64 s20, 0x10000000, |v[1:2]|
	s_delay_alu instid0(VALU_DEP_4) | instskip(SKIP_2) | instid1(VALU_DEP_4)
	v_ldexp_f64 v[7:8], -v[7:8], v12
	v_cmp_nlt_f64_e64 vcc_lo, 0x40900000, |v[1:2]|
	v_add_f64 v[3:4], v[9:10], -v[3:4]
	v_cndmask_b32_e64 v5, 0, 1, s20
	v_cndmask_b32_e64 v9, 0, 0xffffff80, s20
	v_cndmask_b32_e32 v8, 0xfff00000, v8, vcc_lo
	s_delay_alu instid0(VALU_DEP_4) | instskip(NEXT) | instid1(VALU_DEP_4)
	v_mul_f64 v[3:4], v[3:4], 0.5
	v_lshlrev_b32_e32 v5, 8, v5
	s_delay_alu instid0(VALU_DEP_1) | instskip(NEXT) | instid1(VALU_DEP_1)
	v_ldexp_f64 v[5:6], |v[1:2]|, v5
	v_rsq_f64_e32 v[13:14], v[5:6]
	s_waitcnt_depctr 0xfff
	v_mul_f64 v[15:16], v[5:6], v[13:14]
	v_mul_f64 v[13:14], v[13:14], 0.5
	s_delay_alu instid0(VALU_DEP_1) | instskip(NEXT) | instid1(VALU_DEP_1)
	v_fma_f64 v[17:18], -v[13:14], v[15:16], 0.5
	v_fma_f64 v[15:16], v[15:16], v[17:18], v[15:16]
	v_fma_f64 v[13:14], v[13:14], v[17:18], v[13:14]
	s_delay_alu instid0(VALU_DEP_2) | instskip(NEXT) | instid1(VALU_DEP_1)
	v_fma_f64 v[17:18], -v[15:16], v[15:16], v[5:6]
	v_fma_f64 v[15:16], v[17:18], v[13:14], v[15:16]
	s_delay_alu instid0(VALU_DEP_1) | instskip(NEXT) | instid1(VALU_DEP_1)
	v_fma_f64 v[17:18], -v[15:16], v[15:16], v[5:6]
	v_fma_f64 v[1:2], v[17:18], v[13:14], v[15:16]
	s_delay_alu instid0(VALU_DEP_1) | instskip(SKIP_2) | instid1(VALU_DEP_3)
	v_ldexp_f64 v[1:2], v[1:2], v9
	v_cndmask_b32_e32 v7, 0, v7, vcc_lo
	v_cmp_class_f64_e64 vcc_lo, v[5:6], 0x260
	v_cndmask_b32_e32 v2, v2, v6, vcc_lo
	s_delay_alu instid0(VALU_DEP_3) | instskip(SKIP_1) | instid1(VALU_DEP_1)
	v_mul_f64 v[3:4], v[7:8], v[3:4]
	v_cndmask_b32_e32 v1, v1, v5, vcc_lo
	v_div_scale_f64 v[5:6], null, v[1:2], v[1:2], v[3:4]
	s_delay_alu instid0(VALU_DEP_1) | instskip(SKIP_2) | instid1(VALU_DEP_1)
	v_rcp_f64_e32 v[7:8], v[5:6]
	s_waitcnt_depctr 0xfff
	v_fma_f64 v[9:10], -v[5:6], v[7:8], 1.0
	v_fma_f64 v[7:8], v[7:8], v[9:10], v[7:8]
	s_delay_alu instid0(VALU_DEP_1) | instskip(NEXT) | instid1(VALU_DEP_1)
	v_fma_f64 v[9:10], -v[5:6], v[7:8], 1.0
	v_fma_f64 v[7:8], v[7:8], v[9:10], v[7:8]
	v_div_scale_f64 v[9:10], vcc_lo, v[3:4], v[1:2], v[3:4]
	s_delay_alu instid0(VALU_DEP_1) | instskip(NEXT) | instid1(VALU_DEP_1)
	v_mul_f64 v[12:13], v[9:10], v[7:8]
	v_fma_f64 v[5:6], -v[5:6], v[12:13], v[9:10]
	s_delay_alu instid0(VALU_DEP_1) | instskip(NEXT) | instid1(VALU_DEP_1)
	v_div_fmas_f64 v[5:6], v[5:6], v[7:8], v[12:13]
	v_div_fixup_f64 v[5:6], v[5:6], v[1:2], v[3:4]
.LBB7_135:
	s_or_b32 exec_lo, exec_lo, s19
.LBB7_136:
	s_delay_alu instid0(SALU_CYCLE_1) | instskip(SKIP_3) | instid1(SALU_CYCLE_1)
	s_or_b32 exec_lo, exec_lo, s18
	v_add_nc_u32_e32 v11, 0x80, v11
	global_store_b64 v0, v[5:6], s[4:5]
	s_or_b32 exec_lo, exec_lo, s30
	s_mov_b32 s30, exec_lo
	v_cmpx_gt_i32_e64 s27, v11
	s_cbranch_execnz .LBB7_15
.LBB7_137:
	s_or_b32 exec_lo, exec_lo, s30
	s_delay_alu instid0(SALU_CYCLE_1)
	s_mov_b32 s30, exec_lo
	v_cmpx_gt_i32_e64 s27, v11
	s_cbranch_execz .LBB7_164
.LBB7_138:
	s_and_not1_b32 vcc_lo, exec_lo, s24
	s_cbranch_vccnz .LBB7_143
; %bb.139:
	v_dual_mov_b32 v0, 0 :: v_dual_mov_b32 v1, 0
	s_and_not1_b32 vcc_lo, exec_lo, s29
	s_mov_b32 s31, 0
	s_cbranch_vccnz .LBB7_171
; %bb.140:
	v_mov_b32_e32 v0, 0
	s_add_i32 s34, s28, 1
	s_cmp_eq_u32 s23, 2
	s_mov_b32 s33, 0
	s_cbranch_scc1 .LBB7_167
; %bb.141:
	v_dual_mov_b32 v1, 0 :: v_dual_mov_b32 v0, 0
	v_mov_b32_e32 v2, v11
	s_and_b32 s33, s34, 28
	s_mov_b32 s35, 0
	s_mov_b64 s[18:19], s[16:17]
	s_mov_b64 s[20:21], s[0:1]
.LBB7_142:                              ; =>This Inner Loop Header: Depth=1
	s_clause 0x1
	s_load_b256 s[36:43], s[20:21], 0x4
	s_load_b128 s[52:55], s[20:21], 0x24
	s_load_b256 s[44:51], s[18:19], 0x0
	s_add_u32 s20, s20, 48
	s_addc_u32 s21, s21, 0
	s_add_i32 s35, s35, 4
	s_add_u32 s18, s18, 32
	s_addc_u32 s19, s19, 0
	s_cmp_eq_u32 s33, s35
	s_waitcnt lgkmcnt(0)
	v_mul_hi_u32 v3, s37, v2
	s_delay_alu instid0(VALU_DEP_1) | instskip(NEXT) | instid1(VALU_DEP_1)
	v_add_nc_u32_e32 v3, v2, v3
	v_lshrrev_b32_e32 v3, s38, v3
	s_delay_alu instid0(VALU_DEP_1) | instskip(SKIP_1) | instid1(VALU_DEP_2)
	v_mul_hi_u32 v4, s40, v3
	v_mul_lo_u32 v6, v3, s36
	v_add_nc_u32_e32 v4, v3, v4
	s_delay_alu instid0(VALU_DEP_2) | instskip(NEXT) | instid1(VALU_DEP_2)
	v_sub_nc_u32_e32 v2, v2, v6
	v_lshrrev_b32_e32 v4, s41, v4
	s_delay_alu instid0(VALU_DEP_2) | instskip(SKIP_1) | instid1(VALU_DEP_3)
	v_mul_lo_u32 v6, v2, s44
	v_mul_lo_u32 v8, v2, s45
	v_mul_hi_u32 v5, s43, v4
	s_delay_alu instid0(VALU_DEP_1) | instskip(NEXT) | instid1(VALU_DEP_1)
	v_add_nc_u32_e32 v5, v4, v5
	v_lshrrev_b32_e32 v5, s52, v5
	s_delay_alu instid0(VALU_DEP_1) | instskip(SKIP_1) | instid1(VALU_DEP_2)
	v_mul_hi_u32 v7, s54, v5
	v_mul_lo_u32 v9, v5, s42
	v_add_nc_u32_e32 v2, v5, v7
	v_mul_lo_u32 v7, v4, s39
	s_delay_alu instid0(VALU_DEP_3) | instskip(NEXT) | instid1(VALU_DEP_3)
	v_sub_nc_u32_e32 v4, v4, v9
	v_lshrrev_b32_e32 v2, s55, v2
	s_delay_alu instid0(VALU_DEP_2) | instskip(SKIP_2) | instid1(VALU_DEP_4)
	v_mul_lo_u32 v9, v4, s48
	v_mul_lo_u32 v4, v4, s49
	v_sub_nc_u32_e32 v3, v3, v7
	v_mul_lo_u32 v10, v2, s53
	s_delay_alu instid0(VALU_DEP_2) | instskip(SKIP_1) | instid1(VALU_DEP_3)
	v_mul_lo_u32 v7, v3, s46
	v_mul_lo_u32 v3, v3, s47
	v_sub_nc_u32_e32 v5, v5, v10
	s_delay_alu instid0(VALU_DEP_3) | instskip(NEXT) | instid1(VALU_DEP_2)
	v_add3_u32 v0, v6, v0, v7
	v_mul_lo_u32 v10, v5, s50
	v_mul_lo_u32 v5, v5, s51
	v_add3_u32 v1, v8, v1, v3
	s_delay_alu instid0(VALU_DEP_3) | instskip(NEXT) | instid1(VALU_DEP_2)
	v_add3_u32 v0, v9, v0, v10
	v_add3_u32 v1, v4, v1, v5
	s_cbranch_scc0 .LBB7_142
	s_branch .LBB7_168
.LBB7_143:
	s_mov_b32 s31, -1
                                        ; implicit-def: $vgpr0
                                        ; implicit-def: $vgpr1
	s_branch .LBB7_171
.LBB7_144:
	v_dual_mov_b32 v2, v11 :: v_dual_mov_b32 v1, 0
.LBB7_145:
	s_and_b32 s34, s34, 3
	s_delay_alu instid0(SALU_CYCLE_1)
	s_cmp_eq_u32 s34, 0
	s_cbranch_scc1 .LBB7_148
; %bb.146:
	s_lshl_b32 s18, s33, 3
	s_mul_i32 s20, s33, 12
	s_add_u32 s18, s18, s0
	s_addc_u32 s19, s1, 0
	s_add_u32 s18, s18, 0xc4
	s_addc_u32 s19, s19, 0
	;; [unrolled: 2-line block ×3, first 2 shown]
	.p2align	6
.LBB7_147:                              ; =>This Inner Loop Header: Depth=1
	s_clause 0x1
	s_load_b64 s[36:37], s[20:21], 0x4
	s_load_b32 s33, s[20:21], 0xc
	s_load_b64 s[38:39], s[18:19], 0x0
	s_add_u32 s20, s20, 12
	s_addc_u32 s21, s21, 0
	s_add_u32 s18, s18, 8
	s_addc_u32 s19, s19, 0
	s_add_i32 s34, s34, -1
	s_delay_alu instid0(SALU_CYCLE_1) | instskip(SKIP_2) | instid1(VALU_DEP_1)
	s_cmp_lg_u32 s34, 0
	s_waitcnt lgkmcnt(0)
	v_mul_hi_u32 v3, s37, v2
	v_add_nc_u32_e32 v3, v2, v3
	s_delay_alu instid0(VALU_DEP_1) | instskip(NEXT) | instid1(VALU_DEP_1)
	v_lshrrev_b32_e32 v6, s33, v3
	v_mul_lo_u32 v3, v6, s36
	s_delay_alu instid0(VALU_DEP_1) | instskip(NEXT) | instid1(VALU_DEP_1)
	v_sub_nc_u32_e32 v2, v2, v3
	v_mad_u64_u32 v[3:4], null, v2, s38, v[0:1]
	v_mad_u64_u32 v[4:5], null, v2, s39, v[1:2]
	v_mov_b32_e32 v2, v6
	s_delay_alu instid0(VALU_DEP_2)
	v_dual_mov_b32 v0, v3 :: v_dual_mov_b32 v1, v4
	s_cbranch_scc1 .LBB7_147
.LBB7_148:
	s_and_not1_b32 vcc_lo, exec_lo, s31
	s_cbranch_vccnz .LBB7_151
; %bb.149:
	s_waitcnt lgkmcnt(0)
	v_mul_hi_u32 v0, s13, v11
	s_and_not1_b32 vcc_lo, exec_lo, s26
	s_delay_alu instid0(VALU_DEP_1) | instskip(NEXT) | instid1(VALU_DEP_1)
	v_add_nc_u32_e32 v0, v11, v0
	v_lshrrev_b32_e32 v2, s14, v0
	s_delay_alu instid0(VALU_DEP_1) | instskip(NEXT) | instid1(VALU_DEP_1)
	v_mul_lo_u32 v0, v2, s12
	v_sub_nc_u32_e32 v1, v11, v0
	s_delay_alu instid0(VALU_DEP_1)
	v_mul_lo_u32 v0, v1, s8
	v_mul_lo_u32 v1, v1, s9
	s_cbranch_vccnz .LBB7_151
; %bb.150:
	v_mul_hi_u32 v3, s2, v2
	s_delay_alu instid0(VALU_DEP_1) | instskip(NEXT) | instid1(VALU_DEP_1)
	v_add_nc_u32_e32 v3, v2, v3
	v_lshrrev_b32_e32 v3, s3, v3
	s_delay_alu instid0(VALU_DEP_1) | instskip(NEXT) | instid1(VALU_DEP_1)
	v_mul_lo_u32 v3, v3, s15
	v_sub_nc_u32_e32 v5, v2, v3
	s_delay_alu instid0(VALU_DEP_1) | instskip(NEXT) | instid1(VALU_DEP_1)
	v_mad_u64_u32 v[2:3], null, v5, s10, v[0:1]
	v_mad_u64_u32 v[3:4], null, v5, s11, v[1:2]
	s_delay_alu instid0(VALU_DEP_1)
	v_dual_mov_b32 v0, v2 :: v_dual_mov_b32 v1, v3
.LBB7_151:
	s_waitcnt lgkmcnt(0)
	global_load_b64 v[1:2], v1, s[6:7]
                                        ; implicit-def: $vgpr5_vgpr6
	s_waitcnt vmcnt(0)
	v_cmp_ge_f64_e64 s18, 0x40200000, |v[1:2]|
	s_delay_alu instid0(VALU_DEP_1) | instskip(NEXT) | instid1(SALU_CYCLE_1)
	s_and_saveexec_b32 s19, s18
	s_xor_b32 s18, exec_lo, s19
	s_cbranch_execz .LBB7_157
; %bb.152:
	v_fma_f64 v[3:4], |v[1:2]|, 0.5, -2.0
	s_mov_b32 s20, 0xc38a0576
	s_mov_b32 s21, 0xbc7857d0
	s_mov_b32 s35, 0x3c499f2a
	s_mov_b32 s34, 0xc3c4014
	s_mov_b32 s19, exec_lo
	s_delay_alu instid0(VALU_DEP_1) | instskip(SKIP_3) | instid1(VALU_DEP_1)
	v_fma_f64 v[5:6], v[3:4], s[34:35], s[20:21]
	s_mov_b32 s35, 0xbc499f2a
	s_mov_b32 s20, 0xe593bfac
	;; [unrolled: 1-line block ×3, first 2 shown]
	v_fma_f64 v[7:8], v[3:4], v[5:6], s[34:35]
	s_delay_alu instid0(VALU_DEP_1) | instskip(SKIP_2) | instid1(VALU_DEP_1)
	v_add_f64 v[7:8], v[7:8], s[20:21]
	s_mov_b32 s20, 0x7e0d1573
	s_mov_b32 s21, 0xbcd3eaaa
	v_fma_f64 v[5:6], v[3:4], v[7:8], -v[5:6]
	s_delay_alu instid0(VALU_DEP_1) | instskip(SKIP_2) | instid1(VALU_DEP_1)
	v_add_f64 v[5:6], v[5:6], s[20:21]
	s_mov_b32 s20, 0x615290c
	s_mov_b32 s21, 0x3d011d7f
	v_fma_f64 v[7:8], v[3:4], v[5:6], -v[7:8]
	s_delay_alu instid0(VALU_DEP_1) | instskip(SKIP_2) | instid1(VALU_DEP_1)
	v_add_f64 v[7:8], v[7:8], s[20:21]
	s_mov_b32 s20, 0x1c8f0b3b
	s_mov_b32 s21, 0xbd2c628e
	v_fma_f64 v[5:6], v[3:4], v[7:8], -v[5:6]
	s_delay_alu instid0(VALU_DEP_1) | instskip(SKIP_2) | instid1(VALU_DEP_1)
	v_add_f64 v[5:6], v[5:6], s[20:21]
	s_mov_b32 s20, 0x4779d955
	s_mov_b32 s21, 0x3d56af78
	v_fma_f64 v[7:8], v[3:4], v[5:6], -v[7:8]
	s_delay_alu instid0(VALU_DEP_1) | instskip(SKIP_2) | instid1(VALU_DEP_1)
	v_add_f64 v[7:8], v[7:8], s[20:21]
	s_mov_b32 s20, 0x5fb70366
	s_mov_b32 s21, 0xbd817383
	v_fma_f64 v[5:6], v[3:4], v[7:8], -v[5:6]
	s_delay_alu instid0(VALU_DEP_1) | instskip(SKIP_2) | instid1(VALU_DEP_1)
	v_add_f64 v[5:6], v[5:6], s[20:21]
	s_mov_b32 s20, 0xb21d3154
	s_mov_b32 s21, 0x3da9cee2
	v_fma_f64 v[7:8], v[3:4], v[5:6], -v[7:8]
	s_delay_alu instid0(VALU_DEP_1) | instskip(SKIP_2) | instid1(VALU_DEP_1)
	v_add_f64 v[7:8], v[7:8], s[20:21]
	s_mov_b32 s20, 0x97eb07de
	s_mov_b32 s21, 0xbdd25103
	v_fma_f64 v[5:6], v[3:4], v[7:8], -v[5:6]
	s_delay_alu instid0(VALU_DEP_1) | instskip(SKIP_2) | instid1(VALU_DEP_1)
	v_add_f64 v[5:6], v[5:6], s[20:21]
	s_mov_b32 s20, 0xb43fdf6c
	s_mov_b32 s21, 0x3df8ea34
	v_fma_f64 v[7:8], v[3:4], v[5:6], -v[7:8]
	s_delay_alu instid0(VALU_DEP_1) | instskip(SKIP_2) | instid1(VALU_DEP_1)
	v_add_f64 v[7:8], v[7:8], s[20:21]
	s_mov_b32 s20, 0x28ea67e6
	s_mov_b32 s21, 0xbe20361b
	v_fma_f64 v[5:6], v[3:4], v[7:8], -v[5:6]
	s_delay_alu instid0(VALU_DEP_1) | instskip(SKIP_2) | instid1(VALU_DEP_1)
	v_add_f64 v[5:6], v[5:6], s[20:21]
	s_mov_b32 s20, 0x2395010
	s_mov_b32 s21, 0x3e44258e
	v_fma_f64 v[7:8], v[3:4], v[5:6], -v[7:8]
	s_delay_alu instid0(VALU_DEP_1) | instskip(SKIP_2) | instid1(VALU_DEP_1)
	v_add_f64 v[7:8], v[7:8], s[20:21]
	s_mov_b32 s20, 0x24b8c3e8
	s_mov_b32 s21, 0xbe67dd3e
	v_fma_f64 v[5:6], v[3:4], v[7:8], -v[5:6]
	s_delay_alu instid0(VALU_DEP_1) | instskip(SKIP_2) | instid1(VALU_DEP_1)
	v_add_f64 v[5:6], v[5:6], s[20:21]
	s_mov_b32 s20, 0xb347d108
	s_mov_b32 s21, 0x3e8ae344
	v_fma_f64 v[7:8], v[3:4], v[5:6], -v[7:8]
	s_delay_alu instid0(VALU_DEP_1) | instskip(SKIP_2) | instid1(VALU_DEP_1)
	v_add_f64 v[7:8], v[7:8], s[20:21]
	s_mov_b32 s20, 0x8363992a
	s_mov_b32 s21, 0xbeacc079
	v_fma_f64 v[5:6], v[3:4], v[7:8], -v[5:6]
	s_delay_alu instid0(VALU_DEP_1) | instskip(SKIP_2) | instid1(VALU_DEP_1)
	v_add_f64 v[5:6], v[5:6], s[20:21]
	s_mov_b32 s20, 0xd511afc5
	s_mov_b32 s21, 0x3ecd1c4e
	v_fma_f64 v[7:8], v[3:4], v[5:6], -v[7:8]
	s_delay_alu instid0(VALU_DEP_1) | instskip(SKIP_2) | instid1(VALU_DEP_1)
	v_add_f64 v[7:8], v[7:8], s[20:21]
	s_mov_b32 s20, 0xb8debbcf
	s_mov_b32 s21, 0xbeebd5f9
	v_fma_f64 v[5:6], v[3:4], v[7:8], -v[5:6]
	s_delay_alu instid0(VALU_DEP_1) | instskip(SKIP_2) | instid1(VALU_DEP_1)
	v_add_f64 v[5:6], v[5:6], s[20:21]
	s_mov_b32 s20, 0x42c70d0b
	s_mov_b32 s21, 0x3f0911b5
	v_fma_f64 v[7:8], v[3:4], v[5:6], -v[7:8]
	s_delay_alu instid0(VALU_DEP_1) | instskip(SKIP_2) | instid1(VALU_DEP_1)
	v_add_f64 v[7:8], v[7:8], s[20:21]
	s_mov_b32 s20, 0xd3d694fe
	s_mov_b32 s21, 0xbf2533ca
	v_fma_f64 v[5:6], v[3:4], v[7:8], -v[5:6]
	s_delay_alu instid0(VALU_DEP_1) | instskip(SKIP_2) | instid1(VALU_DEP_1)
	v_add_f64 v[5:6], v[5:6], s[20:21]
	s_mov_b32 s20, 0xb6c6df7d
	s_mov_b32 s21, 0x3f40c95d
	v_fma_f64 v[7:8], v[3:4], v[5:6], -v[7:8]
	s_delay_alu instid0(VALU_DEP_1) | instskip(SKIP_2) | instid1(VALU_DEP_1)
	v_add_f64 v[7:8], v[7:8], s[20:21]
	s_mov_b32 s20, 0xb3cd4a4
	s_mov_b32 s21, 0xbf58cc62
	v_fma_f64 v[5:6], v[3:4], v[7:8], -v[5:6]
	s_delay_alu instid0(VALU_DEP_1) | instskip(SKIP_2) | instid1(VALU_DEP_1)
	v_add_f64 v[5:6], v[5:6], s[20:21]
	s_mov_b32 s20, 0x49d3a1b4
	s_mov_b32 s21, 0x3f710653
	v_fma_f64 v[7:8], v[3:4], v[5:6], -v[7:8]
	s_delay_alu instid0(VALU_DEP_1) | instskip(SKIP_2) | instid1(VALU_DEP_1)
	v_add_f64 v[7:8], v[7:8], s[20:21]
	s_mov_b32 s20, 0x7913a26a
	s_mov_b32 s21, 0xbf85a29f
	v_fma_f64 v[5:6], v[3:4], v[7:8], -v[5:6]
	s_delay_alu instid0(VALU_DEP_1) | instskip(SKIP_2) | instid1(VALU_DEP_1)
	v_add_f64 v[5:6], v[5:6], s[20:21]
	s_mov_b32 s20, 0xe7bb2349
	s_mov_b32 s21, 0x3f9951e3
	v_fma_f64 v[7:8], v[3:4], v[5:6], -v[7:8]
	s_delay_alu instid0(VALU_DEP_1) | instskip(SKIP_2) | instid1(VALU_DEP_1)
	v_add_f64 v[7:8], v[7:8], s[20:21]
	s_mov_b32 s20, 0x537c9ebc
	s_mov_b32 s21, 0xbfab1bbc
	v_fma_f64 v[5:6], v[3:4], v[7:8], -v[5:6]
	s_delay_alu instid0(VALU_DEP_1) | instskip(SKIP_2) | instid1(VALU_DEP_1)
	v_add_f64 v[5:6], v[5:6], s[20:21]
	s_mov_b32 s20, 0xd536f53c
	s_mov_b32 s21, 0x3fba46da
	v_fma_f64 v[7:8], v[3:4], v[5:6], -v[7:8]
	s_delay_alu instid0(VALU_DEP_1) | instskip(SKIP_2) | instid1(VALU_DEP_1)
	v_add_f64 v[7:8], v[7:8], s[20:21]
	s_mov_b32 s20, 0x469192e
	s_mov_b32 s21, 0xbfc694d1
	v_fma_f64 v[5:6], v[3:4], v[7:8], -v[5:6]
	s_delay_alu instid0(VALU_DEP_1) | instskip(SKIP_2) | instid1(VALU_DEP_1)
	v_add_f64 v[5:6], v[5:6], s[20:21]
	s_mov_b32 s20, 0x724a7ffa
	s_mov_b32 s21, 0x3fd02a63
	v_fma_f64 v[3:4], v[3:4], v[5:6], -v[7:8]
                                        ; implicit-def: $vgpr5_vgpr6
	s_delay_alu instid0(VALU_DEP_1) | instskip(NEXT) | instid1(VALU_DEP_1)
	v_add_f64 v[3:4], v[3:4], s[20:21]
	v_add_f64 v[3:4], v[3:4], -v[7:8]
	v_cmpx_ngt_f64_e32 0, v[1:2]
	s_xor_b32 s19, exec_lo, s19
	s_cbranch_execz .LBB7_154
; %bb.153:
	s_mov_b32 s20, 0x652b82fe
	s_mov_b32 s21, 0x3ff71547
	;; [unrolled: 1-line block ×3, first 2 shown]
	v_mul_f64 v[5:6], |v[1:2]|, s[20:21]
	s_mov_b32 s20, 0xfefa39ef
	s_mov_b32 s21, 0xbfe62e42
	;; [unrolled: 1-line block ×3, first 2 shown]
	s_delay_alu instid0(VALU_DEP_3) | instskip(SKIP_1) | instid1(VALU_DEP_3)
	v_mul_f64 v[3:4], v[3:4], 0.5
	v_cmp_nlt_f64_e64 vcc_lo, 0x40900000, |v[1:2]|
	v_rndne_f64_e32 v[5:6], v[5:6]
	s_delay_alu instid0(VALU_DEP_1) | instskip(SKIP_4) | instid1(VALU_DEP_3)
	v_fma_f64 v[7:8], v[5:6], s[20:21], |v[1:2]|
	s_mov_b32 s20, 0x3b39803f
	s_mov_b32 s21, 0xbc7abc9e
	v_cvt_i32_f64_e32 v12, v[5:6]
	v_mul_f64 v[1:2], |v[1:2]|, v[3:4]
	v_fma_f64 v[7:8], v[5:6], s[20:21], v[7:8]
	s_mov_b32 s20, 0xfca7ab0c
	s_mov_b32 s21, 0x3e928af3
	s_delay_alu instid0(VALU_DEP_1) | instid1(SALU_CYCLE_1)
	v_fma_f64 v[9:10], v[7:8], s[34:35], s[20:21]
	s_mov_b32 s20, 0x623fde64
	s_mov_b32 s21, 0x3ec71dee
	s_delay_alu instid0(VALU_DEP_1) | instid1(SALU_CYCLE_1)
	v_fma_f64 v[9:10], v[7:8], v[9:10], s[20:21]
	s_mov_b32 s20, 0x7c89e6b0
	s_mov_b32 s21, 0x3efa0199
	s_delay_alu instid0(VALU_DEP_1) | instid1(SALU_CYCLE_1)
	v_fma_f64 v[9:10], v[7:8], v[9:10], s[20:21]
	s_mov_b32 s20, 0x14761f6e
	s_mov_b32 s21, 0x3f2a01a0
	s_delay_alu instid0(VALU_DEP_1) | instid1(SALU_CYCLE_1)
	v_fma_f64 v[9:10], v[7:8], v[9:10], s[20:21]
	s_mov_b32 s20, 0x1852b7b0
	s_mov_b32 s21, 0x3f56c16c
	s_delay_alu instid0(VALU_DEP_1) | instid1(SALU_CYCLE_1)
	v_fma_f64 v[9:10], v[7:8], v[9:10], s[20:21]
	s_mov_b32 s20, 0x11122322
	s_mov_b32 s21, 0x3f811111
	s_delay_alu instid0(VALU_DEP_1) | instid1(SALU_CYCLE_1)
	v_fma_f64 v[9:10], v[7:8], v[9:10], s[20:21]
	s_mov_b32 s20, 0x555502a1
	s_mov_b32 s21, 0x3fa55555
	s_delay_alu instid0(VALU_DEP_1) | instid1(SALU_CYCLE_1)
	v_fma_f64 v[9:10], v[7:8], v[9:10], s[20:21]
	s_mov_b32 s20, 0x55555511
	s_mov_b32 s21, 0x3fc55555
	s_delay_alu instid0(VALU_DEP_1) | instid1(SALU_CYCLE_1)
	v_fma_f64 v[9:10], v[7:8], v[9:10], s[20:21]
	s_mov_b32 s20, 11
	s_mov_b32 s21, 0x3fe00000
	s_delay_alu instid0(VALU_DEP_1) | instid1(SALU_CYCLE_1)
	v_fma_f64 v[9:10], v[7:8], v[9:10], s[20:21]
	s_delay_alu instid0(VALU_DEP_1) | instskip(NEXT) | instid1(VALU_DEP_1)
	v_fma_f64 v[9:10], v[7:8], v[9:10], 1.0
	v_fma_f64 v[5:6], v[7:8], v[9:10], 1.0
	s_delay_alu instid0(VALU_DEP_1) | instskip(NEXT) | instid1(VALU_DEP_1)
	v_ldexp_f64 v[5:6], v[5:6], v12
	v_cndmask_b32_e32 v4, 0x7ff00000, v6, vcc_lo
	s_delay_alu instid0(VALU_DEP_2) | instskip(NEXT) | instid1(VALU_DEP_1)
	v_cndmask_b32_e32 v3, 0, v5, vcc_lo
	v_mul_f64 v[5:6], v[3:4], v[1:2]
                                        ; implicit-def: $vgpr1_vgpr2
                                        ; implicit-def: $vgpr3_vgpr4
.LBB7_154:
	s_and_not1_saveexec_b32 s19, s19
	s_cbranch_execz .LBB7_156
; %bb.155:
	s_mov_b32 s20, 0x652b82fe
	s_mov_b32 s21, 0x3ff71547
	;; [unrolled: 1-line block ×3, first 2 shown]
	v_mul_f64 v[5:6], |v[1:2]|, s[20:21]
	s_mov_b32 s20, 0xfefa39ef
	s_mov_b32 s21, 0xbfe62e42
	;; [unrolled: 1-line block ×3, first 2 shown]
	s_delay_alu instid0(VALU_DEP_3) | instskip(SKIP_1) | instid1(VALU_DEP_3)
	v_mul_f64 v[3:4], v[3:4], -0.5
	v_cmp_nlt_f64_e64 vcc_lo, 0x40900000, |v[1:2]|
	v_rndne_f64_e32 v[5:6], v[5:6]
	s_delay_alu instid0(VALU_DEP_1) | instskip(SKIP_4) | instid1(VALU_DEP_3)
	v_fma_f64 v[7:8], v[5:6], s[20:21], |v[1:2]|
	s_mov_b32 s20, 0x3b39803f
	s_mov_b32 s21, 0xbc7abc9e
	v_cvt_i32_f64_e32 v12, v[5:6]
	v_mul_f64 v[1:2], |v[1:2]|, v[3:4]
	v_fma_f64 v[7:8], v[5:6], s[20:21], v[7:8]
	s_mov_b32 s20, 0xfca7ab0c
	s_mov_b32 s21, 0x3e928af3
	s_delay_alu instid0(VALU_DEP_1) | instid1(SALU_CYCLE_1)
	v_fma_f64 v[9:10], v[7:8], s[34:35], s[20:21]
	s_mov_b32 s20, 0x623fde64
	s_mov_b32 s21, 0x3ec71dee
	s_delay_alu instid0(VALU_DEP_1) | instid1(SALU_CYCLE_1)
	;; [unrolled: 4-line block ×9, first 2 shown]
	v_fma_f64 v[9:10], v[7:8], v[9:10], s[20:21]
	s_delay_alu instid0(VALU_DEP_1) | instskip(NEXT) | instid1(VALU_DEP_1)
	v_fma_f64 v[9:10], v[7:8], v[9:10], 1.0
	v_fma_f64 v[5:6], v[7:8], v[9:10], 1.0
	s_delay_alu instid0(VALU_DEP_1) | instskip(NEXT) | instid1(VALU_DEP_1)
	v_ldexp_f64 v[5:6], v[5:6], v12
	v_cndmask_b32_e32 v4, 0x7ff00000, v6, vcc_lo
	s_delay_alu instid0(VALU_DEP_2) | instskip(NEXT) | instid1(VALU_DEP_1)
	v_cndmask_b32_e32 v3, 0, v5, vcc_lo
	v_mul_f64 v[5:6], v[3:4], v[1:2]
.LBB7_156:
	s_or_b32 exec_lo, exec_lo, s19
                                        ; implicit-def: $vgpr1_vgpr2
.LBB7_157:
	s_and_not1_saveexec_b32 s18, s18
	s_cbranch_execz .LBB7_163
; %bb.158:
	v_dual_mov_b32 v3, v1 :: v_dual_and_b32 v4, 0x7fffffff, v2
	s_mov_b32 s20, 0xea87b950
	s_mov_b32 s21, 0x3c545b8a
	;; [unrolled: 1-line block ×4, first 2 shown]
	v_div_scale_f64 v[5:6], null, v[3:4], v[3:4], 0x40400000
	v_div_scale_f64 v[3:4], vcc_lo, 0x40400000, v[3:4], 0x40400000
	s_mov_b32 s36, 0x94bb46c1
	s_mov_b32 s37, 0xbe5c4153
	s_mov_b32 s19, exec_lo
	s_delay_alu instid0(VALU_DEP_2) | instskip(SKIP_2) | instid1(VALU_DEP_1)
	v_rcp_f64_e32 v[7:8], v[5:6]
	s_waitcnt_depctr 0xfff
	v_fma_f64 v[9:10], -v[5:6], v[7:8], 1.0
	v_fma_f64 v[7:8], v[7:8], v[9:10], v[7:8]
	s_delay_alu instid0(VALU_DEP_1) | instskip(NEXT) | instid1(VALU_DEP_1)
	v_fma_f64 v[9:10], -v[5:6], v[7:8], 1.0
	v_fma_f64 v[7:8], v[7:8], v[9:10], v[7:8]
	s_delay_alu instid0(VALU_DEP_1) | instskip(NEXT) | instid1(VALU_DEP_1)
	v_mul_f64 v[9:10], v[3:4], v[7:8]
	v_fma_f64 v[3:4], -v[5:6], v[9:10], v[3:4]
	s_delay_alu instid0(VALU_DEP_1) | instskip(NEXT) | instid1(VALU_DEP_1)
	v_div_fmas_f64 v[3:4], v[3:4], v[7:8], v[9:10]
	v_div_fixup_f64 v[3:4], v[3:4], |v[1:2]|, 0x40400000
	s_delay_alu instid0(VALU_DEP_1) | instskip(NEXT) | instid1(VALU_DEP_1)
	v_add_f64 v[5:6], v[3:4], -2.0
	v_fma_f64 v[3:4], v[5:6], s[34:35], s[20:21]
	s_mov_b32 s35, 0xbc61556d
	s_mov_b32 s20, 0xb2532277
	;; [unrolled: 1-line block ×3, first 2 shown]
	s_delay_alu instid0(VALU_DEP_1) | instskip(SKIP_2) | instid1(VALU_DEP_1)
	v_fma_f64 v[7:8], v[5:6], v[3:4], s[34:35]
	s_mov_b32 s34, 0x5423dd80
	s_mov_b32 s35, 0xbe0334ca
	v_add_f64 v[7:8], v[7:8], s[20:21]
	s_mov_b32 s20, 0x9c773320
	s_mov_b32 s21, 0xbc82806c
	s_delay_alu instid0(VALU_DEP_1) | instskip(NEXT) | instid1(VALU_DEP_1)
	v_fma_f64 v[3:4], v[5:6], v[7:8], -v[3:4]
	v_add_f64 v[3:4], v[3:4], s[20:21]
	s_mov_b32 s20, 0xfceb588a
	s_mov_b32 s21, 0x3cb55915
	s_delay_alu instid0(VALU_DEP_1) | instskip(NEXT) | instid1(VALU_DEP_1)
	v_fma_f64 v[7:8], v[5:6], v[3:4], -v[7:8]
	;; [unrolled: 5-line block ×14, first 2 shown]
	v_add_f64 v[7:8], v[7:8], s[20:21]
	s_mov_b32 s20, 0x652b82fe
	s_mov_b32 s21, 0x3ff71547
	s_delay_alu instid0(SALU_CYCLE_1) | instskip(SKIP_2) | instid1(VALU_DEP_2)
	v_mul_f64 v[9:10], |v[1:2]|, s[20:21]
	s_mov_b32 s20, 0xfefa39ef
	s_mov_b32 s21, 0xbfe62e42
	v_fma_f64 v[3:4], v[5:6], v[7:8], -v[3:4]
	s_delay_alu instid0(VALU_DEP_2) | instskip(NEXT) | instid1(VALU_DEP_2)
	v_rndne_f64_e32 v[12:13], v[9:10]
	v_add_f64 v[3:4], v[3:4], s[34:35]
	s_mov_b32 s34, 0x9ad53528
	s_mov_b32 s35, 0xbe30790b
	s_delay_alu instid0(VALU_DEP_2) | instskip(SKIP_2) | instid1(VALU_DEP_2)
	v_fma_f64 v[9:10], v[12:13], s[20:21], |v[1:2]|
	s_mov_b32 s20, 0x3b39803f
	s_mov_b32 s21, 0xbc7abc9e
	v_fma_f64 v[7:8], v[5:6], v[3:4], -v[7:8]
	s_delay_alu instid0(VALU_DEP_2) | instskip(SKIP_3) | instid1(VALU_DEP_3)
	v_fma_f64 v[9:10], v[12:13], s[20:21], v[9:10]
	s_mov_b32 s20, 0xfca7ab0c
	s_mov_b32 s21, 0x3e928af3
	v_cvt_i32_f64_e32 v12, v[12:13]
	v_add_f64 v[7:8], v[7:8], s[34:35]
	s_mov_b32 s34, 0x6a5dcb37
	s_mov_b32 s35, 0x3e5ade15
	s_delay_alu instid0(VALU_DEP_3) | instid1(SALU_CYCLE_1)
	v_fma_f64 v[14:15], v[9:10], s[34:35], s[20:21]
	s_mov_b32 s20, 0x623fde64
	s_mov_b32 s21, 0x3ec71dee
	s_mov_b32 s34, 0x2e9e5443
	s_mov_b32 s35, 0xbe90dbfd
	s_delay_alu instid0(VALU_DEP_2) | instskip(NEXT) | instid1(VALU_DEP_2)
	v_fma_f64 v[3:4], v[5:6], v[7:8], -v[3:4]
	v_fma_f64 v[14:15], v[9:10], v[14:15], s[20:21]
	s_mov_b32 s20, 0x7c89e6b0
	s_mov_b32 s21, 0x3efa0199
	s_delay_alu instid0(VALU_DEP_2) | instskip(NEXT) | instid1(VALU_DEP_2)
	v_add_f64 v[3:4], v[3:4], s[36:37]
	v_fma_f64 v[14:15], v[9:10], v[14:15], s[20:21]
	s_mov_b32 s20, 0x14761f6e
	s_mov_b32 s21, 0x3f2a01a0
	s_delay_alu instid0(VALU_DEP_2) | instskip(NEXT) | instid1(VALU_DEP_2)
	v_fma_f64 v[7:8], v[5:6], v[3:4], -v[7:8]
	v_fma_f64 v[14:15], v[9:10], v[14:15], s[20:21]
	s_mov_b32 s20, 0x1852b7b0
	s_mov_b32 s21, 0x3f56c16c
	s_delay_alu instid0(VALU_DEP_2) | instskip(SKIP_2) | instid1(VALU_DEP_2)
	v_add_f64 v[7:8], v[7:8], s[34:35]
	s_mov_b32 s34, 0x49ca0373
	s_mov_b32 s35, 0xbed048df
	v_fma_f64 v[14:15], v[9:10], v[14:15], s[20:21]
	s_mov_b32 s20, 0x11122322
	s_mov_b32 s21, 0x3f811111
	s_delay_alu instid0(VALU_DEP_2) | instskip(NEXT) | instid1(VALU_DEP_1)
	v_fma_f64 v[3:4], v[5:6], v[7:8], -v[3:4]
	v_add_f64 v[16:17], v[3:4], s[34:35]
	s_delay_alu instid0(VALU_DEP_3) | instskip(SKIP_4) | instid1(VALU_DEP_2)
	v_fma_f64 v[3:4], v[9:10], v[14:15], s[20:21]
	s_mov_b32 s20, 0x555502a1
	s_mov_b32 s34, 0x804aa9a6
	;; [unrolled: 1-line block ×4, first 2 shown]
	v_fma_f64 v[7:8], v[5:6], v[16:17], -v[7:8]
	s_delay_alu instid0(VALU_DEP_2) | instskip(SKIP_2) | instid1(VALU_DEP_2)
	v_fma_f64 v[14:15], v[9:10], v[3:4], s[20:21]
	s_mov_b32 s20, 0x55555511
	s_mov_b32 s21, 0x3fc55555
	v_add_f64 v[3:4], v[7:8], s[34:35]
	s_delay_alu instid0(VALU_DEP_2) | instskip(SKIP_4) | instid1(VALU_DEP_2)
	v_fma_f64 v[7:8], v[9:10], v[14:15], s[20:21]
	s_mov_b32 s20, 11
	s_mov_b32 s34, 0x53fcdb4c
	;; [unrolled: 1-line block ×4, first 2 shown]
	v_fma_f64 v[14:15], v[5:6], v[3:4], -v[16:17]
	s_delay_alu instid0(VALU_DEP_2) | instskip(SKIP_2) | instid1(VALU_DEP_2)
	v_fma_f64 v[7:8], v[9:10], v[7:8], s[20:21]
	s_mov_b32 s20, 0xb55b1514
	s_mov_b32 s21, 0x3fe8ea18
	v_add_f64 v[14:15], v[14:15], s[34:35]
	s_delay_alu instid0(VALU_DEP_2) | instskip(NEXT) | instid1(VALU_DEP_2)
	v_fma_f64 v[7:8], v[9:10], v[7:8], 1.0
	v_fma_f64 v[5:6], v[5:6], v[14:15], -v[3:4]
	s_delay_alu instid0(VALU_DEP_2) | instskip(NEXT) | instid1(VALU_DEP_2)
	v_fma_f64 v[7:8], v[9:10], v[7:8], 1.0
	v_add_f64 v[9:10], v[5:6], s[20:21]
                                        ; implicit-def: $vgpr5_vgpr6
	v_cmpx_ngt_f64_e32 0, v[1:2]
	s_xor_b32 s19, exec_lo, s19
	s_cbranch_execz .LBB7_160
; %bb.159:
	v_cmp_gt_f64_e64 s20, 0x10000000, |v[1:2]|
	s_delay_alu instid0(VALU_DEP_4) | instskip(SKIP_2) | instid1(VALU_DEP_4)
	v_ldexp_f64 v[7:8], v[7:8], v12
	v_cmp_nlt_f64_e64 vcc_lo, 0x40900000, |v[1:2]|
	v_add_f64 v[3:4], v[9:10], -v[3:4]
	v_cndmask_b32_e64 v5, 0, 1, s20
	v_cndmask_b32_e64 v9, 0, 0xffffff80, s20
	v_cndmask_b32_e32 v8, 0x7ff00000, v8, vcc_lo
	s_delay_alu instid0(VALU_DEP_4) | instskip(NEXT) | instid1(VALU_DEP_4)
	v_mul_f64 v[3:4], v[3:4], 0.5
	v_lshlrev_b32_e32 v5, 8, v5
	s_delay_alu instid0(VALU_DEP_1) | instskip(NEXT) | instid1(VALU_DEP_1)
	v_ldexp_f64 v[5:6], |v[1:2]|, v5
	v_rsq_f64_e32 v[13:14], v[5:6]
	s_waitcnt_depctr 0xfff
	v_mul_f64 v[15:16], v[5:6], v[13:14]
	v_mul_f64 v[13:14], v[13:14], 0.5
	s_delay_alu instid0(VALU_DEP_1) | instskip(NEXT) | instid1(VALU_DEP_1)
	v_fma_f64 v[17:18], -v[13:14], v[15:16], 0.5
	v_fma_f64 v[15:16], v[15:16], v[17:18], v[15:16]
	v_fma_f64 v[13:14], v[13:14], v[17:18], v[13:14]
	s_delay_alu instid0(VALU_DEP_2) | instskip(NEXT) | instid1(VALU_DEP_1)
	v_fma_f64 v[17:18], -v[15:16], v[15:16], v[5:6]
	v_fma_f64 v[15:16], v[17:18], v[13:14], v[15:16]
	s_delay_alu instid0(VALU_DEP_1) | instskip(NEXT) | instid1(VALU_DEP_1)
	v_fma_f64 v[17:18], -v[15:16], v[15:16], v[5:6]
	v_fma_f64 v[1:2], v[17:18], v[13:14], v[15:16]
	s_delay_alu instid0(VALU_DEP_1) | instskip(SKIP_2) | instid1(VALU_DEP_3)
	v_ldexp_f64 v[1:2], v[1:2], v9
	v_cndmask_b32_e32 v7, 0, v7, vcc_lo
	v_cmp_class_f64_e64 vcc_lo, v[5:6], 0x260
	v_cndmask_b32_e32 v2, v2, v6, vcc_lo
	s_delay_alu instid0(VALU_DEP_3) | instskip(SKIP_1) | instid1(VALU_DEP_1)
	v_mul_f64 v[3:4], v[7:8], v[3:4]
	v_cndmask_b32_e32 v1, v1, v5, vcc_lo
	v_div_scale_f64 v[5:6], null, v[1:2], v[1:2], v[3:4]
	s_delay_alu instid0(VALU_DEP_1) | instskip(SKIP_2) | instid1(VALU_DEP_1)
	v_rcp_f64_e32 v[7:8], v[5:6]
	s_waitcnt_depctr 0xfff
	v_fma_f64 v[9:10], -v[5:6], v[7:8], 1.0
	v_fma_f64 v[7:8], v[7:8], v[9:10], v[7:8]
	s_delay_alu instid0(VALU_DEP_1) | instskip(NEXT) | instid1(VALU_DEP_1)
	v_fma_f64 v[9:10], -v[5:6], v[7:8], 1.0
	v_fma_f64 v[7:8], v[7:8], v[9:10], v[7:8]
	v_div_scale_f64 v[9:10], vcc_lo, v[3:4], v[1:2], v[3:4]
	s_delay_alu instid0(VALU_DEP_1) | instskip(NEXT) | instid1(VALU_DEP_1)
	v_mul_f64 v[12:13], v[9:10], v[7:8]
	v_fma_f64 v[5:6], -v[5:6], v[12:13], v[9:10]
                                        ; implicit-def: $vgpr9_vgpr10
	s_delay_alu instid0(VALU_DEP_1) | instskip(NEXT) | instid1(VALU_DEP_1)
	v_div_fmas_f64 v[5:6], v[5:6], v[7:8], v[12:13]
                                        ; implicit-def: $vgpr7_vgpr8
                                        ; implicit-def: $vgpr12
	v_div_fixup_f64 v[5:6], v[5:6], v[1:2], v[3:4]
                                        ; implicit-def: $vgpr3_vgpr4
                                        ; implicit-def: $vgpr1_vgpr2
.LBB7_160:
	s_and_not1_saveexec_b32 s19, s19
	s_cbranch_execz .LBB7_162
; %bb.161:
	v_cmp_gt_f64_e64 s20, 0x10000000, |v[1:2]|
	s_delay_alu instid0(VALU_DEP_4) | instskip(SKIP_2) | instid1(VALU_DEP_4)
	v_ldexp_f64 v[7:8], -v[7:8], v12
	v_cmp_nlt_f64_e64 vcc_lo, 0x40900000, |v[1:2]|
	v_add_f64 v[3:4], v[9:10], -v[3:4]
	v_cndmask_b32_e64 v5, 0, 1, s20
	v_cndmask_b32_e64 v9, 0, 0xffffff80, s20
	v_cndmask_b32_e32 v8, 0xfff00000, v8, vcc_lo
	s_delay_alu instid0(VALU_DEP_4) | instskip(NEXT) | instid1(VALU_DEP_4)
	v_mul_f64 v[3:4], v[3:4], 0.5
	v_lshlrev_b32_e32 v5, 8, v5
	s_delay_alu instid0(VALU_DEP_1) | instskip(NEXT) | instid1(VALU_DEP_1)
	v_ldexp_f64 v[5:6], |v[1:2]|, v5
	v_rsq_f64_e32 v[13:14], v[5:6]
	s_waitcnt_depctr 0xfff
	v_mul_f64 v[15:16], v[5:6], v[13:14]
	v_mul_f64 v[13:14], v[13:14], 0.5
	s_delay_alu instid0(VALU_DEP_1) | instskip(NEXT) | instid1(VALU_DEP_1)
	v_fma_f64 v[17:18], -v[13:14], v[15:16], 0.5
	v_fma_f64 v[15:16], v[15:16], v[17:18], v[15:16]
	v_fma_f64 v[13:14], v[13:14], v[17:18], v[13:14]
	s_delay_alu instid0(VALU_DEP_2) | instskip(NEXT) | instid1(VALU_DEP_1)
	v_fma_f64 v[17:18], -v[15:16], v[15:16], v[5:6]
	v_fma_f64 v[15:16], v[17:18], v[13:14], v[15:16]
	s_delay_alu instid0(VALU_DEP_1) | instskip(NEXT) | instid1(VALU_DEP_1)
	v_fma_f64 v[17:18], -v[15:16], v[15:16], v[5:6]
	v_fma_f64 v[1:2], v[17:18], v[13:14], v[15:16]
	s_delay_alu instid0(VALU_DEP_1) | instskip(SKIP_2) | instid1(VALU_DEP_3)
	v_ldexp_f64 v[1:2], v[1:2], v9
	v_cndmask_b32_e32 v7, 0, v7, vcc_lo
	v_cmp_class_f64_e64 vcc_lo, v[5:6], 0x260
	v_cndmask_b32_e32 v2, v2, v6, vcc_lo
	s_delay_alu instid0(VALU_DEP_3) | instskip(SKIP_1) | instid1(VALU_DEP_1)
	v_mul_f64 v[3:4], v[7:8], v[3:4]
	v_cndmask_b32_e32 v1, v1, v5, vcc_lo
	v_div_scale_f64 v[5:6], null, v[1:2], v[1:2], v[3:4]
	s_delay_alu instid0(VALU_DEP_1) | instskip(SKIP_2) | instid1(VALU_DEP_1)
	v_rcp_f64_e32 v[7:8], v[5:6]
	s_waitcnt_depctr 0xfff
	v_fma_f64 v[9:10], -v[5:6], v[7:8], 1.0
	v_fma_f64 v[7:8], v[7:8], v[9:10], v[7:8]
	s_delay_alu instid0(VALU_DEP_1) | instskip(NEXT) | instid1(VALU_DEP_1)
	v_fma_f64 v[9:10], -v[5:6], v[7:8], 1.0
	v_fma_f64 v[7:8], v[7:8], v[9:10], v[7:8]
	v_div_scale_f64 v[9:10], vcc_lo, v[3:4], v[1:2], v[3:4]
	s_delay_alu instid0(VALU_DEP_1) | instskip(NEXT) | instid1(VALU_DEP_1)
	v_mul_f64 v[12:13], v[9:10], v[7:8]
	v_fma_f64 v[5:6], -v[5:6], v[12:13], v[9:10]
	s_delay_alu instid0(VALU_DEP_1) | instskip(NEXT) | instid1(VALU_DEP_1)
	v_div_fmas_f64 v[5:6], v[5:6], v[7:8], v[12:13]
	v_div_fixup_f64 v[5:6], v[5:6], v[1:2], v[3:4]
.LBB7_162:
	s_or_b32 exec_lo, exec_lo, s19
.LBB7_163:
	s_delay_alu instid0(SALU_CYCLE_1) | instskip(SKIP_3) | instid1(SALU_CYCLE_1)
	s_or_b32 exec_lo, exec_lo, s18
	v_add_nc_u32_e32 v11, 0x80, v11
	global_store_b64 v0, v[5:6], s[4:5]
	s_or_b32 exec_lo, exec_lo, s30
	s_mov_b32 s30, exec_lo
	v_cmpx_gt_i32_e64 s27, v11
	s_cbranch_execnz .LBB7_138
.LBB7_164:
	s_or_b32 exec_lo, exec_lo, s30
	s_delay_alu instid0(SALU_CYCLE_1)
	s_mov_b32 s20, exec_lo
	v_cmpx_gt_i32_e64 s27, v11
	s_cbranch_execnz .LBB7_187
.LBB7_165:
	s_or_b32 exec_lo, exec_lo, s20
                                        ; implicit-def: $vgpr6
                                        ; implicit-def: $vgpr11
	s_waitcnt lgkmcnt(0)
	s_and_not1_saveexec_b32 s2, s25
	s_cbranch_execnz .LBB7_8
.LBB7_166:
	s_nop 0
	s_sendmsg sendmsg(MSG_DEALLOC_VGPRS)
	s_endpgm
.LBB7_167:
	v_dual_mov_b32 v2, v11 :: v_dual_mov_b32 v1, 0
.LBB7_168:
	s_and_b32 s34, s34, 3
	s_delay_alu instid0(SALU_CYCLE_1)
	s_cmp_eq_u32 s34, 0
	s_cbranch_scc1 .LBB7_171
; %bb.169:
	s_lshl_b32 s18, s33, 3
	s_mul_i32 s20, s33, 12
	s_add_u32 s18, s18, s0
	s_addc_u32 s19, s1, 0
	s_add_u32 s18, s18, 0xc4
	s_addc_u32 s19, s19, 0
	;; [unrolled: 2-line block ×3, first 2 shown]
	.p2align	6
.LBB7_170:                              ; =>This Inner Loop Header: Depth=1
	s_clause 0x1
	s_load_b64 s[36:37], s[20:21], 0x4
	s_load_b32 s33, s[20:21], 0xc
	s_load_b64 s[38:39], s[18:19], 0x0
	s_add_u32 s20, s20, 12
	s_addc_u32 s21, s21, 0
	s_add_u32 s18, s18, 8
	s_addc_u32 s19, s19, 0
	s_add_i32 s34, s34, -1
	s_delay_alu instid0(SALU_CYCLE_1) | instskip(SKIP_2) | instid1(VALU_DEP_1)
	s_cmp_lg_u32 s34, 0
	s_waitcnt lgkmcnt(0)
	v_mul_hi_u32 v3, s37, v2
	v_add_nc_u32_e32 v3, v2, v3
	s_delay_alu instid0(VALU_DEP_1) | instskip(NEXT) | instid1(VALU_DEP_1)
	v_lshrrev_b32_e32 v6, s33, v3
	v_mul_lo_u32 v3, v6, s36
	s_delay_alu instid0(VALU_DEP_1) | instskip(NEXT) | instid1(VALU_DEP_1)
	v_sub_nc_u32_e32 v2, v2, v3
	v_mad_u64_u32 v[3:4], null, v2, s38, v[0:1]
	v_mad_u64_u32 v[4:5], null, v2, s39, v[1:2]
	v_mov_b32_e32 v2, v6
	s_delay_alu instid0(VALU_DEP_2)
	v_dual_mov_b32 v0, v3 :: v_dual_mov_b32 v1, v4
	s_cbranch_scc1 .LBB7_170
.LBB7_171:
	s_and_not1_b32 vcc_lo, exec_lo, s31
	s_cbranch_vccnz .LBB7_174
; %bb.172:
	s_waitcnt lgkmcnt(0)
	v_mul_hi_u32 v0, s13, v11
	s_and_not1_b32 vcc_lo, exec_lo, s26
	s_delay_alu instid0(VALU_DEP_1) | instskip(NEXT) | instid1(VALU_DEP_1)
	v_add_nc_u32_e32 v0, v11, v0
	v_lshrrev_b32_e32 v2, s14, v0
	s_delay_alu instid0(VALU_DEP_1) | instskip(NEXT) | instid1(VALU_DEP_1)
	v_mul_lo_u32 v0, v2, s12
	v_sub_nc_u32_e32 v1, v11, v0
	s_delay_alu instid0(VALU_DEP_1)
	v_mul_lo_u32 v0, v1, s8
	v_mul_lo_u32 v1, v1, s9
	s_cbranch_vccnz .LBB7_174
; %bb.173:
	v_mul_hi_u32 v3, s2, v2
	s_delay_alu instid0(VALU_DEP_1) | instskip(NEXT) | instid1(VALU_DEP_1)
	v_add_nc_u32_e32 v3, v2, v3
	v_lshrrev_b32_e32 v3, s3, v3
	s_delay_alu instid0(VALU_DEP_1) | instskip(NEXT) | instid1(VALU_DEP_1)
	v_mul_lo_u32 v3, v3, s15
	v_sub_nc_u32_e32 v5, v2, v3
	s_delay_alu instid0(VALU_DEP_1) | instskip(NEXT) | instid1(VALU_DEP_1)
	v_mad_u64_u32 v[2:3], null, v5, s10, v[0:1]
	v_mad_u64_u32 v[3:4], null, v5, s11, v[1:2]
	s_delay_alu instid0(VALU_DEP_1)
	v_dual_mov_b32 v0, v2 :: v_dual_mov_b32 v1, v3
.LBB7_174:
	s_waitcnt lgkmcnt(0)
	global_load_b64 v[1:2], v1, s[6:7]
                                        ; implicit-def: $vgpr5_vgpr6
	s_waitcnt vmcnt(0)
	v_cmp_ge_f64_e64 s18, 0x40200000, |v[1:2]|
	s_delay_alu instid0(VALU_DEP_1) | instskip(NEXT) | instid1(SALU_CYCLE_1)
	s_and_saveexec_b32 s19, s18
	s_xor_b32 s18, exec_lo, s19
	s_cbranch_execz .LBB7_180
; %bb.175:
	v_fma_f64 v[3:4], |v[1:2]|, 0.5, -2.0
	s_mov_b32 s20, 0xc38a0576
	s_mov_b32 s21, 0xbc7857d0
	;; [unrolled: 1-line block ×4, first 2 shown]
	s_mov_b32 s19, exec_lo
	s_delay_alu instid0(VALU_DEP_1) | instskip(SKIP_3) | instid1(VALU_DEP_1)
	v_fma_f64 v[5:6], v[3:4], s[34:35], s[20:21]
	s_mov_b32 s35, 0xbc499f2a
	s_mov_b32 s20, 0xe593bfac
	;; [unrolled: 1-line block ×3, first 2 shown]
	v_fma_f64 v[7:8], v[3:4], v[5:6], s[34:35]
	s_delay_alu instid0(VALU_DEP_1) | instskip(SKIP_2) | instid1(VALU_DEP_1)
	v_add_f64 v[7:8], v[7:8], s[20:21]
	s_mov_b32 s20, 0x7e0d1573
	s_mov_b32 s21, 0xbcd3eaaa
	v_fma_f64 v[5:6], v[3:4], v[7:8], -v[5:6]
	s_delay_alu instid0(VALU_DEP_1) | instskip(SKIP_2) | instid1(VALU_DEP_1)
	v_add_f64 v[5:6], v[5:6], s[20:21]
	s_mov_b32 s20, 0x615290c
	s_mov_b32 s21, 0x3d011d7f
	v_fma_f64 v[7:8], v[3:4], v[5:6], -v[7:8]
	;; [unrolled: 5-line block ×26, first 2 shown]
                                        ; implicit-def: $vgpr5_vgpr6
	s_delay_alu instid0(VALU_DEP_1) | instskip(NEXT) | instid1(VALU_DEP_1)
	v_add_f64 v[3:4], v[3:4], s[20:21]
	v_add_f64 v[3:4], v[3:4], -v[7:8]
	v_cmpx_ngt_f64_e32 0, v[1:2]
	s_xor_b32 s19, exec_lo, s19
	s_cbranch_execz .LBB7_177
; %bb.176:
	s_mov_b32 s20, 0x652b82fe
	s_mov_b32 s21, 0x3ff71547
	;; [unrolled: 1-line block ×3, first 2 shown]
	v_mul_f64 v[5:6], |v[1:2]|, s[20:21]
	s_mov_b32 s20, 0xfefa39ef
	s_mov_b32 s21, 0xbfe62e42
	;; [unrolled: 1-line block ×3, first 2 shown]
	s_delay_alu instid0(VALU_DEP_3) | instskip(SKIP_1) | instid1(VALU_DEP_3)
	v_mul_f64 v[3:4], v[3:4], 0.5
	v_cmp_nlt_f64_e64 vcc_lo, 0x40900000, |v[1:2]|
	v_rndne_f64_e32 v[5:6], v[5:6]
	s_delay_alu instid0(VALU_DEP_1) | instskip(SKIP_4) | instid1(VALU_DEP_3)
	v_fma_f64 v[7:8], v[5:6], s[20:21], |v[1:2]|
	s_mov_b32 s20, 0x3b39803f
	s_mov_b32 s21, 0xbc7abc9e
	v_cvt_i32_f64_e32 v12, v[5:6]
	v_mul_f64 v[1:2], |v[1:2]|, v[3:4]
	v_fma_f64 v[7:8], v[5:6], s[20:21], v[7:8]
	s_mov_b32 s20, 0xfca7ab0c
	s_mov_b32 s21, 0x3e928af3
	s_delay_alu instid0(VALU_DEP_1) | instid1(SALU_CYCLE_1)
	v_fma_f64 v[9:10], v[7:8], s[34:35], s[20:21]
	s_mov_b32 s20, 0x623fde64
	s_mov_b32 s21, 0x3ec71dee
	s_delay_alu instid0(VALU_DEP_1) | instid1(SALU_CYCLE_1)
	;; [unrolled: 4-line block ×9, first 2 shown]
	v_fma_f64 v[9:10], v[7:8], v[9:10], s[20:21]
	s_delay_alu instid0(VALU_DEP_1) | instskip(NEXT) | instid1(VALU_DEP_1)
	v_fma_f64 v[9:10], v[7:8], v[9:10], 1.0
	v_fma_f64 v[5:6], v[7:8], v[9:10], 1.0
	s_delay_alu instid0(VALU_DEP_1) | instskip(NEXT) | instid1(VALU_DEP_1)
	v_ldexp_f64 v[5:6], v[5:6], v12
	v_cndmask_b32_e32 v4, 0x7ff00000, v6, vcc_lo
	s_delay_alu instid0(VALU_DEP_2) | instskip(NEXT) | instid1(VALU_DEP_1)
	v_cndmask_b32_e32 v3, 0, v5, vcc_lo
	v_mul_f64 v[5:6], v[3:4], v[1:2]
                                        ; implicit-def: $vgpr1_vgpr2
                                        ; implicit-def: $vgpr3_vgpr4
.LBB7_177:
	s_and_not1_saveexec_b32 s19, s19
	s_cbranch_execz .LBB7_179
; %bb.178:
	s_mov_b32 s20, 0x652b82fe
	s_mov_b32 s21, 0x3ff71547
	;; [unrolled: 1-line block ×3, first 2 shown]
	v_mul_f64 v[5:6], |v[1:2]|, s[20:21]
	s_mov_b32 s20, 0xfefa39ef
	s_mov_b32 s21, 0xbfe62e42
	;; [unrolled: 1-line block ×3, first 2 shown]
	s_delay_alu instid0(VALU_DEP_3) | instskip(SKIP_1) | instid1(VALU_DEP_3)
	v_mul_f64 v[3:4], v[3:4], -0.5
	v_cmp_nlt_f64_e64 vcc_lo, 0x40900000, |v[1:2]|
	v_rndne_f64_e32 v[5:6], v[5:6]
	s_delay_alu instid0(VALU_DEP_1) | instskip(SKIP_4) | instid1(VALU_DEP_3)
	v_fma_f64 v[7:8], v[5:6], s[20:21], |v[1:2]|
	s_mov_b32 s20, 0x3b39803f
	s_mov_b32 s21, 0xbc7abc9e
	v_cvt_i32_f64_e32 v12, v[5:6]
	v_mul_f64 v[1:2], |v[1:2]|, v[3:4]
	v_fma_f64 v[7:8], v[5:6], s[20:21], v[7:8]
	s_mov_b32 s20, 0xfca7ab0c
	s_mov_b32 s21, 0x3e928af3
	s_delay_alu instid0(VALU_DEP_1) | instid1(SALU_CYCLE_1)
	v_fma_f64 v[9:10], v[7:8], s[34:35], s[20:21]
	s_mov_b32 s20, 0x623fde64
	s_mov_b32 s21, 0x3ec71dee
	s_delay_alu instid0(VALU_DEP_1) | instid1(SALU_CYCLE_1)
	;; [unrolled: 4-line block ×9, first 2 shown]
	v_fma_f64 v[9:10], v[7:8], v[9:10], s[20:21]
	s_delay_alu instid0(VALU_DEP_1) | instskip(NEXT) | instid1(VALU_DEP_1)
	v_fma_f64 v[9:10], v[7:8], v[9:10], 1.0
	v_fma_f64 v[5:6], v[7:8], v[9:10], 1.0
	s_delay_alu instid0(VALU_DEP_1) | instskip(NEXT) | instid1(VALU_DEP_1)
	v_ldexp_f64 v[5:6], v[5:6], v12
	v_cndmask_b32_e32 v4, 0x7ff00000, v6, vcc_lo
	s_delay_alu instid0(VALU_DEP_2) | instskip(NEXT) | instid1(VALU_DEP_1)
	v_cndmask_b32_e32 v3, 0, v5, vcc_lo
	v_mul_f64 v[5:6], v[3:4], v[1:2]
.LBB7_179:
	s_or_b32 exec_lo, exec_lo, s19
                                        ; implicit-def: $vgpr1_vgpr2
.LBB7_180:
	s_and_not1_saveexec_b32 s18, s18
	s_cbranch_execz .LBB7_186
; %bb.181:
	v_dual_mov_b32 v3, v1 :: v_dual_and_b32 v4, 0x7fffffff, v2
	s_mov_b32 s20, 0xea87b950
	s_mov_b32 s21, 0x3c545b8a
	;; [unrolled: 1-line block ×4, first 2 shown]
	v_div_scale_f64 v[5:6], null, v[3:4], v[3:4], 0x40400000
	v_div_scale_f64 v[3:4], vcc_lo, 0x40400000, v[3:4], 0x40400000
	s_mov_b32 s36, 0x94bb46c1
	s_mov_b32 s37, 0xbe5c4153
	s_mov_b32 s19, exec_lo
	s_delay_alu instid0(VALU_DEP_2) | instskip(SKIP_2) | instid1(VALU_DEP_1)
	v_rcp_f64_e32 v[7:8], v[5:6]
	s_waitcnt_depctr 0xfff
	v_fma_f64 v[9:10], -v[5:6], v[7:8], 1.0
	v_fma_f64 v[7:8], v[7:8], v[9:10], v[7:8]
	s_delay_alu instid0(VALU_DEP_1) | instskip(NEXT) | instid1(VALU_DEP_1)
	v_fma_f64 v[9:10], -v[5:6], v[7:8], 1.0
	v_fma_f64 v[7:8], v[7:8], v[9:10], v[7:8]
	s_delay_alu instid0(VALU_DEP_1) | instskip(NEXT) | instid1(VALU_DEP_1)
	v_mul_f64 v[9:10], v[3:4], v[7:8]
	v_fma_f64 v[3:4], -v[5:6], v[9:10], v[3:4]
	s_delay_alu instid0(VALU_DEP_1) | instskip(NEXT) | instid1(VALU_DEP_1)
	v_div_fmas_f64 v[3:4], v[3:4], v[7:8], v[9:10]
	v_div_fixup_f64 v[3:4], v[3:4], |v[1:2]|, 0x40400000
	s_delay_alu instid0(VALU_DEP_1) | instskip(NEXT) | instid1(VALU_DEP_1)
	v_add_f64 v[5:6], v[3:4], -2.0
	v_fma_f64 v[3:4], v[5:6], s[34:35], s[20:21]
	s_mov_b32 s35, 0xbc61556d
	s_mov_b32 s20, 0xb2532277
	;; [unrolled: 1-line block ×3, first 2 shown]
	s_delay_alu instid0(VALU_DEP_1) | instskip(SKIP_2) | instid1(VALU_DEP_1)
	v_fma_f64 v[7:8], v[5:6], v[3:4], s[34:35]
	s_mov_b32 s34, 0x5423dd80
	s_mov_b32 s35, 0xbe0334ca
	v_add_f64 v[7:8], v[7:8], s[20:21]
	s_mov_b32 s20, 0x9c773320
	s_mov_b32 s21, 0xbc82806c
	s_delay_alu instid0(VALU_DEP_1) | instskip(NEXT) | instid1(VALU_DEP_1)
	v_fma_f64 v[3:4], v[5:6], v[7:8], -v[3:4]
	v_add_f64 v[3:4], v[3:4], s[20:21]
	s_mov_b32 s20, 0xfceb588a
	s_mov_b32 s21, 0x3cb55915
	s_delay_alu instid0(VALU_DEP_1) | instskip(NEXT) | instid1(VALU_DEP_1)
	v_fma_f64 v[7:8], v[5:6], v[3:4], -v[7:8]
	;; [unrolled: 5-line block ×14, first 2 shown]
	v_add_f64 v[7:8], v[7:8], s[20:21]
	s_mov_b32 s20, 0x652b82fe
	s_mov_b32 s21, 0x3ff71547
	s_delay_alu instid0(SALU_CYCLE_1) | instskip(SKIP_2) | instid1(VALU_DEP_2)
	v_mul_f64 v[9:10], |v[1:2]|, s[20:21]
	s_mov_b32 s20, 0xfefa39ef
	s_mov_b32 s21, 0xbfe62e42
	v_fma_f64 v[3:4], v[5:6], v[7:8], -v[3:4]
	s_delay_alu instid0(VALU_DEP_2) | instskip(NEXT) | instid1(VALU_DEP_2)
	v_rndne_f64_e32 v[12:13], v[9:10]
	v_add_f64 v[3:4], v[3:4], s[34:35]
	s_mov_b32 s34, 0x9ad53528
	s_mov_b32 s35, 0xbe30790b
	s_delay_alu instid0(VALU_DEP_2) | instskip(SKIP_2) | instid1(VALU_DEP_2)
	v_fma_f64 v[9:10], v[12:13], s[20:21], |v[1:2]|
	s_mov_b32 s20, 0x3b39803f
	s_mov_b32 s21, 0xbc7abc9e
	v_fma_f64 v[7:8], v[5:6], v[3:4], -v[7:8]
	s_delay_alu instid0(VALU_DEP_2) | instskip(SKIP_3) | instid1(VALU_DEP_3)
	v_fma_f64 v[9:10], v[12:13], s[20:21], v[9:10]
	s_mov_b32 s20, 0xfca7ab0c
	s_mov_b32 s21, 0x3e928af3
	v_cvt_i32_f64_e32 v12, v[12:13]
	v_add_f64 v[7:8], v[7:8], s[34:35]
	s_mov_b32 s34, 0x6a5dcb37
	s_mov_b32 s35, 0x3e5ade15
	s_delay_alu instid0(VALU_DEP_3) | instid1(SALU_CYCLE_1)
	v_fma_f64 v[14:15], v[9:10], s[34:35], s[20:21]
	s_mov_b32 s20, 0x623fde64
	s_mov_b32 s21, 0x3ec71dee
	s_mov_b32 s34, 0x2e9e5443
	s_mov_b32 s35, 0xbe90dbfd
	s_delay_alu instid0(VALU_DEP_2) | instskip(NEXT) | instid1(VALU_DEP_2)
	v_fma_f64 v[3:4], v[5:6], v[7:8], -v[3:4]
	v_fma_f64 v[14:15], v[9:10], v[14:15], s[20:21]
	s_mov_b32 s20, 0x7c89e6b0
	s_mov_b32 s21, 0x3efa0199
	s_delay_alu instid0(VALU_DEP_2) | instskip(NEXT) | instid1(VALU_DEP_2)
	v_add_f64 v[3:4], v[3:4], s[36:37]
	v_fma_f64 v[14:15], v[9:10], v[14:15], s[20:21]
	s_mov_b32 s20, 0x14761f6e
	s_mov_b32 s21, 0x3f2a01a0
	s_delay_alu instid0(VALU_DEP_2) | instskip(NEXT) | instid1(VALU_DEP_2)
	v_fma_f64 v[7:8], v[5:6], v[3:4], -v[7:8]
	v_fma_f64 v[14:15], v[9:10], v[14:15], s[20:21]
	s_mov_b32 s20, 0x1852b7b0
	s_mov_b32 s21, 0x3f56c16c
	s_delay_alu instid0(VALU_DEP_2) | instskip(SKIP_2) | instid1(VALU_DEP_2)
	v_add_f64 v[7:8], v[7:8], s[34:35]
	s_mov_b32 s34, 0x49ca0373
	s_mov_b32 s35, 0xbed048df
	v_fma_f64 v[14:15], v[9:10], v[14:15], s[20:21]
	s_mov_b32 s20, 0x11122322
	s_mov_b32 s21, 0x3f811111
	s_delay_alu instid0(VALU_DEP_2) | instskip(NEXT) | instid1(VALU_DEP_1)
	v_fma_f64 v[3:4], v[5:6], v[7:8], -v[3:4]
	v_add_f64 v[16:17], v[3:4], s[34:35]
	s_delay_alu instid0(VALU_DEP_3) | instskip(SKIP_4) | instid1(VALU_DEP_2)
	v_fma_f64 v[3:4], v[9:10], v[14:15], s[20:21]
	s_mov_b32 s20, 0x555502a1
	s_mov_b32 s34, 0x804aa9a6
	;; [unrolled: 1-line block ×4, first 2 shown]
	v_fma_f64 v[7:8], v[5:6], v[16:17], -v[7:8]
	s_delay_alu instid0(VALU_DEP_2) | instskip(SKIP_2) | instid1(VALU_DEP_2)
	v_fma_f64 v[14:15], v[9:10], v[3:4], s[20:21]
	s_mov_b32 s20, 0x55555511
	s_mov_b32 s21, 0x3fc55555
	v_add_f64 v[3:4], v[7:8], s[34:35]
	s_delay_alu instid0(VALU_DEP_2) | instskip(SKIP_4) | instid1(VALU_DEP_2)
	v_fma_f64 v[7:8], v[9:10], v[14:15], s[20:21]
	s_mov_b32 s20, 11
	s_mov_b32 s34, 0x53fcdb4c
	;; [unrolled: 1-line block ×4, first 2 shown]
	v_fma_f64 v[14:15], v[5:6], v[3:4], -v[16:17]
	s_delay_alu instid0(VALU_DEP_2) | instskip(SKIP_2) | instid1(VALU_DEP_2)
	v_fma_f64 v[7:8], v[9:10], v[7:8], s[20:21]
	s_mov_b32 s20, 0xb55b1514
	s_mov_b32 s21, 0x3fe8ea18
	v_add_f64 v[14:15], v[14:15], s[34:35]
	s_delay_alu instid0(VALU_DEP_2) | instskip(NEXT) | instid1(VALU_DEP_2)
	v_fma_f64 v[7:8], v[9:10], v[7:8], 1.0
	v_fma_f64 v[5:6], v[5:6], v[14:15], -v[3:4]
	s_delay_alu instid0(VALU_DEP_2) | instskip(NEXT) | instid1(VALU_DEP_2)
	v_fma_f64 v[7:8], v[9:10], v[7:8], 1.0
	v_add_f64 v[9:10], v[5:6], s[20:21]
                                        ; implicit-def: $vgpr5_vgpr6
	v_cmpx_ngt_f64_e32 0, v[1:2]
	s_xor_b32 s19, exec_lo, s19
	s_cbranch_execz .LBB7_183
; %bb.182:
	v_cmp_gt_f64_e64 s20, 0x10000000, |v[1:2]|
	s_delay_alu instid0(VALU_DEP_4) | instskip(SKIP_2) | instid1(VALU_DEP_4)
	v_ldexp_f64 v[7:8], v[7:8], v12
	v_cmp_nlt_f64_e64 vcc_lo, 0x40900000, |v[1:2]|
	v_add_f64 v[3:4], v[9:10], -v[3:4]
	v_cndmask_b32_e64 v5, 0, 1, s20
	v_cndmask_b32_e64 v9, 0, 0xffffff80, s20
	v_cndmask_b32_e32 v8, 0x7ff00000, v8, vcc_lo
	s_delay_alu instid0(VALU_DEP_4) | instskip(NEXT) | instid1(VALU_DEP_4)
	v_mul_f64 v[3:4], v[3:4], 0.5
	v_lshlrev_b32_e32 v5, 8, v5
	s_delay_alu instid0(VALU_DEP_1) | instskip(NEXT) | instid1(VALU_DEP_1)
	v_ldexp_f64 v[5:6], |v[1:2]|, v5
	v_rsq_f64_e32 v[13:14], v[5:6]
	s_waitcnt_depctr 0xfff
	v_mul_f64 v[15:16], v[5:6], v[13:14]
	v_mul_f64 v[13:14], v[13:14], 0.5
	s_delay_alu instid0(VALU_DEP_1) | instskip(NEXT) | instid1(VALU_DEP_1)
	v_fma_f64 v[17:18], -v[13:14], v[15:16], 0.5
	v_fma_f64 v[15:16], v[15:16], v[17:18], v[15:16]
	v_fma_f64 v[13:14], v[13:14], v[17:18], v[13:14]
	s_delay_alu instid0(VALU_DEP_2) | instskip(NEXT) | instid1(VALU_DEP_1)
	v_fma_f64 v[17:18], -v[15:16], v[15:16], v[5:6]
	v_fma_f64 v[15:16], v[17:18], v[13:14], v[15:16]
	s_delay_alu instid0(VALU_DEP_1) | instskip(NEXT) | instid1(VALU_DEP_1)
	v_fma_f64 v[17:18], -v[15:16], v[15:16], v[5:6]
	v_fma_f64 v[1:2], v[17:18], v[13:14], v[15:16]
	s_delay_alu instid0(VALU_DEP_1) | instskip(SKIP_2) | instid1(VALU_DEP_3)
	v_ldexp_f64 v[1:2], v[1:2], v9
	v_cndmask_b32_e32 v7, 0, v7, vcc_lo
	v_cmp_class_f64_e64 vcc_lo, v[5:6], 0x260
	v_cndmask_b32_e32 v2, v2, v6, vcc_lo
	s_delay_alu instid0(VALU_DEP_3) | instskip(SKIP_1) | instid1(VALU_DEP_1)
	v_mul_f64 v[3:4], v[7:8], v[3:4]
	v_cndmask_b32_e32 v1, v1, v5, vcc_lo
	v_div_scale_f64 v[5:6], null, v[1:2], v[1:2], v[3:4]
	s_delay_alu instid0(VALU_DEP_1) | instskip(SKIP_2) | instid1(VALU_DEP_1)
	v_rcp_f64_e32 v[7:8], v[5:6]
	s_waitcnt_depctr 0xfff
	v_fma_f64 v[9:10], -v[5:6], v[7:8], 1.0
	v_fma_f64 v[7:8], v[7:8], v[9:10], v[7:8]
	s_delay_alu instid0(VALU_DEP_1) | instskip(NEXT) | instid1(VALU_DEP_1)
	v_fma_f64 v[9:10], -v[5:6], v[7:8], 1.0
	v_fma_f64 v[7:8], v[7:8], v[9:10], v[7:8]
	v_div_scale_f64 v[9:10], vcc_lo, v[3:4], v[1:2], v[3:4]
	s_delay_alu instid0(VALU_DEP_1) | instskip(NEXT) | instid1(VALU_DEP_1)
	v_mul_f64 v[12:13], v[9:10], v[7:8]
	v_fma_f64 v[5:6], -v[5:6], v[12:13], v[9:10]
                                        ; implicit-def: $vgpr9_vgpr10
	s_delay_alu instid0(VALU_DEP_1) | instskip(NEXT) | instid1(VALU_DEP_1)
	v_div_fmas_f64 v[5:6], v[5:6], v[7:8], v[12:13]
                                        ; implicit-def: $vgpr7_vgpr8
                                        ; implicit-def: $vgpr12
	v_div_fixup_f64 v[5:6], v[5:6], v[1:2], v[3:4]
                                        ; implicit-def: $vgpr3_vgpr4
                                        ; implicit-def: $vgpr1_vgpr2
.LBB7_183:
	s_and_not1_saveexec_b32 s19, s19
	s_cbranch_execz .LBB7_185
; %bb.184:
	v_cmp_gt_f64_e64 s20, 0x10000000, |v[1:2]|
	s_delay_alu instid0(VALU_DEP_4) | instskip(SKIP_2) | instid1(VALU_DEP_4)
	v_ldexp_f64 v[7:8], -v[7:8], v12
	v_cmp_nlt_f64_e64 vcc_lo, 0x40900000, |v[1:2]|
	v_add_f64 v[3:4], v[9:10], -v[3:4]
	v_cndmask_b32_e64 v5, 0, 1, s20
	v_cndmask_b32_e64 v9, 0, 0xffffff80, s20
	v_cndmask_b32_e32 v8, 0xfff00000, v8, vcc_lo
	s_delay_alu instid0(VALU_DEP_4) | instskip(NEXT) | instid1(VALU_DEP_4)
	v_mul_f64 v[3:4], v[3:4], 0.5
	v_lshlrev_b32_e32 v5, 8, v5
	s_delay_alu instid0(VALU_DEP_1) | instskip(NEXT) | instid1(VALU_DEP_1)
	v_ldexp_f64 v[5:6], |v[1:2]|, v5
	v_rsq_f64_e32 v[13:14], v[5:6]
	s_waitcnt_depctr 0xfff
	v_mul_f64 v[15:16], v[5:6], v[13:14]
	v_mul_f64 v[13:14], v[13:14], 0.5
	s_delay_alu instid0(VALU_DEP_1) | instskip(NEXT) | instid1(VALU_DEP_1)
	v_fma_f64 v[17:18], -v[13:14], v[15:16], 0.5
	v_fma_f64 v[15:16], v[15:16], v[17:18], v[15:16]
	v_fma_f64 v[13:14], v[13:14], v[17:18], v[13:14]
	s_delay_alu instid0(VALU_DEP_2) | instskip(NEXT) | instid1(VALU_DEP_1)
	v_fma_f64 v[17:18], -v[15:16], v[15:16], v[5:6]
	v_fma_f64 v[15:16], v[17:18], v[13:14], v[15:16]
	s_delay_alu instid0(VALU_DEP_1) | instskip(NEXT) | instid1(VALU_DEP_1)
	v_fma_f64 v[17:18], -v[15:16], v[15:16], v[5:6]
	v_fma_f64 v[1:2], v[17:18], v[13:14], v[15:16]
	s_delay_alu instid0(VALU_DEP_1) | instskip(SKIP_2) | instid1(VALU_DEP_3)
	v_ldexp_f64 v[1:2], v[1:2], v9
	v_cndmask_b32_e32 v7, 0, v7, vcc_lo
	v_cmp_class_f64_e64 vcc_lo, v[5:6], 0x260
	v_cndmask_b32_e32 v2, v2, v6, vcc_lo
	s_delay_alu instid0(VALU_DEP_3) | instskip(SKIP_1) | instid1(VALU_DEP_1)
	v_mul_f64 v[3:4], v[7:8], v[3:4]
	v_cndmask_b32_e32 v1, v1, v5, vcc_lo
	v_div_scale_f64 v[5:6], null, v[1:2], v[1:2], v[3:4]
	s_delay_alu instid0(VALU_DEP_1) | instskip(SKIP_2) | instid1(VALU_DEP_1)
	v_rcp_f64_e32 v[7:8], v[5:6]
	s_waitcnt_depctr 0xfff
	v_fma_f64 v[9:10], -v[5:6], v[7:8], 1.0
	v_fma_f64 v[7:8], v[7:8], v[9:10], v[7:8]
	s_delay_alu instid0(VALU_DEP_1) | instskip(NEXT) | instid1(VALU_DEP_1)
	v_fma_f64 v[9:10], -v[5:6], v[7:8], 1.0
	v_fma_f64 v[7:8], v[7:8], v[9:10], v[7:8]
	v_div_scale_f64 v[9:10], vcc_lo, v[3:4], v[1:2], v[3:4]
	s_delay_alu instid0(VALU_DEP_1) | instskip(NEXT) | instid1(VALU_DEP_1)
	v_mul_f64 v[12:13], v[9:10], v[7:8]
	v_fma_f64 v[5:6], -v[5:6], v[12:13], v[9:10]
	s_delay_alu instid0(VALU_DEP_1) | instskip(NEXT) | instid1(VALU_DEP_1)
	v_div_fmas_f64 v[5:6], v[5:6], v[7:8], v[12:13]
	v_div_fixup_f64 v[5:6], v[5:6], v[1:2], v[3:4]
.LBB7_185:
	s_or_b32 exec_lo, exec_lo, s19
.LBB7_186:
	s_delay_alu instid0(SALU_CYCLE_1) | instskip(SKIP_3) | instid1(SALU_CYCLE_1)
	s_or_b32 exec_lo, exec_lo, s18
	v_add_nc_u32_e32 v11, 0x80, v11
	global_store_b64 v0, v[5:6], s[4:5]
	s_or_b32 exec_lo, exec_lo, s30
	s_mov_b32 s20, exec_lo
	v_cmpx_gt_i32_e64 s27, v11
	s_cbranch_execz .LBB7_165
.LBB7_187:
	s_and_not1_b32 vcc_lo, exec_lo, s24
	s_cbranch_vccnz .LBB7_192
; %bb.188:
	v_dual_mov_b32 v0, 0 :: v_dual_mov_b32 v1, 0
	s_and_not1_b32 vcc_lo, exec_lo, s29
	s_mov_b32 s21, 0
	s_cbranch_vccnz .LBB7_197
; %bb.189:
	v_mov_b32_e32 v0, 0
	s_add_i32 s28, s28, 1
	s_cmp_eq_u32 s23, 2
	s_mov_b32 s27, 0
	s_cbranch_scc1 .LBB7_193
; %bb.190:
	v_dual_mov_b32 v1, 0 :: v_dual_mov_b32 v0, 0
	v_mov_b32_e32 v2, v11
	s_and_b32 s27, s28, 28
	s_mov_b32 s29, 0
	s_mov_b64 s[18:19], s[0:1]
.LBB7_191:                              ; =>This Inner Loop Header: Depth=1
	s_clause 0x1
	s_load_b256 s[36:43], s[18:19], 0x4
	s_load_b128 s[52:55], s[18:19], 0x24
	s_load_b256 s[44:51], s[16:17], 0x0
	s_add_u32 s18, s18, 48
	s_addc_u32 s19, s19, 0
	s_add_i32 s29, s29, 4
	s_add_u32 s16, s16, 32
	s_addc_u32 s17, s17, 0
	s_cmp_eq_u32 s27, s29
	s_waitcnt lgkmcnt(0)
	v_mul_hi_u32 v3, s37, v2
	s_delay_alu instid0(VALU_DEP_1) | instskip(NEXT) | instid1(VALU_DEP_1)
	v_add_nc_u32_e32 v3, v2, v3
	v_lshrrev_b32_e32 v3, s38, v3
	s_delay_alu instid0(VALU_DEP_1) | instskip(SKIP_1) | instid1(VALU_DEP_2)
	v_mul_hi_u32 v4, s40, v3
	v_mul_lo_u32 v6, v3, s36
	v_add_nc_u32_e32 v4, v3, v4
	s_delay_alu instid0(VALU_DEP_2) | instskip(NEXT) | instid1(VALU_DEP_2)
	v_sub_nc_u32_e32 v2, v2, v6
	v_lshrrev_b32_e32 v4, s41, v4
	s_delay_alu instid0(VALU_DEP_2) | instskip(SKIP_1) | instid1(VALU_DEP_3)
	v_mul_lo_u32 v6, v2, s44
	v_mul_lo_u32 v8, v2, s45
	v_mul_hi_u32 v5, s43, v4
	s_delay_alu instid0(VALU_DEP_1) | instskip(NEXT) | instid1(VALU_DEP_1)
	v_add_nc_u32_e32 v5, v4, v5
	v_lshrrev_b32_e32 v5, s52, v5
	s_delay_alu instid0(VALU_DEP_1) | instskip(SKIP_1) | instid1(VALU_DEP_2)
	v_mul_hi_u32 v7, s54, v5
	v_mul_lo_u32 v9, v5, s42
	v_add_nc_u32_e32 v2, v5, v7
	v_mul_lo_u32 v7, v4, s39
	s_delay_alu instid0(VALU_DEP_3) | instskip(NEXT) | instid1(VALU_DEP_3)
	v_sub_nc_u32_e32 v4, v4, v9
	v_lshrrev_b32_e32 v2, s55, v2
	s_delay_alu instid0(VALU_DEP_2) | instskip(SKIP_2) | instid1(VALU_DEP_4)
	v_mul_lo_u32 v9, v4, s48
	v_mul_lo_u32 v4, v4, s49
	v_sub_nc_u32_e32 v3, v3, v7
	v_mul_lo_u32 v10, v2, s53
	s_delay_alu instid0(VALU_DEP_2) | instskip(SKIP_1) | instid1(VALU_DEP_3)
	v_mul_lo_u32 v7, v3, s46
	v_mul_lo_u32 v3, v3, s47
	v_sub_nc_u32_e32 v5, v5, v10
	s_delay_alu instid0(VALU_DEP_3) | instskip(NEXT) | instid1(VALU_DEP_2)
	v_add3_u32 v0, v6, v0, v7
	v_mul_lo_u32 v10, v5, s50
	v_mul_lo_u32 v5, v5, s51
	v_add3_u32 v1, v8, v1, v3
	s_delay_alu instid0(VALU_DEP_3) | instskip(NEXT) | instid1(VALU_DEP_2)
	v_add3_u32 v0, v9, v0, v10
	v_add3_u32 v1, v4, v1, v5
	s_cbranch_scc0 .LBB7_191
	s_branch .LBB7_194
.LBB7_192:
	s_mov_b32 s21, -1
                                        ; implicit-def: $vgpr0
                                        ; implicit-def: $vgpr1
	s_branch .LBB7_197
.LBB7_193:
	v_dual_mov_b32 v2, v11 :: v_dual_mov_b32 v1, 0
.LBB7_194:
	s_and_b32 s28, s28, 3
	s_delay_alu instid0(SALU_CYCLE_1)
	s_cmp_eq_u32 s28, 0
	s_cbranch_scc1 .LBB7_197
; %bb.195:
	s_lshl_b32 s16, s27, 3
	s_mul_i32 s18, s27, 12
	s_add_u32 s16, s16, s0
	s_addc_u32 s17, s1, 0
	s_add_u32 s16, s16, 0xc4
	s_addc_u32 s17, s17, 0
	;; [unrolled: 2-line block ×3, first 2 shown]
	.p2align	6
.LBB7_196:                              ; =>This Inner Loop Header: Depth=1
	s_clause 0x1
	s_load_b64 s[30:31], s[18:19], 0x4
	s_load_b32 s27, s[18:19], 0xc
	s_load_b64 s[34:35], s[16:17], 0x0
	s_add_u32 s18, s18, 12
	s_addc_u32 s19, s19, 0
	s_add_u32 s16, s16, 8
	s_addc_u32 s17, s17, 0
	s_add_i32 s28, s28, -1
	s_delay_alu instid0(SALU_CYCLE_1) | instskip(SKIP_2) | instid1(VALU_DEP_1)
	s_cmp_lg_u32 s28, 0
	s_waitcnt lgkmcnt(0)
	v_mul_hi_u32 v3, s31, v2
	v_add_nc_u32_e32 v3, v2, v3
	s_delay_alu instid0(VALU_DEP_1) | instskip(NEXT) | instid1(VALU_DEP_1)
	v_lshrrev_b32_e32 v6, s27, v3
	v_mul_lo_u32 v3, v6, s30
	s_delay_alu instid0(VALU_DEP_1) | instskip(NEXT) | instid1(VALU_DEP_1)
	v_sub_nc_u32_e32 v2, v2, v3
	v_mad_u64_u32 v[3:4], null, v2, s34, v[0:1]
	v_mad_u64_u32 v[4:5], null, v2, s35, v[1:2]
	v_mov_b32_e32 v2, v6
	s_delay_alu instid0(VALU_DEP_2)
	v_dual_mov_b32 v0, v3 :: v_dual_mov_b32 v1, v4
	s_cbranch_scc1 .LBB7_196
.LBB7_197:
	s_and_not1_b32 vcc_lo, exec_lo, s21
	s_cbranch_vccnz .LBB7_200
; %bb.198:
	s_waitcnt lgkmcnt(0)
	v_mul_hi_u32 v0, s13, v11
	s_and_not1_b32 vcc_lo, exec_lo, s26
	s_delay_alu instid0(VALU_DEP_1) | instskip(NEXT) | instid1(VALU_DEP_1)
	v_add_nc_u32_e32 v0, v11, v0
	v_lshrrev_b32_e32 v2, s14, v0
	s_delay_alu instid0(VALU_DEP_1) | instskip(NEXT) | instid1(VALU_DEP_1)
	v_mul_lo_u32 v0, v2, s12
	v_sub_nc_u32_e32 v1, v11, v0
	s_delay_alu instid0(VALU_DEP_1)
	v_mul_lo_u32 v0, v1, s8
	v_mul_lo_u32 v1, v1, s9
	s_cbranch_vccnz .LBB7_200
; %bb.199:
	v_mul_hi_u32 v3, s2, v2
	s_delay_alu instid0(VALU_DEP_1) | instskip(NEXT) | instid1(VALU_DEP_1)
	v_add_nc_u32_e32 v3, v2, v3
	v_lshrrev_b32_e32 v3, s3, v3
	s_delay_alu instid0(VALU_DEP_1) | instskip(NEXT) | instid1(VALU_DEP_1)
	v_mul_lo_u32 v3, v3, s15
	v_sub_nc_u32_e32 v5, v2, v3
	s_delay_alu instid0(VALU_DEP_1) | instskip(NEXT) | instid1(VALU_DEP_1)
	v_mad_u64_u32 v[2:3], null, v5, s10, v[0:1]
	v_mad_u64_u32 v[3:4], null, v5, s11, v[1:2]
	s_delay_alu instid0(VALU_DEP_1)
	v_dual_mov_b32 v0, v2 :: v_dual_mov_b32 v1, v3
.LBB7_200:
	s_waitcnt lgkmcnt(0)
	global_load_b64 v[1:2], v1, s[6:7]
                                        ; implicit-def: $vgpr5_vgpr6
	s_waitcnt vmcnt(0)
	v_cmp_ge_f64_e64 s2, 0x40200000, |v[1:2]|
	s_delay_alu instid0(VALU_DEP_1) | instskip(NEXT) | instid1(SALU_CYCLE_1)
	s_and_saveexec_b32 s3, s2
	s_xor_b32 s2, exec_lo, s3
	s_cbranch_execz .LBB7_206
; %bb.201:
	v_fma_f64 v[3:4], |v[1:2]|, 0.5, -2.0
	s_mov_b32 s6, 0xc38a0576
	s_mov_b32 s7, 0xbc7857d0
	;; [unrolled: 1-line block ×4, first 2 shown]
	s_mov_b32 s3, exec_lo
	s_delay_alu instid0(VALU_DEP_1) | instskip(SKIP_3) | instid1(VALU_DEP_1)
	v_fma_f64 v[5:6], v[3:4], s[8:9], s[6:7]
	s_mov_b32 s9, 0xbc499f2a
	s_mov_b32 s6, 0xe593bfac
	;; [unrolled: 1-line block ×3, first 2 shown]
	v_fma_f64 v[7:8], v[3:4], v[5:6], s[8:9]
	s_delay_alu instid0(VALU_DEP_1) | instskip(SKIP_2) | instid1(VALU_DEP_1)
	v_add_f64 v[7:8], v[7:8], s[6:7]
	s_mov_b32 s6, 0x7e0d1573
	s_mov_b32 s7, 0xbcd3eaaa
	v_fma_f64 v[5:6], v[3:4], v[7:8], -v[5:6]
	s_delay_alu instid0(VALU_DEP_1) | instskip(SKIP_2) | instid1(VALU_DEP_1)
	v_add_f64 v[5:6], v[5:6], s[6:7]
	s_mov_b32 s6, 0x615290c
	s_mov_b32 s7, 0x3d011d7f
	v_fma_f64 v[7:8], v[3:4], v[5:6], -v[7:8]
	;; [unrolled: 5-line block ×26, first 2 shown]
                                        ; implicit-def: $vgpr5_vgpr6
	s_delay_alu instid0(VALU_DEP_1) | instskip(NEXT) | instid1(VALU_DEP_1)
	v_add_f64 v[3:4], v[3:4], s[6:7]
	v_add_f64 v[3:4], v[3:4], -v[7:8]
	v_cmpx_ngt_f64_e32 0, v[1:2]
	s_xor_b32 s3, exec_lo, s3
	s_cbranch_execz .LBB7_203
; %bb.202:
	s_mov_b32 s6, 0x652b82fe
	s_mov_b32 s7, 0x3ff71547
	s_mov_b32 s8, 0x6a5dcb37
	v_mul_f64 v[5:6], |v[1:2]|, s[6:7]
	s_mov_b32 s6, 0xfefa39ef
	s_mov_b32 s7, 0xbfe62e42
	;; [unrolled: 1-line block ×3, first 2 shown]
	s_delay_alu instid0(VALU_DEP_3) | instskip(SKIP_1) | instid1(VALU_DEP_3)
	v_mul_f64 v[3:4], v[3:4], 0.5
	v_cmp_nlt_f64_e64 vcc_lo, 0x40900000, |v[1:2]|
	v_rndne_f64_e32 v[5:6], v[5:6]
	s_delay_alu instid0(VALU_DEP_1) | instskip(SKIP_4) | instid1(VALU_DEP_3)
	v_fma_f64 v[7:8], v[5:6], s[6:7], |v[1:2]|
	s_mov_b32 s6, 0x3b39803f
	s_mov_b32 s7, 0xbc7abc9e
	v_cvt_i32_f64_e32 v11, v[5:6]
	v_mul_f64 v[1:2], |v[1:2]|, v[3:4]
	v_fma_f64 v[7:8], v[5:6], s[6:7], v[7:8]
	s_mov_b32 s6, 0xfca7ab0c
	s_mov_b32 s7, 0x3e928af3
	s_delay_alu instid0(VALU_DEP_1) | instid1(SALU_CYCLE_1)
	v_fma_f64 v[9:10], v[7:8], s[8:9], s[6:7]
	s_mov_b32 s6, 0x623fde64
	s_mov_b32 s7, 0x3ec71dee
	s_delay_alu instid0(VALU_DEP_1) | instid1(SALU_CYCLE_1)
	;; [unrolled: 4-line block ×9, first 2 shown]
	v_fma_f64 v[9:10], v[7:8], v[9:10], s[6:7]
	s_delay_alu instid0(VALU_DEP_1) | instskip(NEXT) | instid1(VALU_DEP_1)
	v_fma_f64 v[9:10], v[7:8], v[9:10], 1.0
	v_fma_f64 v[5:6], v[7:8], v[9:10], 1.0
	s_delay_alu instid0(VALU_DEP_1) | instskip(NEXT) | instid1(VALU_DEP_1)
	v_ldexp_f64 v[5:6], v[5:6], v11
	v_cndmask_b32_e32 v4, 0x7ff00000, v6, vcc_lo
	s_delay_alu instid0(VALU_DEP_2) | instskip(NEXT) | instid1(VALU_DEP_1)
	v_cndmask_b32_e32 v3, 0, v5, vcc_lo
	v_mul_f64 v[5:6], v[3:4], v[1:2]
                                        ; implicit-def: $vgpr1_vgpr2
                                        ; implicit-def: $vgpr3_vgpr4
.LBB7_203:
	s_and_not1_saveexec_b32 s3, s3
	s_cbranch_execz .LBB7_205
; %bb.204:
	s_mov_b32 s6, 0x652b82fe
	s_mov_b32 s7, 0x3ff71547
	;; [unrolled: 1-line block ×3, first 2 shown]
	v_mul_f64 v[5:6], |v[1:2]|, s[6:7]
	s_mov_b32 s6, 0xfefa39ef
	s_mov_b32 s7, 0xbfe62e42
	;; [unrolled: 1-line block ×3, first 2 shown]
	s_delay_alu instid0(VALU_DEP_3) | instskip(SKIP_1) | instid1(VALU_DEP_3)
	v_mul_f64 v[3:4], v[3:4], -0.5
	v_cmp_nlt_f64_e64 vcc_lo, 0x40900000, |v[1:2]|
	v_rndne_f64_e32 v[5:6], v[5:6]
	s_delay_alu instid0(VALU_DEP_1) | instskip(SKIP_4) | instid1(VALU_DEP_3)
	v_fma_f64 v[7:8], v[5:6], s[6:7], |v[1:2]|
	s_mov_b32 s6, 0x3b39803f
	s_mov_b32 s7, 0xbc7abc9e
	v_cvt_i32_f64_e32 v11, v[5:6]
	v_mul_f64 v[1:2], |v[1:2]|, v[3:4]
	v_fma_f64 v[7:8], v[5:6], s[6:7], v[7:8]
	s_mov_b32 s6, 0xfca7ab0c
	s_mov_b32 s7, 0x3e928af3
	s_delay_alu instid0(VALU_DEP_1) | instid1(SALU_CYCLE_1)
	v_fma_f64 v[9:10], v[7:8], s[8:9], s[6:7]
	s_mov_b32 s6, 0x623fde64
	s_mov_b32 s7, 0x3ec71dee
	s_delay_alu instid0(VALU_DEP_1) | instid1(SALU_CYCLE_1)
	;; [unrolled: 4-line block ×9, first 2 shown]
	v_fma_f64 v[9:10], v[7:8], v[9:10], s[6:7]
	s_delay_alu instid0(VALU_DEP_1) | instskip(NEXT) | instid1(VALU_DEP_1)
	v_fma_f64 v[9:10], v[7:8], v[9:10], 1.0
	v_fma_f64 v[5:6], v[7:8], v[9:10], 1.0
	s_delay_alu instid0(VALU_DEP_1) | instskip(NEXT) | instid1(VALU_DEP_1)
	v_ldexp_f64 v[5:6], v[5:6], v11
	v_cndmask_b32_e32 v4, 0x7ff00000, v6, vcc_lo
	s_delay_alu instid0(VALU_DEP_2) | instskip(NEXT) | instid1(VALU_DEP_1)
	v_cndmask_b32_e32 v3, 0, v5, vcc_lo
	v_mul_f64 v[5:6], v[3:4], v[1:2]
.LBB7_205:
	s_or_b32 exec_lo, exec_lo, s3
                                        ; implicit-def: $vgpr1_vgpr2
.LBB7_206:
	s_and_not1_saveexec_b32 s2, s2
	s_cbranch_execz .LBB7_212
; %bb.207:
	v_dual_mov_b32 v3, v1 :: v_dual_and_b32 v4, 0x7fffffff, v2
	s_mov_b32 s6, 0xea87b950
	s_mov_b32 s7, 0x3c545b8a
	;; [unrolled: 1-line block ×4, first 2 shown]
	v_div_scale_f64 v[5:6], null, v[3:4], v[3:4], 0x40400000
	v_div_scale_f64 v[3:4], vcc_lo, 0x40400000, v[3:4], 0x40400000
	s_mov_b32 s10, 0x94bb46c1
	s_mov_b32 s11, 0xbe5c4153
	s_mov_b32 s3, exec_lo
	s_delay_alu instid0(VALU_DEP_2) | instskip(SKIP_2) | instid1(VALU_DEP_1)
	v_rcp_f64_e32 v[7:8], v[5:6]
	s_waitcnt_depctr 0xfff
	v_fma_f64 v[9:10], -v[5:6], v[7:8], 1.0
	v_fma_f64 v[7:8], v[7:8], v[9:10], v[7:8]
	s_delay_alu instid0(VALU_DEP_1) | instskip(NEXT) | instid1(VALU_DEP_1)
	v_fma_f64 v[9:10], -v[5:6], v[7:8], 1.0
	v_fma_f64 v[7:8], v[7:8], v[9:10], v[7:8]
	s_delay_alu instid0(VALU_DEP_1) | instskip(NEXT) | instid1(VALU_DEP_1)
	v_mul_f64 v[9:10], v[3:4], v[7:8]
	v_fma_f64 v[3:4], -v[5:6], v[9:10], v[3:4]
	s_delay_alu instid0(VALU_DEP_1) | instskip(NEXT) | instid1(VALU_DEP_1)
	v_div_fmas_f64 v[3:4], v[3:4], v[7:8], v[9:10]
	v_div_fixup_f64 v[3:4], v[3:4], |v[1:2]|, 0x40400000
	s_delay_alu instid0(VALU_DEP_1) | instskip(NEXT) | instid1(VALU_DEP_1)
	v_add_f64 v[5:6], v[3:4], -2.0
	v_fma_f64 v[3:4], v[5:6], s[8:9], s[6:7]
	s_mov_b32 s9, 0xbc61556d
	s_mov_b32 s6, 0xb2532277
	s_mov_b32 s7, 0xbc8acea3
	s_delay_alu instid0(VALU_DEP_1) | instskip(SKIP_2) | instid1(VALU_DEP_1)
	v_fma_f64 v[7:8], v[5:6], v[3:4], s[8:9]
	s_mov_b32 s8, 0x5423dd80
	s_mov_b32 s9, 0xbe0334ca
	v_add_f64 v[7:8], v[7:8], s[6:7]
	s_mov_b32 s6, 0x9c773320
	s_mov_b32 s7, 0xbc82806c
	s_delay_alu instid0(VALU_DEP_1) | instskip(NEXT) | instid1(VALU_DEP_1)
	v_fma_f64 v[3:4], v[5:6], v[7:8], -v[3:4]
	v_add_f64 v[3:4], v[3:4], s[6:7]
	s_mov_b32 s6, 0xfceb588a
	s_mov_b32 s7, 0x3cb55915
	s_delay_alu instid0(VALU_DEP_1) | instskip(NEXT) | instid1(VALU_DEP_1)
	v_fma_f64 v[7:8], v[5:6], v[3:4], -v[7:8]
	v_add_f64 v[7:8], v[7:8], s[6:7]
	s_mov_b32 s6, 0x5f04a2d1
	s_mov_b32 s7, 0x3cb7d68e
	s_delay_alu instid0(VALU_DEP_1) | instskip(NEXT) | instid1(VALU_DEP_1)
	v_fma_f64 v[3:4], v[5:6], v[7:8], -v[3:4]
	v_add_f64 v[3:4], v[3:4], s[6:7]
	s_mov_b32 s6, 0x8bc4d22a
	s_mov_b32 s7, 0xbce0efcd
	s_delay_alu instid0(VALU_DEP_1) | instskip(NEXT) | instid1(VALU_DEP_1)
	v_fma_f64 v[7:8], v[5:6], v[3:4], -v[7:8]
	v_add_f64 v[7:8], v[7:8], s[6:7]
	s_mov_b32 s6, 0x138afbc7
	s_mov_b32 s7, 0xbcf12db5
	s_delay_alu instid0(VALU_DEP_1) | instskip(NEXT) | instid1(VALU_DEP_1)
	v_fma_f64 v[3:4], v[5:6], v[7:8], -v[3:4]
	v_add_f64 v[3:4], v[3:4], s[6:7]
	s_mov_b32 s6, 0x762d31e8
	s_mov_b32 s7, 0x3d0776e1
	s_delay_alu instid0(VALU_DEP_1) | instskip(NEXT) | instid1(VALU_DEP_1)
	v_fma_f64 v[7:8], v[5:6], v[3:4], -v[7:8]
	v_add_f64 v[7:8], v[7:8], s[6:7]
	s_mov_b32 s6, 0x26b3281e
	s_mov_b32 s7, 0x3d280d3c
	s_delay_alu instid0(VALU_DEP_1) | instskip(NEXT) | instid1(VALU_DEP_1)
	v_fma_f64 v[3:4], v[5:6], v[7:8], -v[3:4]
	v_add_f64 v[3:4], v[3:4], s[6:7]
	s_mov_b32 s6, 0x2e6d22a0
	s_mov_b32 s7, 0xbd17a948
	s_delay_alu instid0(VALU_DEP_1) | instskip(NEXT) | instid1(VALU_DEP_1)
	v_fma_f64 v[7:8], v[5:6], v[3:4], -v[7:8]
	v_add_f64 v[7:8], v[7:8], s[6:7]
	s_mov_b32 s6, 0x8e73e255
	s_mov_b32 s7, 0xbd5cbc45
	s_delay_alu instid0(VALU_DEP_1) | instskip(NEXT) | instid1(VALU_DEP_1)
	v_fma_f64 v[3:4], v[5:6], v[7:8], -v[3:4]
	v_add_f64 v[3:4], v[3:4], s[6:7]
	s_mov_b32 s6, 0x76ab493
	s_mov_b32 s7, 0xbd6953e1
	s_delay_alu instid0(VALU_DEP_1) | instskip(NEXT) | instid1(VALU_DEP_1)
	v_fma_f64 v[7:8], v[5:6], v[3:4], -v[7:8]
	v_add_f64 v[7:8], v[7:8], s[6:7]
	s_mov_b32 s6, 0xf6439fa3
	s_mov_b32 s7, 0x3d81e7d3
	s_delay_alu instid0(VALU_DEP_1) | instskip(NEXT) | instid1(VALU_DEP_1)
	v_fma_f64 v[3:4], v[5:6], v[7:8], -v[3:4]
	v_add_f64 v[3:4], v[3:4], s[6:7]
	s_mov_b32 s6, 0x653c457b
	s_mov_b32 s7, 0x3daf101f
	s_delay_alu instid0(VALU_DEP_1) | instskip(NEXT) | instid1(VALU_DEP_1)
	v_fma_f64 v[7:8], v[5:6], v[3:4], -v[7:8]
	v_add_f64 v[7:8], v[7:8], s[6:7]
	s_mov_b32 s6, 0xf1587865
	s_mov_b32 s7, 0x3dc1e1a1
	s_delay_alu instid0(VALU_DEP_1) | instskip(NEXT) | instid1(VALU_DEP_1)
	v_fma_f64 v[3:4], v[5:6], v[7:8], -v[3:4]
	v_add_f64 v[3:4], v[3:4], s[6:7]
	s_mov_b32 s6, 0xd4504c0c
	s_mov_b32 s7, 0xbdb4dcf9
	s_delay_alu instid0(VALU_DEP_1) | instskip(NEXT) | instid1(VALU_DEP_1)
	v_fma_f64 v[7:8], v[5:6], v[3:4], -v[7:8]
	v_add_f64 v[7:8], v[7:8], s[6:7]
	s_mov_b32 s6, 0x652b82fe
	s_mov_b32 s7, 0x3ff71547
	s_delay_alu instid0(SALU_CYCLE_1) | instskip(SKIP_2) | instid1(VALU_DEP_2)
	v_mul_f64 v[9:10], |v[1:2]|, s[6:7]
	s_mov_b32 s6, 0xfefa39ef
	s_mov_b32 s7, 0xbfe62e42
	v_fma_f64 v[3:4], v[5:6], v[7:8], -v[3:4]
	s_delay_alu instid0(VALU_DEP_2) | instskip(NEXT) | instid1(VALU_DEP_2)
	v_rndne_f64_e32 v[11:12], v[9:10]
	v_add_f64 v[3:4], v[3:4], s[8:9]
	s_mov_b32 s8, 0x9ad53528
	s_mov_b32 s9, 0xbe30790b
	s_delay_alu instid0(VALU_DEP_2) | instskip(SKIP_2) | instid1(VALU_DEP_2)
	v_fma_f64 v[9:10], v[11:12], s[6:7], |v[1:2]|
	s_mov_b32 s6, 0x3b39803f
	s_mov_b32 s7, 0xbc7abc9e
	v_fma_f64 v[7:8], v[5:6], v[3:4], -v[7:8]
	s_delay_alu instid0(VALU_DEP_2) | instskip(SKIP_3) | instid1(VALU_DEP_3)
	v_fma_f64 v[9:10], v[11:12], s[6:7], v[9:10]
	s_mov_b32 s6, 0xfca7ab0c
	s_mov_b32 s7, 0x3e928af3
	v_cvt_i32_f64_e32 v11, v[11:12]
	v_add_f64 v[7:8], v[7:8], s[8:9]
	s_mov_b32 s8, 0x6a5dcb37
	s_mov_b32 s9, 0x3e5ade15
	s_delay_alu instid0(VALU_DEP_3) | instid1(SALU_CYCLE_1)
	v_fma_f64 v[13:14], v[9:10], s[8:9], s[6:7]
	s_mov_b32 s6, 0x623fde64
	s_mov_b32 s7, 0x3ec71dee
	;; [unrolled: 1-line block ×4, first 2 shown]
	s_delay_alu instid0(VALU_DEP_2) | instskip(NEXT) | instid1(VALU_DEP_2)
	v_fma_f64 v[3:4], v[5:6], v[7:8], -v[3:4]
	v_fma_f64 v[13:14], v[9:10], v[13:14], s[6:7]
	s_mov_b32 s6, 0x7c89e6b0
	s_mov_b32 s7, 0x3efa0199
	s_delay_alu instid0(VALU_DEP_2) | instskip(NEXT) | instid1(VALU_DEP_2)
	v_add_f64 v[3:4], v[3:4], s[10:11]
	v_fma_f64 v[13:14], v[9:10], v[13:14], s[6:7]
	s_mov_b32 s6, 0x14761f6e
	s_mov_b32 s7, 0x3f2a01a0
	s_delay_alu instid0(VALU_DEP_2) | instskip(NEXT) | instid1(VALU_DEP_2)
	v_fma_f64 v[7:8], v[5:6], v[3:4], -v[7:8]
	v_fma_f64 v[13:14], v[9:10], v[13:14], s[6:7]
	s_mov_b32 s6, 0x1852b7b0
	s_mov_b32 s7, 0x3f56c16c
	s_delay_alu instid0(VALU_DEP_2) | instskip(SKIP_2) | instid1(VALU_DEP_2)
	v_add_f64 v[7:8], v[7:8], s[8:9]
	s_mov_b32 s8, 0x49ca0373
	s_mov_b32 s9, 0xbed048df
	v_fma_f64 v[13:14], v[9:10], v[13:14], s[6:7]
	s_mov_b32 s6, 0x11122322
	s_mov_b32 s7, 0x3f811111
	s_delay_alu instid0(VALU_DEP_2) | instskip(NEXT) | instid1(VALU_DEP_1)
	v_fma_f64 v[3:4], v[5:6], v[7:8], -v[3:4]
	v_add_f64 v[15:16], v[3:4], s[8:9]
	s_delay_alu instid0(VALU_DEP_3) | instskip(SKIP_4) | instid1(VALU_DEP_2)
	v_fma_f64 v[3:4], v[9:10], v[13:14], s[6:7]
	s_mov_b32 s6, 0x555502a1
	s_mov_b32 s8, 0x804aa9a6
	;; [unrolled: 1-line block ×4, first 2 shown]
	v_fma_f64 v[7:8], v[5:6], v[15:16], -v[7:8]
	s_delay_alu instid0(VALU_DEP_2) | instskip(SKIP_2) | instid1(VALU_DEP_2)
	v_fma_f64 v[13:14], v[9:10], v[3:4], s[6:7]
	s_mov_b32 s6, 0x55555511
	s_mov_b32 s7, 0x3fc55555
	v_add_f64 v[3:4], v[7:8], s[8:9]
	s_delay_alu instid0(VALU_DEP_2) | instskip(SKIP_4) | instid1(VALU_DEP_2)
	v_fma_f64 v[7:8], v[9:10], v[13:14], s[6:7]
	s_mov_b32 s6, 11
	s_mov_b32 s8, 0x53fcdb4c
	;; [unrolled: 1-line block ×4, first 2 shown]
	v_fma_f64 v[13:14], v[5:6], v[3:4], -v[15:16]
	s_delay_alu instid0(VALU_DEP_2) | instskip(SKIP_2) | instid1(VALU_DEP_2)
	v_fma_f64 v[7:8], v[9:10], v[7:8], s[6:7]
	s_mov_b32 s6, 0xb55b1514
	s_mov_b32 s7, 0x3fe8ea18
	v_add_f64 v[13:14], v[13:14], s[8:9]
	s_delay_alu instid0(VALU_DEP_2) | instskip(NEXT) | instid1(VALU_DEP_2)
	v_fma_f64 v[7:8], v[9:10], v[7:8], 1.0
	v_fma_f64 v[5:6], v[5:6], v[13:14], -v[3:4]
	s_delay_alu instid0(VALU_DEP_2) | instskip(NEXT) | instid1(VALU_DEP_2)
	v_fma_f64 v[7:8], v[9:10], v[7:8], 1.0
	v_add_f64 v[9:10], v[5:6], s[6:7]
                                        ; implicit-def: $vgpr5_vgpr6
	v_cmpx_ngt_f64_e32 0, v[1:2]
	s_xor_b32 s3, exec_lo, s3
	s_cbranch_execz .LBB7_209
; %bb.208:
	v_cmp_gt_f64_e64 s6, 0x10000000, |v[1:2]|
	s_delay_alu instid0(VALU_DEP_4) | instskip(SKIP_2) | instid1(VALU_DEP_4)
	v_ldexp_f64 v[7:8], v[7:8], v11
	v_cmp_nlt_f64_e64 vcc_lo, 0x40900000, |v[1:2]|
	v_add_f64 v[3:4], v[9:10], -v[3:4]
	v_cndmask_b32_e64 v5, 0, 1, s6
	v_cndmask_b32_e64 v9, 0, 0xffffff80, s6
	v_cndmask_b32_e32 v8, 0x7ff00000, v8, vcc_lo
	s_delay_alu instid0(VALU_DEP_4) | instskip(NEXT) | instid1(VALU_DEP_4)
	v_mul_f64 v[3:4], v[3:4], 0.5
	v_lshlrev_b32_e32 v5, 8, v5
	s_delay_alu instid0(VALU_DEP_1) | instskip(NEXT) | instid1(VALU_DEP_1)
	v_ldexp_f64 v[5:6], |v[1:2]|, v5
	v_rsq_f64_e32 v[12:13], v[5:6]
	s_waitcnt_depctr 0xfff
	v_mul_f64 v[14:15], v[5:6], v[12:13]
	v_mul_f64 v[12:13], v[12:13], 0.5
	s_delay_alu instid0(VALU_DEP_1) | instskip(NEXT) | instid1(VALU_DEP_1)
	v_fma_f64 v[16:17], -v[12:13], v[14:15], 0.5
	v_fma_f64 v[14:15], v[14:15], v[16:17], v[14:15]
	v_fma_f64 v[12:13], v[12:13], v[16:17], v[12:13]
	s_delay_alu instid0(VALU_DEP_2) | instskip(NEXT) | instid1(VALU_DEP_1)
	v_fma_f64 v[16:17], -v[14:15], v[14:15], v[5:6]
	v_fma_f64 v[14:15], v[16:17], v[12:13], v[14:15]
	s_delay_alu instid0(VALU_DEP_1) | instskip(NEXT) | instid1(VALU_DEP_1)
	v_fma_f64 v[16:17], -v[14:15], v[14:15], v[5:6]
	v_fma_f64 v[1:2], v[16:17], v[12:13], v[14:15]
	s_delay_alu instid0(VALU_DEP_1) | instskip(SKIP_2) | instid1(VALU_DEP_3)
	v_ldexp_f64 v[1:2], v[1:2], v9
	v_cndmask_b32_e32 v7, 0, v7, vcc_lo
	v_cmp_class_f64_e64 vcc_lo, v[5:6], 0x260
	v_cndmask_b32_e32 v2, v2, v6, vcc_lo
	s_delay_alu instid0(VALU_DEP_3) | instskip(SKIP_1) | instid1(VALU_DEP_1)
	v_mul_f64 v[3:4], v[7:8], v[3:4]
	v_cndmask_b32_e32 v1, v1, v5, vcc_lo
	v_div_scale_f64 v[5:6], null, v[1:2], v[1:2], v[3:4]
	s_delay_alu instid0(VALU_DEP_1) | instskip(SKIP_2) | instid1(VALU_DEP_1)
	v_rcp_f64_e32 v[7:8], v[5:6]
	s_waitcnt_depctr 0xfff
	v_fma_f64 v[9:10], -v[5:6], v[7:8], 1.0
	v_fma_f64 v[7:8], v[7:8], v[9:10], v[7:8]
	s_delay_alu instid0(VALU_DEP_1) | instskip(NEXT) | instid1(VALU_DEP_1)
	v_fma_f64 v[9:10], -v[5:6], v[7:8], 1.0
	v_fma_f64 v[7:8], v[7:8], v[9:10], v[7:8]
	v_div_scale_f64 v[9:10], vcc_lo, v[3:4], v[1:2], v[3:4]
	s_delay_alu instid0(VALU_DEP_1) | instskip(NEXT) | instid1(VALU_DEP_1)
	v_mul_f64 v[11:12], v[9:10], v[7:8]
	v_fma_f64 v[5:6], -v[5:6], v[11:12], v[9:10]
                                        ; implicit-def: $vgpr9_vgpr10
	s_delay_alu instid0(VALU_DEP_1) | instskip(NEXT) | instid1(VALU_DEP_1)
	v_div_fmas_f64 v[5:6], v[5:6], v[7:8], v[11:12]
                                        ; implicit-def: $vgpr7_vgpr8
                                        ; implicit-def: $vgpr11
	v_div_fixup_f64 v[5:6], v[5:6], v[1:2], v[3:4]
                                        ; implicit-def: $vgpr3_vgpr4
                                        ; implicit-def: $vgpr1_vgpr2
.LBB7_209:
	s_and_not1_saveexec_b32 s3, s3
	s_cbranch_execz .LBB7_211
; %bb.210:
	v_cmp_gt_f64_e64 s6, 0x10000000, |v[1:2]|
	s_delay_alu instid0(VALU_DEP_4) | instskip(SKIP_2) | instid1(VALU_DEP_4)
	v_ldexp_f64 v[7:8], -v[7:8], v11
	v_cmp_nlt_f64_e64 vcc_lo, 0x40900000, |v[1:2]|
	v_add_f64 v[3:4], v[9:10], -v[3:4]
	v_cndmask_b32_e64 v5, 0, 1, s6
	v_cndmask_b32_e64 v9, 0, 0xffffff80, s6
	v_cndmask_b32_e32 v8, 0xfff00000, v8, vcc_lo
	s_delay_alu instid0(VALU_DEP_4) | instskip(NEXT) | instid1(VALU_DEP_4)
	v_mul_f64 v[3:4], v[3:4], 0.5
	v_lshlrev_b32_e32 v5, 8, v5
	s_delay_alu instid0(VALU_DEP_1) | instskip(NEXT) | instid1(VALU_DEP_1)
	v_ldexp_f64 v[5:6], |v[1:2]|, v5
	v_rsq_f64_e32 v[12:13], v[5:6]
	s_waitcnt_depctr 0xfff
	v_mul_f64 v[14:15], v[5:6], v[12:13]
	v_mul_f64 v[12:13], v[12:13], 0.5
	s_delay_alu instid0(VALU_DEP_1) | instskip(NEXT) | instid1(VALU_DEP_1)
	v_fma_f64 v[16:17], -v[12:13], v[14:15], 0.5
	v_fma_f64 v[14:15], v[14:15], v[16:17], v[14:15]
	v_fma_f64 v[12:13], v[12:13], v[16:17], v[12:13]
	s_delay_alu instid0(VALU_DEP_2) | instskip(NEXT) | instid1(VALU_DEP_1)
	v_fma_f64 v[16:17], -v[14:15], v[14:15], v[5:6]
	v_fma_f64 v[14:15], v[16:17], v[12:13], v[14:15]
	s_delay_alu instid0(VALU_DEP_1) | instskip(NEXT) | instid1(VALU_DEP_1)
	v_fma_f64 v[16:17], -v[14:15], v[14:15], v[5:6]
	v_fma_f64 v[1:2], v[16:17], v[12:13], v[14:15]
	s_delay_alu instid0(VALU_DEP_1) | instskip(SKIP_2) | instid1(VALU_DEP_3)
	v_ldexp_f64 v[1:2], v[1:2], v9
	v_cndmask_b32_e32 v7, 0, v7, vcc_lo
	v_cmp_class_f64_e64 vcc_lo, v[5:6], 0x260
	v_cndmask_b32_e32 v2, v2, v6, vcc_lo
	s_delay_alu instid0(VALU_DEP_3) | instskip(SKIP_1) | instid1(VALU_DEP_1)
	v_mul_f64 v[3:4], v[7:8], v[3:4]
	v_cndmask_b32_e32 v1, v1, v5, vcc_lo
	v_div_scale_f64 v[5:6], null, v[1:2], v[1:2], v[3:4]
	s_delay_alu instid0(VALU_DEP_1) | instskip(SKIP_2) | instid1(VALU_DEP_1)
	v_rcp_f64_e32 v[7:8], v[5:6]
	s_waitcnt_depctr 0xfff
	v_fma_f64 v[9:10], -v[5:6], v[7:8], 1.0
	v_fma_f64 v[7:8], v[7:8], v[9:10], v[7:8]
	s_delay_alu instid0(VALU_DEP_1) | instskip(NEXT) | instid1(VALU_DEP_1)
	v_fma_f64 v[9:10], -v[5:6], v[7:8], 1.0
	v_fma_f64 v[7:8], v[7:8], v[9:10], v[7:8]
	v_div_scale_f64 v[9:10], vcc_lo, v[3:4], v[1:2], v[3:4]
	s_delay_alu instid0(VALU_DEP_1) | instskip(NEXT) | instid1(VALU_DEP_1)
	v_mul_f64 v[11:12], v[9:10], v[7:8]
	v_fma_f64 v[5:6], -v[5:6], v[11:12], v[9:10]
	s_delay_alu instid0(VALU_DEP_1) | instskip(NEXT) | instid1(VALU_DEP_1)
	v_div_fmas_f64 v[5:6], v[5:6], v[7:8], v[11:12]
	v_div_fixup_f64 v[5:6], v[5:6], v[1:2], v[3:4]
.LBB7_211:
	s_or_b32 exec_lo, exec_lo, s3
.LBB7_212:
	s_delay_alu instid0(SALU_CYCLE_1)
	s_or_b32 exec_lo, exec_lo, s2
	global_store_b64 v0, v[5:6], s[4:5]
	s_or_b32 exec_lo, exec_lo, s20
                                        ; implicit-def: $vgpr6
                                        ; implicit-def: $vgpr11
	s_and_not1_saveexec_b32 s2, s25
	s_cbranch_execz .LBB7_166
	s_branch .LBB7_8
	.section	.rodata,"a",@progbits
	.p2align	6, 0x0
	.amdhsa_kernel _ZN2at6native32elementwise_kernel_manual_unrollILi128ELi4EZNS0_22gpu_kernel_impl_nocastIZZZNS0_12_GLOBAL__N_130modified_bessel_i1_kernel_cudaERNS_18TensorIteratorBaseEENKUlvE_clEvENKUlvE_clEvEUldE_EEvS5_RKT_EUlibE_EEviT1_
		.amdhsa_group_segment_fixed_size 0
		.amdhsa_private_segment_fixed_size 0
		.amdhsa_kernarg_size 360
		.amdhsa_user_sgpr_count 15
		.amdhsa_user_sgpr_dispatch_ptr 0
		.amdhsa_user_sgpr_queue_ptr 0
		.amdhsa_user_sgpr_kernarg_segment_ptr 1
		.amdhsa_user_sgpr_dispatch_id 0
		.amdhsa_user_sgpr_private_segment_size 0
		.amdhsa_wavefront_size32 1
		.amdhsa_uses_dynamic_stack 0
		.amdhsa_enable_private_segment 0
		.amdhsa_system_sgpr_workgroup_id_x 1
		.amdhsa_system_sgpr_workgroup_id_y 0
		.amdhsa_system_sgpr_workgroup_id_z 0
		.amdhsa_system_sgpr_workgroup_info 0
		.amdhsa_system_vgpr_workitem_id 0
		.amdhsa_next_free_vgpr 26
		.amdhsa_next_free_sgpr 56
		.amdhsa_reserve_vcc 1
		.amdhsa_float_round_mode_32 0
		.amdhsa_float_round_mode_16_64 0
		.amdhsa_float_denorm_mode_32 3
		.amdhsa_float_denorm_mode_16_64 3
		.amdhsa_dx10_clamp 1
		.amdhsa_ieee_mode 1
		.amdhsa_fp16_overflow 0
		.amdhsa_workgroup_processor_mode 1
		.amdhsa_memory_ordered 1
		.amdhsa_forward_progress 0
		.amdhsa_shared_vgpr_count 0
		.amdhsa_exception_fp_ieee_invalid_op 0
		.amdhsa_exception_fp_denorm_src 0
		.amdhsa_exception_fp_ieee_div_zero 0
		.amdhsa_exception_fp_ieee_overflow 0
		.amdhsa_exception_fp_ieee_underflow 0
		.amdhsa_exception_fp_ieee_inexact 0
		.amdhsa_exception_int_div_zero 0
	.end_amdhsa_kernel
	.section	.text._ZN2at6native32elementwise_kernel_manual_unrollILi128ELi4EZNS0_22gpu_kernel_impl_nocastIZZZNS0_12_GLOBAL__N_130modified_bessel_i1_kernel_cudaERNS_18TensorIteratorBaseEENKUlvE_clEvENKUlvE_clEvEUldE_EEvS5_RKT_EUlibE_EEviT1_,"axG",@progbits,_ZN2at6native32elementwise_kernel_manual_unrollILi128ELi4EZNS0_22gpu_kernel_impl_nocastIZZZNS0_12_GLOBAL__N_130modified_bessel_i1_kernel_cudaERNS_18TensorIteratorBaseEENKUlvE_clEvENKUlvE_clEvEUldE_EEvS5_RKT_EUlibE_EEviT1_,comdat
.Lfunc_end7:
	.size	_ZN2at6native32elementwise_kernel_manual_unrollILi128ELi4EZNS0_22gpu_kernel_impl_nocastIZZZNS0_12_GLOBAL__N_130modified_bessel_i1_kernel_cudaERNS_18TensorIteratorBaseEENKUlvE_clEvENKUlvE_clEvEUldE_EEvS5_RKT_EUlibE_EEviT1_, .Lfunc_end7-_ZN2at6native32elementwise_kernel_manual_unrollILi128ELi4EZNS0_22gpu_kernel_impl_nocastIZZZNS0_12_GLOBAL__N_130modified_bessel_i1_kernel_cudaERNS_18TensorIteratorBaseEENKUlvE_clEvENKUlvE_clEvEUldE_EEvS5_RKT_EUlibE_EEviT1_
                                        ; -- End function
	.section	.AMDGPU.csdata,"",@progbits
; Kernel info:
; codeLenInByte = 39288
; NumSgprs: 58
; NumVgprs: 26
; ScratchSize: 0
; MemoryBound: 0
; FloatMode: 240
; IeeeMode: 1
; LDSByteSize: 0 bytes/workgroup (compile time only)
; SGPRBlocks: 7
; VGPRBlocks: 3
; NumSGPRsForWavesPerEU: 58
; NumVGPRsForWavesPerEU: 26
; Occupancy: 16
; WaveLimiterHint : 1
; COMPUTE_PGM_RSRC2:SCRATCH_EN: 0
; COMPUTE_PGM_RSRC2:USER_SGPR: 15
; COMPUTE_PGM_RSRC2:TRAP_HANDLER: 0
; COMPUTE_PGM_RSRC2:TGID_X_EN: 1
; COMPUTE_PGM_RSRC2:TGID_Y_EN: 0
; COMPUTE_PGM_RSRC2:TGID_Z_EN: 0
; COMPUTE_PGM_RSRC2:TIDIG_COMP_CNT: 0
	.section	.text._ZN2at6native32elementwise_kernel_manual_unrollILi128ELi4EZNS0_15gpu_kernel_implIZZZNS0_12_GLOBAL__N_130modified_bessel_i1_kernel_cudaERNS_18TensorIteratorBaseEENKUlvE_clEvENKUlvE_clEvEUldE_EEvS5_RKT_EUlibE_EEviT1_,"axG",@progbits,_ZN2at6native32elementwise_kernel_manual_unrollILi128ELi4EZNS0_15gpu_kernel_implIZZZNS0_12_GLOBAL__N_130modified_bessel_i1_kernel_cudaERNS_18TensorIteratorBaseEENKUlvE_clEvENKUlvE_clEvEUldE_EEvS5_RKT_EUlibE_EEviT1_,comdat
	.globl	_ZN2at6native32elementwise_kernel_manual_unrollILi128ELi4EZNS0_15gpu_kernel_implIZZZNS0_12_GLOBAL__N_130modified_bessel_i1_kernel_cudaERNS_18TensorIteratorBaseEENKUlvE_clEvENKUlvE_clEvEUldE_EEvS5_RKT_EUlibE_EEviT1_ ; -- Begin function _ZN2at6native32elementwise_kernel_manual_unrollILi128ELi4EZNS0_15gpu_kernel_implIZZZNS0_12_GLOBAL__N_130modified_bessel_i1_kernel_cudaERNS_18TensorIteratorBaseEENKUlvE_clEvENKUlvE_clEvEUldE_EEvS5_RKT_EUlibE_EEviT1_
	.p2align	8
	.type	_ZN2at6native32elementwise_kernel_manual_unrollILi128ELi4EZNS0_15gpu_kernel_implIZZZNS0_12_GLOBAL__N_130modified_bessel_i1_kernel_cudaERNS_18TensorIteratorBaseEENKUlvE_clEvENKUlvE_clEvEUldE_EEvS5_RKT_EUlibE_EEviT1_,@function
_ZN2at6native32elementwise_kernel_manual_unrollILi128ELi4EZNS0_15gpu_kernel_implIZZZNS0_12_GLOBAL__N_130modified_bessel_i1_kernel_cudaERNS_18TensorIteratorBaseEENKUlvE_clEvENKUlvE_clEvEUldE_EEvS5_RKT_EUlibE_EEviT1_: ; @_ZN2at6native32elementwise_kernel_manual_unrollILi128ELi4EZNS0_15gpu_kernel_implIZZZNS0_12_GLOBAL__N_130modified_bessel_i1_kernel_cudaERNS_18TensorIteratorBaseEENKUlvE_clEvENKUlvE_clEvEUldE_EEvS5_RKT_EUlibE_EEviT1_
; %bb.0:
	v_mov_b32_e32 v1, 0
	s_clause 0x2
	s_load_b32 s11, s[0:1], 0x0
	s_load_b64 s[2:3], s[0:1], 0x18
	s_load_b128 s[4:7], s[0:1], 0x8
	v_lshl_or_b32 v15, s15, 9, v0
	s_mov_b32 s8, 0
	s_mov_b32 s10, 0
	global_load_u16 v14, v1, s[0:1] offset:33
	s_mov_b32 s0, exec_lo
	v_or_b32_e32 v0, 0x180, v15
	s_waitcnt vmcnt(0)
	v_lshrrev_b16 v16, 8, v14
	s_waitcnt lgkmcnt(0)
	s_delay_alu instid0(VALU_DEP_2)
	v_cmpx_le_i32_e64 s11, v0
	s_xor_b32 s9, exec_lo, s0
	s_cbranch_execz .LBB8_1080
; %bb.1:
	s_mov_b32 s1, -1
	s_mov_b32 s14, 0
	s_mov_b32 s12, 0
	s_mov_b32 s13, exec_lo
	v_cmpx_gt_i32_e64 s11, v15
	s_cbranch_execz .LBB8_263
; %bb.2:
	v_mul_lo_u32 v0, v15, s3
	v_cmp_gt_i16_e32 vcc_lo, 11, v16
	s_delay_alu instid0(VALU_DEP_2) | instskip(SKIP_1) | instid1(VALU_DEP_1)
	v_ashrrev_i32_e32 v1, 31, v0
	v_add_co_u32 v0, s0, s6, v0
	v_add_co_ci_u32_e64 v1, s0, s7, v1, s0
	s_cbranch_vccnz .LBB8_9
; %bb.3:
	v_cmp_lt_i16_e32 vcc_lo, 25, v16
	s_cbranch_vccz .LBB8_30
; %bb.4:
	v_cmp_lt_i16_e32 vcc_lo, 28, v16
	s_cbranch_vccz .LBB8_33
	;; [unrolled: 3-line block ×4, first 2 shown]
; %bb.7:
	v_cmp_eq_u16_e32 vcc_lo, 46, v16
	s_mov_b32 s1, 0
	s_cbranch_vccz .LBB8_38
; %bb.8:
	global_load_b32 v2, v[0:1], off
	s_mov_b32 s0, -1
	s_waitcnt vmcnt(0)
	v_lshlrev_b32_e32 v2, 16, v2
	s_delay_alu instid0(VALU_DEP_1)
	v_cvt_f64_f32_e32 v[2:3], v2
	s_branch .LBB8_40
.LBB8_9:
	s_mov_b32 s0, 0
                                        ; implicit-def: $vgpr2_vgpr3
	s_and_b32 vcc_lo, exec_lo, s1
	s_cbranch_vccnz .LBB8_213
.LBB8_10:
	s_and_not1_b32 vcc_lo, exec_lo, s0
	s_cbranch_vccnz .LBB8_260
.LBB8_11:
	s_waitcnt vmcnt(0)
	s_delay_alu instid0(VALU_DEP_1) | instskip(NEXT) | instid1(VALU_DEP_1)
	v_cmp_ge_f64_e64 s0, 0x40200000, |v[2:3]|
                                        ; implicit-def: $vgpr0_vgpr1
	s_and_saveexec_b32 s1, s0
	s_delay_alu instid0(SALU_CYCLE_1)
	s_xor_b32 s0, exec_lo, s1
	s_cbranch_execz .LBB8_17
; %bb.12:
	v_fma_f64 v[0:1], |v[2:3]|, 0.5, -2.0
	s_mov_b32 s16, 0xc38a0576
	s_mov_b32 s17, 0xbc7857d0
	s_mov_b32 s19, 0x3c499f2a
	s_mov_b32 s18, 0xc3c4014
	s_mov_b32 s1, exec_lo
	s_delay_alu instid0(VALU_DEP_1) | instskip(SKIP_3) | instid1(VALU_DEP_1)
	v_fma_f64 v[4:5], v[0:1], s[18:19], s[16:17]
	s_mov_b32 s19, 0xbc499f2a
	s_mov_b32 s16, 0xe593bfac
	;; [unrolled: 1-line block ×3, first 2 shown]
	v_fma_f64 v[6:7], v[0:1], v[4:5], s[18:19]
	s_delay_alu instid0(VALU_DEP_1) | instskip(SKIP_2) | instid1(VALU_DEP_1)
	v_add_f64 v[6:7], v[6:7], s[16:17]
	s_mov_b32 s16, 0x7e0d1573
	s_mov_b32 s17, 0xbcd3eaaa
	v_fma_f64 v[4:5], v[0:1], v[6:7], -v[4:5]
	s_delay_alu instid0(VALU_DEP_1) | instskip(SKIP_2) | instid1(VALU_DEP_1)
	v_add_f64 v[4:5], v[4:5], s[16:17]
	s_mov_b32 s16, 0x615290c
	s_mov_b32 s17, 0x3d011d7f
	v_fma_f64 v[6:7], v[0:1], v[4:5], -v[6:7]
	;; [unrolled: 5-line block ×26, first 2 shown]
	s_delay_alu instid0(VALU_DEP_1) | instskip(NEXT) | instid1(VALU_DEP_1)
	v_add_f64 v[0:1], v[0:1], s[16:17]
	v_add_f64 v[4:5], v[0:1], -v[6:7]
                                        ; implicit-def: $vgpr0_vgpr1
	v_cmpx_ngt_f64_e32 0, v[2:3]
	s_xor_b32 s1, exec_lo, s1
	s_cbranch_execz .LBB8_14
; %bb.13:
	s_mov_b32 s16, 0x652b82fe
	s_mov_b32 s17, 0x3ff71547
	;; [unrolled: 1-line block ×3, first 2 shown]
	v_mul_f64 v[0:1], |v[2:3]|, s[16:17]
	s_mov_b32 s16, 0xfefa39ef
	s_mov_b32 s17, 0xbfe62e42
	;; [unrolled: 1-line block ×3, first 2 shown]
	s_delay_alu instid0(VALU_DEP_3) | instskip(SKIP_1) | instid1(VALU_DEP_3)
	v_mul_f64 v[4:5], v[4:5], 0.5
	v_cmp_nlt_f64_e64 vcc_lo, 0x40900000, |v[2:3]|
	v_rndne_f64_e32 v[0:1], v[0:1]
	s_delay_alu instid0(VALU_DEP_1) | instskip(SKIP_4) | instid1(VALU_DEP_3)
	v_fma_f64 v[6:7], v[0:1], s[16:17], |v[2:3]|
	s_mov_b32 s16, 0x3b39803f
	s_mov_b32 s17, 0xbc7abc9e
	v_cvt_i32_f64_e32 v10, v[0:1]
	v_mul_f64 v[2:3], |v[2:3]|, v[4:5]
                                        ; implicit-def: $vgpr4_vgpr5
	v_fma_f64 v[6:7], v[0:1], s[16:17], v[6:7]
	s_mov_b32 s16, 0xfca7ab0c
	s_mov_b32 s17, 0x3e928af3
	s_delay_alu instid0(VALU_DEP_1) | instid1(SALU_CYCLE_1)
	v_fma_f64 v[8:9], v[6:7], s[18:19], s[16:17]
	s_mov_b32 s16, 0x623fde64
	s_mov_b32 s17, 0x3ec71dee
	s_delay_alu instid0(VALU_DEP_1) | instid1(SALU_CYCLE_1)
	;; [unrolled: 4-line block ×9, first 2 shown]
	v_fma_f64 v[8:9], v[6:7], v[8:9], s[16:17]
	s_delay_alu instid0(VALU_DEP_1) | instskip(NEXT) | instid1(VALU_DEP_1)
	v_fma_f64 v[8:9], v[6:7], v[8:9], 1.0
	v_fma_f64 v[0:1], v[6:7], v[8:9], 1.0
	s_delay_alu instid0(VALU_DEP_1) | instskip(NEXT) | instid1(VALU_DEP_1)
	v_ldexp_f64 v[0:1], v[0:1], v10
	v_cndmask_b32_e32 v1, 0x7ff00000, v1, vcc_lo
	s_delay_alu instid0(VALU_DEP_2) | instskip(NEXT) | instid1(VALU_DEP_1)
	v_cndmask_b32_e32 v0, 0, v0, vcc_lo
	v_mul_f64 v[0:1], v[0:1], v[2:3]
                                        ; implicit-def: $vgpr2_vgpr3
.LBB8_14:
	s_and_not1_saveexec_b32 s1, s1
	s_cbranch_execz .LBB8_16
; %bb.15:
	s_mov_b32 s16, 0x652b82fe
	s_mov_b32 s17, 0x3ff71547
	s_mov_b32 s18, 0x6a5dcb37
	v_mul_f64 v[0:1], |v[2:3]|, s[16:17]
	s_mov_b32 s16, 0xfefa39ef
	s_mov_b32 s17, 0xbfe62e42
	;; [unrolled: 1-line block ×3, first 2 shown]
	s_delay_alu instid0(VALU_DEP_3) | instskip(SKIP_1) | instid1(VALU_DEP_3)
	v_mul_f64 v[4:5], v[4:5], -0.5
	v_cmp_nlt_f64_e64 vcc_lo, 0x40900000, |v[2:3]|
	v_rndne_f64_e32 v[0:1], v[0:1]
	s_delay_alu instid0(VALU_DEP_1) | instskip(SKIP_4) | instid1(VALU_DEP_3)
	v_fma_f64 v[6:7], v[0:1], s[16:17], |v[2:3]|
	s_mov_b32 s16, 0x3b39803f
	s_mov_b32 s17, 0xbc7abc9e
	v_cvt_i32_f64_e32 v10, v[0:1]
	v_mul_f64 v[2:3], |v[2:3]|, v[4:5]
	v_fma_f64 v[6:7], v[0:1], s[16:17], v[6:7]
	s_mov_b32 s16, 0xfca7ab0c
	s_mov_b32 s17, 0x3e928af3
	s_delay_alu instid0(VALU_DEP_1) | instid1(SALU_CYCLE_1)
	v_fma_f64 v[8:9], v[6:7], s[18:19], s[16:17]
	s_mov_b32 s16, 0x623fde64
	s_mov_b32 s17, 0x3ec71dee
	s_delay_alu instid0(VALU_DEP_1) | instid1(SALU_CYCLE_1)
	;; [unrolled: 4-line block ×9, first 2 shown]
	v_fma_f64 v[8:9], v[6:7], v[8:9], s[16:17]
	s_delay_alu instid0(VALU_DEP_1) | instskip(NEXT) | instid1(VALU_DEP_1)
	v_fma_f64 v[8:9], v[6:7], v[8:9], 1.0
	v_fma_f64 v[0:1], v[6:7], v[8:9], 1.0
	s_delay_alu instid0(VALU_DEP_1) | instskip(NEXT) | instid1(VALU_DEP_1)
	v_ldexp_f64 v[0:1], v[0:1], v10
	v_cndmask_b32_e32 v1, 0x7ff00000, v1, vcc_lo
	s_delay_alu instid0(VALU_DEP_2) | instskip(NEXT) | instid1(VALU_DEP_1)
	v_cndmask_b32_e32 v0, 0, v0, vcc_lo
	v_mul_f64 v[0:1], v[0:1], v[2:3]
.LBB8_16:
	s_or_b32 exec_lo, exec_lo, s1
                                        ; implicit-def: $vgpr2_vgpr3
.LBB8_17:
	s_and_not1_saveexec_b32 s0, s0
	s_cbranch_execz .LBB8_23
; %bb.18:
	v_dual_mov_b32 v0, v2 :: v_dual_and_b32 v1, 0x7fffffff, v3
	s_mov_b32 s16, 0xea87b950
	s_mov_b32 s17, 0x3c545b8a
	;; [unrolled: 1-line block ×4, first 2 shown]
	v_div_scale_f64 v[4:5], null, v[0:1], v[0:1], 0x40400000
	v_div_scale_f64 v[0:1], vcc_lo, 0x40400000, v[0:1], 0x40400000
	s_mov_b32 s20, 0x94bb46c1
	s_mov_b32 s21, 0xbe5c4153
	s_mov_b32 s1, exec_lo
	s_delay_alu instid0(VALU_DEP_2) | instskip(SKIP_2) | instid1(VALU_DEP_1)
	v_rcp_f64_e32 v[6:7], v[4:5]
	s_waitcnt_depctr 0xfff
	v_fma_f64 v[8:9], -v[4:5], v[6:7], 1.0
	v_fma_f64 v[6:7], v[6:7], v[8:9], v[6:7]
	s_delay_alu instid0(VALU_DEP_1) | instskip(NEXT) | instid1(VALU_DEP_1)
	v_fma_f64 v[8:9], -v[4:5], v[6:7], 1.0
	v_fma_f64 v[6:7], v[6:7], v[8:9], v[6:7]
	s_delay_alu instid0(VALU_DEP_1) | instskip(NEXT) | instid1(VALU_DEP_1)
	v_mul_f64 v[8:9], v[0:1], v[6:7]
	v_fma_f64 v[0:1], -v[4:5], v[8:9], v[0:1]
	s_delay_alu instid0(VALU_DEP_1) | instskip(NEXT) | instid1(VALU_DEP_1)
	v_div_fmas_f64 v[0:1], v[0:1], v[6:7], v[8:9]
	v_div_fixup_f64 v[0:1], v[0:1], |v[2:3]|, 0x40400000
	s_delay_alu instid0(VALU_DEP_1) | instskip(NEXT) | instid1(VALU_DEP_1)
	v_add_f64 v[0:1], v[0:1], -2.0
	v_fma_f64 v[4:5], v[0:1], s[18:19], s[16:17]
	s_mov_b32 s19, 0xbc61556d
	s_mov_b32 s16, 0xb2532277
	;; [unrolled: 1-line block ×3, first 2 shown]
	s_delay_alu instid0(VALU_DEP_1) | instskip(SKIP_2) | instid1(VALU_DEP_1)
	v_fma_f64 v[6:7], v[0:1], v[4:5], s[18:19]
	s_mov_b32 s18, 0x5423dd80
	s_mov_b32 s19, 0xbe0334ca
	v_add_f64 v[6:7], v[6:7], s[16:17]
	s_mov_b32 s16, 0x9c773320
	s_mov_b32 s17, 0xbc82806c
	s_delay_alu instid0(VALU_DEP_1) | instskip(NEXT) | instid1(VALU_DEP_1)
	v_fma_f64 v[4:5], v[0:1], v[6:7], -v[4:5]
	v_add_f64 v[4:5], v[4:5], s[16:17]
	s_mov_b32 s16, 0xfceb588a
	s_mov_b32 s17, 0x3cb55915
	s_delay_alu instid0(VALU_DEP_1) | instskip(NEXT) | instid1(VALU_DEP_1)
	v_fma_f64 v[6:7], v[0:1], v[4:5], -v[6:7]
	;; [unrolled: 5-line block ×14, first 2 shown]
	v_add_f64 v[6:7], v[6:7], s[16:17]
	s_mov_b32 s16, 0x652b82fe
	s_mov_b32 s17, 0x3ff71547
	s_delay_alu instid0(SALU_CYCLE_1) | instskip(SKIP_2) | instid1(VALU_DEP_2)
	v_mul_f64 v[8:9], |v[2:3]|, s[16:17]
	s_mov_b32 s16, 0xfefa39ef
	s_mov_b32 s17, 0xbfe62e42
	v_fma_f64 v[4:5], v[0:1], v[6:7], -v[4:5]
	s_delay_alu instid0(VALU_DEP_2) | instskip(NEXT) | instid1(VALU_DEP_2)
	v_rndne_f64_e32 v[10:11], v[8:9]
	v_add_f64 v[4:5], v[4:5], s[18:19]
	s_mov_b32 s18, 0x9ad53528
	s_mov_b32 s19, 0xbe30790b
	s_delay_alu instid0(VALU_DEP_2) | instskip(SKIP_2) | instid1(VALU_DEP_2)
	v_fma_f64 v[8:9], v[10:11], s[16:17], |v[2:3]|
	s_mov_b32 s16, 0x3b39803f
	s_mov_b32 s17, 0xbc7abc9e
	v_fma_f64 v[6:7], v[0:1], v[4:5], -v[6:7]
	s_delay_alu instid0(VALU_DEP_2) | instskip(SKIP_3) | instid1(VALU_DEP_3)
	v_fma_f64 v[8:9], v[10:11], s[16:17], v[8:9]
	s_mov_b32 s16, 0xfca7ab0c
	s_mov_b32 s17, 0x3e928af3
	v_cvt_i32_f64_e32 v10, v[10:11]
	v_add_f64 v[6:7], v[6:7], s[18:19]
	s_mov_b32 s18, 0x6a5dcb37
	s_mov_b32 s19, 0x3e5ade15
	s_delay_alu instid0(VALU_DEP_3) | instid1(SALU_CYCLE_1)
	v_fma_f64 v[12:13], v[8:9], s[18:19], s[16:17]
	s_mov_b32 s16, 0x623fde64
	s_mov_b32 s17, 0x3ec71dee
	;; [unrolled: 1-line block ×4, first 2 shown]
	s_delay_alu instid0(VALU_DEP_2) | instskip(NEXT) | instid1(VALU_DEP_2)
	v_fma_f64 v[4:5], v[0:1], v[6:7], -v[4:5]
	v_fma_f64 v[12:13], v[8:9], v[12:13], s[16:17]
	s_mov_b32 s16, 0x7c89e6b0
	s_mov_b32 s17, 0x3efa0199
	s_delay_alu instid0(VALU_DEP_2) | instskip(NEXT) | instid1(VALU_DEP_2)
	v_add_f64 v[4:5], v[4:5], s[20:21]
	v_fma_f64 v[12:13], v[8:9], v[12:13], s[16:17]
	s_mov_b32 s16, 0x14761f6e
	s_mov_b32 s17, 0x3f2a01a0
	s_delay_alu instid0(VALU_DEP_2) | instskip(NEXT) | instid1(VALU_DEP_2)
	v_fma_f64 v[6:7], v[0:1], v[4:5], -v[6:7]
	v_fma_f64 v[12:13], v[8:9], v[12:13], s[16:17]
	s_mov_b32 s16, 0x1852b7b0
	s_mov_b32 s17, 0x3f56c16c
	s_delay_alu instid0(VALU_DEP_2) | instskip(SKIP_2) | instid1(VALU_DEP_2)
	v_add_f64 v[6:7], v[6:7], s[18:19]
	s_mov_b32 s18, 0x49ca0373
	s_mov_b32 s19, 0xbed048df
	v_fma_f64 v[12:13], v[8:9], v[12:13], s[16:17]
	s_mov_b32 s16, 0x11122322
	s_mov_b32 s17, 0x3f811111
	s_delay_alu instid0(VALU_DEP_2) | instskip(NEXT) | instid1(VALU_DEP_1)
	v_fma_f64 v[4:5], v[0:1], v[6:7], -v[4:5]
	v_add_f64 v[17:18], v[4:5], s[18:19]
	s_delay_alu instid0(VALU_DEP_3) | instskip(SKIP_4) | instid1(VALU_DEP_2)
	v_fma_f64 v[4:5], v[8:9], v[12:13], s[16:17]
	s_mov_b32 s16, 0x555502a1
	s_mov_b32 s18, 0x804aa9a6
	;; [unrolled: 1-line block ×4, first 2 shown]
	v_fma_f64 v[6:7], v[0:1], v[17:18], -v[6:7]
	s_delay_alu instid0(VALU_DEP_2) | instskip(SKIP_2) | instid1(VALU_DEP_2)
	v_fma_f64 v[12:13], v[8:9], v[4:5], s[16:17]
	s_mov_b32 s16, 0x55555511
	s_mov_b32 s17, 0x3fc55555
	v_add_f64 v[4:5], v[6:7], s[18:19]
	s_delay_alu instid0(VALU_DEP_2) | instskip(SKIP_4) | instid1(VALU_DEP_2)
	v_fma_f64 v[6:7], v[8:9], v[12:13], s[16:17]
	s_mov_b32 s16, 11
	s_mov_b32 s18, 0x53fcdb4c
	;; [unrolled: 1-line block ×4, first 2 shown]
	v_fma_f64 v[12:13], v[0:1], v[4:5], -v[17:18]
	s_delay_alu instid0(VALU_DEP_2) | instskip(SKIP_2) | instid1(VALU_DEP_2)
	v_fma_f64 v[6:7], v[8:9], v[6:7], s[16:17]
	s_mov_b32 s16, 0xb55b1514
	s_mov_b32 s17, 0x3fe8ea18
	v_add_f64 v[12:13], v[12:13], s[18:19]
	s_delay_alu instid0(VALU_DEP_2) | instskip(NEXT) | instid1(VALU_DEP_2)
	v_fma_f64 v[6:7], v[8:9], v[6:7], 1.0
	v_fma_f64 v[0:1], v[0:1], v[12:13], -v[4:5]
	s_delay_alu instid0(VALU_DEP_2) | instskip(NEXT) | instid1(VALU_DEP_2)
	v_fma_f64 v[6:7], v[8:9], v[6:7], 1.0
	v_add_f64 v[8:9], v[0:1], s[16:17]
                                        ; implicit-def: $vgpr0_vgpr1
	v_cmpx_ngt_f64_e32 0, v[2:3]
	s_xor_b32 s1, exec_lo, s1
	s_cbranch_execz .LBB8_20
; %bb.19:
	v_cmp_gt_f64_e64 s10, 0x10000000, |v[2:3]|
	s_delay_alu instid0(VALU_DEP_4) | instskip(SKIP_2) | instid1(VALU_DEP_4)
	v_ldexp_f64 v[6:7], v[6:7], v10
	v_cmp_nlt_f64_e64 vcc_lo, 0x40900000, |v[2:3]|
	v_add_f64 v[4:5], v[8:9], -v[4:5]
	v_cndmask_b32_e64 v0, 0, 1, s10
	v_cndmask_b32_e64 v8, 0, 0xffffff80, s10
	v_cndmask_b32_e32 v7, 0x7ff00000, v7, vcc_lo
	s_delay_alu instid0(VALU_DEP_4) | instskip(NEXT) | instid1(VALU_DEP_4)
	v_mul_f64 v[4:5], v[4:5], 0.5
	v_lshlrev_b32_e32 v0, 8, v0
	s_delay_alu instid0(VALU_DEP_1) | instskip(NEXT) | instid1(VALU_DEP_1)
	v_ldexp_f64 v[0:1], |v[2:3]|, v0
	v_rsq_f64_e32 v[11:12], v[0:1]
	s_waitcnt_depctr 0xfff
	v_mul_f64 v[17:18], v[0:1], v[11:12]
	v_mul_f64 v[11:12], v[11:12], 0.5
	s_delay_alu instid0(VALU_DEP_1) | instskip(NEXT) | instid1(VALU_DEP_1)
	v_fma_f64 v[19:20], -v[11:12], v[17:18], 0.5
	v_fma_f64 v[17:18], v[17:18], v[19:20], v[17:18]
	v_fma_f64 v[11:12], v[11:12], v[19:20], v[11:12]
	s_delay_alu instid0(VALU_DEP_2) | instskip(NEXT) | instid1(VALU_DEP_1)
	v_fma_f64 v[19:20], -v[17:18], v[17:18], v[0:1]
	v_fma_f64 v[17:18], v[19:20], v[11:12], v[17:18]
	s_delay_alu instid0(VALU_DEP_1) | instskip(NEXT) | instid1(VALU_DEP_1)
	v_fma_f64 v[19:20], -v[17:18], v[17:18], v[0:1]
	v_fma_f64 v[2:3], v[19:20], v[11:12], v[17:18]
	s_delay_alu instid0(VALU_DEP_1) | instskip(SKIP_2) | instid1(VALU_DEP_3)
	v_ldexp_f64 v[2:3], v[2:3], v8
	v_cndmask_b32_e32 v6, 0, v6, vcc_lo
	v_cmp_class_f64_e64 vcc_lo, v[0:1], 0x260
	v_cndmask_b32_e32 v1, v3, v1, vcc_lo
	s_delay_alu instid0(VALU_DEP_3) | instskip(SKIP_1) | instid1(VALU_DEP_1)
	v_mul_f64 v[4:5], v[6:7], v[4:5]
	v_cndmask_b32_e32 v0, v2, v0, vcc_lo
	v_div_scale_f64 v[2:3], null, v[0:1], v[0:1], v[4:5]
	s_delay_alu instid0(VALU_DEP_1) | instskip(SKIP_2) | instid1(VALU_DEP_1)
	v_rcp_f64_e32 v[6:7], v[2:3]
	s_waitcnt_depctr 0xfff
	v_fma_f64 v[8:9], -v[2:3], v[6:7], 1.0
	v_fma_f64 v[6:7], v[6:7], v[8:9], v[6:7]
	s_delay_alu instid0(VALU_DEP_1) | instskip(NEXT) | instid1(VALU_DEP_1)
	v_fma_f64 v[8:9], -v[2:3], v[6:7], 1.0
	v_fma_f64 v[6:7], v[6:7], v[8:9], v[6:7]
	v_div_scale_f64 v[8:9], vcc_lo, v[4:5], v[0:1], v[4:5]
	s_delay_alu instid0(VALU_DEP_1) | instskip(NEXT) | instid1(VALU_DEP_1)
	v_mul_f64 v[10:11], v[8:9], v[6:7]
	v_fma_f64 v[2:3], -v[2:3], v[10:11], v[8:9]
                                        ; implicit-def: $vgpr8_vgpr9
	s_delay_alu instid0(VALU_DEP_1) | instskip(NEXT) | instid1(VALU_DEP_1)
	v_div_fmas_f64 v[2:3], v[2:3], v[6:7], v[10:11]
                                        ; implicit-def: $vgpr6_vgpr7
                                        ; implicit-def: $vgpr10
	v_div_fixup_f64 v[0:1], v[2:3], v[0:1], v[4:5]
                                        ; implicit-def: $vgpr4_vgpr5
                                        ; implicit-def: $vgpr2_vgpr3
.LBB8_20:
	s_and_not1_saveexec_b32 s1, s1
	s_cbranch_execz .LBB8_22
; %bb.21:
	v_cmp_gt_f64_e64 s10, 0x10000000, |v[2:3]|
	s_delay_alu instid0(VALU_DEP_4) | instskip(SKIP_2) | instid1(VALU_DEP_4)
	v_ldexp_f64 v[6:7], -v[6:7], v10
	v_cmp_nlt_f64_e64 vcc_lo, 0x40900000, |v[2:3]|
	v_add_f64 v[4:5], v[8:9], -v[4:5]
	v_cndmask_b32_e64 v0, 0, 1, s10
	v_cndmask_b32_e64 v8, 0, 0xffffff80, s10
	v_cndmask_b32_e32 v7, 0xfff00000, v7, vcc_lo
	s_delay_alu instid0(VALU_DEP_4) | instskip(NEXT) | instid1(VALU_DEP_4)
	v_mul_f64 v[4:5], v[4:5], 0.5
	v_lshlrev_b32_e32 v0, 8, v0
	s_delay_alu instid0(VALU_DEP_1) | instskip(NEXT) | instid1(VALU_DEP_1)
	v_ldexp_f64 v[0:1], |v[2:3]|, v0
	v_rsq_f64_e32 v[11:12], v[0:1]
	s_waitcnt_depctr 0xfff
	v_mul_f64 v[17:18], v[0:1], v[11:12]
	v_mul_f64 v[11:12], v[11:12], 0.5
	s_delay_alu instid0(VALU_DEP_1) | instskip(NEXT) | instid1(VALU_DEP_1)
	v_fma_f64 v[19:20], -v[11:12], v[17:18], 0.5
	v_fma_f64 v[17:18], v[17:18], v[19:20], v[17:18]
	v_fma_f64 v[11:12], v[11:12], v[19:20], v[11:12]
	s_delay_alu instid0(VALU_DEP_2) | instskip(NEXT) | instid1(VALU_DEP_1)
	v_fma_f64 v[19:20], -v[17:18], v[17:18], v[0:1]
	v_fma_f64 v[17:18], v[19:20], v[11:12], v[17:18]
	s_delay_alu instid0(VALU_DEP_1) | instskip(NEXT) | instid1(VALU_DEP_1)
	v_fma_f64 v[19:20], -v[17:18], v[17:18], v[0:1]
	v_fma_f64 v[2:3], v[19:20], v[11:12], v[17:18]
	s_delay_alu instid0(VALU_DEP_1) | instskip(SKIP_2) | instid1(VALU_DEP_3)
	v_ldexp_f64 v[2:3], v[2:3], v8
	v_cndmask_b32_e32 v6, 0, v6, vcc_lo
	v_cmp_class_f64_e64 vcc_lo, v[0:1], 0x260
	v_cndmask_b32_e32 v1, v3, v1, vcc_lo
	s_delay_alu instid0(VALU_DEP_3) | instskip(SKIP_1) | instid1(VALU_DEP_1)
	v_mul_f64 v[4:5], v[6:7], v[4:5]
	v_cndmask_b32_e32 v0, v2, v0, vcc_lo
	v_div_scale_f64 v[2:3], null, v[0:1], v[0:1], v[4:5]
	s_delay_alu instid0(VALU_DEP_1) | instskip(SKIP_2) | instid1(VALU_DEP_1)
	v_rcp_f64_e32 v[6:7], v[2:3]
	s_waitcnt_depctr 0xfff
	v_fma_f64 v[8:9], -v[2:3], v[6:7], 1.0
	v_fma_f64 v[6:7], v[6:7], v[8:9], v[6:7]
	s_delay_alu instid0(VALU_DEP_1) | instskip(NEXT) | instid1(VALU_DEP_1)
	v_fma_f64 v[8:9], -v[2:3], v[6:7], 1.0
	v_fma_f64 v[6:7], v[6:7], v[8:9], v[6:7]
	v_div_scale_f64 v[8:9], vcc_lo, v[4:5], v[0:1], v[4:5]
	s_delay_alu instid0(VALU_DEP_1) | instskip(NEXT) | instid1(VALU_DEP_1)
	v_mul_f64 v[10:11], v[8:9], v[6:7]
	v_fma_f64 v[2:3], -v[2:3], v[10:11], v[8:9]
	s_delay_alu instid0(VALU_DEP_1) | instskip(NEXT) | instid1(VALU_DEP_1)
	v_div_fmas_f64 v[2:3], v[2:3], v[6:7], v[10:11]
	v_div_fixup_f64 v[0:1], v[2:3], v[0:1], v[4:5]
.LBB8_22:
	s_or_b32 exec_lo, exec_lo, s1
.LBB8_23:
	s_delay_alu instid0(SALU_CYCLE_1) | instskip(SKIP_2) | instid1(VALU_DEP_1)
	s_or_b32 exec_lo, exec_lo, s0
	v_mul_lo_u32 v2, v15, s2
	v_and_b32_e32 v6, 0xff, v14
	v_cmp_gt_i16_e32 vcc_lo, 11, v6
	s_delay_alu instid0(VALU_DEP_3) | instskip(SKIP_1) | instid1(VALU_DEP_1)
	v_ashrrev_i32_e32 v3, 31, v2
	v_add_co_u32 v4, s0, s4, v2
	v_add_co_ci_u32_e64 v5, s0, s5, v3, s0
	s_cbranch_vccnz .LBB8_31
; %bb.24:
	v_cmp_lt_i16_e32 vcc_lo, 25, v6
	s_cbranch_vccz .LBB8_34
; %bb.25:
	v_cmp_lt_i16_e32 vcc_lo, 28, v6
	s_cbranch_vccz .LBB8_36
	;; [unrolled: 3-line block ×4, first 2 shown]
; %bb.28:
	v_cmp_eq_u16_e32 vcc_lo, 46, v6
	s_mov_b32 s10, 0
	s_mov_b32 s0, -1
	s_mov_b32 s1, 0
	s_cbranch_vccz .LBB8_44
; %bb.29:
	v_cvt_f32_f64_e32 v2, v[0:1]
	s_mov_b32 s1, -1
	s_mov_b32 s0, 0
	s_delay_alu instid0(VALU_DEP_1) | instskip(SKIP_1) | instid1(VALU_DEP_2)
	v_bfe_u32 v3, v2, 16, 1
	v_cmp_o_f32_e32 vcc_lo, v2, v2
	v_add3_u32 v3, v2, v3, 0x7fff
	s_delay_alu instid0(VALU_DEP_1) | instskip(NEXT) | instid1(VALU_DEP_1)
	v_lshrrev_b32_e32 v3, 16, v3
	v_cndmask_b32_e32 v2, 0x7fc0, v3, vcc_lo
	global_store_b32 v[4:5], v2, off
	s_branch .LBB8_44
.LBB8_30:
	s_mov_b32 s0, 0
                                        ; implicit-def: $vgpr2_vgpr3
	s_and_b32 vcc_lo, exec_lo, s1
	s_cbranch_vccnz .LBB8_180
	s_branch .LBB8_212
.LBB8_31:
	s_mov_b32 s0, 0
	s_mov_b32 s1, 0
	s_cbranch_execnz .LBB8_113
.LBB8_32:
	s_and_not1_b32 vcc_lo, exec_lo, s1
	s_cbranch_vccnz .LBB8_261
	s_branch .LBB8_151
.LBB8_33:
	s_mov_b32 s0, 0
                                        ; implicit-def: $vgpr2_vgpr3
	s_branch .LBB8_159
.LBB8_34:
	s_mov_b32 s10, -1
	s_mov_b32 s0, 0
	s_mov_b32 s1, 0
	s_branch .LBB8_71
.LBB8_35:
	s_mov_b32 s0, 0
                                        ; implicit-def: $vgpr2_vgpr3
	s_branch .LBB8_154
.LBB8_36:
	s_mov_b32 s10, -1
	s_mov_b32 s0, 0
	s_mov_b32 s1, 0
	s_branch .LBB8_54
.LBB8_37:
	s_mov_b32 s10, -1
	s_mov_b32 s0, 0
	s_mov_b32 s1, 0
	s_branch .LBB8_50
.LBB8_38:
	s_mov_b32 s12, -1
.LBB8_39:
	s_mov_b32 s0, 0
                                        ; implicit-def: $vgpr2_vgpr3
.LBB8_40:
	s_and_b32 vcc_lo, exec_lo, s1
	s_cbranch_vccz .LBB8_153
; %bb.41:
	v_cmp_eq_u16_e32 vcc_lo, 44, v16
	s_cbranch_vccz .LBB8_152
; %bb.42:
	global_load_u8 v4, v[0:1], off
	s_mov_b32 s12, 0
	s_mov_b32 s0, -1
	s_waitcnt vmcnt(0)
	v_cmp_ne_u32_e32 vcc_lo, 0xff, v4
	v_lshlrev_b32_e32 v2, 23, v4
	s_delay_alu instid0(VALU_DEP_1) | instskip(NEXT) | instid1(VALU_DEP_1)
	v_cvt_f64_f32_e32 v[2:3], v2
	v_cndmask_b32_e32 v3, 0x7ff80000, v3, vcc_lo
	s_delay_alu instid0(VALU_DEP_2) | instskip(SKIP_1) | instid1(VALU_DEP_3)
	v_cndmask_b32_e32 v2, 0x20000000, v2, vcc_lo
	v_cmp_ne_u32_e32 vcc_lo, 0, v4
	v_cndmask_b32_e32 v3, 0x38000000, v3, vcc_lo
	s_delay_alu instid0(VALU_DEP_3)
	v_cndmask_b32_e32 v2, 0, v2, vcc_lo
	s_branch .LBB8_153
.LBB8_43:
	s_mov_b32 s10, -1
	s_mov_b32 s0, 0
	s_mov_b32 s1, 0
.LBB8_44:
	s_and_b32 vcc_lo, exec_lo, s10
	s_cbranch_vccz .LBB8_49
; %bb.45:
	v_cmp_eq_u16_e32 vcc_lo, 44, v6
	s_mov_b32 s0, -1
	s_cbranch_vccz .LBB8_49
; %bb.46:
	v_cvt_f32_f64_e32 v2, v[0:1]
	v_mov_b32_e32 v3, 0xff
	s_mov_b32 s1, exec_lo
	s_delay_alu instid0(VALU_DEP_2) | instskip(NEXT) | instid1(VALU_DEP_1)
	v_bfe_u32 v7, v2, 23, 8
	v_cmpx_ne_u32_e32 0xff, v7
; %bb.47:
	v_and_b32_e32 v3, 0x400000, v2
	v_and_or_b32 v7, 0x3fffff, v2, v7
	v_lshrrev_b32_e32 v2, 23, v2
	s_delay_alu instid0(VALU_DEP_3) | instskip(NEXT) | instid1(VALU_DEP_3)
	v_cmp_ne_u32_e32 vcc_lo, 0, v3
	v_cmp_ne_u32_e64 s0, 0, v7
	s_delay_alu instid0(VALU_DEP_1) | instskip(NEXT) | instid1(SALU_CYCLE_1)
	s_and_b32 s0, vcc_lo, s0
	v_cndmask_b32_e64 v3, 0, 1, s0
	s_delay_alu instid0(VALU_DEP_1)
	v_add_nc_u32_e32 v3, v2, v3
; %bb.48:
	s_or_b32 exec_lo, exec_lo, s1
	s_mov_b32 s1, -1
	s_mov_b32 s0, 0
	global_store_b8 v[4:5], v3, off
.LBB8_49:
	s_mov_b32 s10, 0
.LBB8_50:
	s_delay_alu instid0(SALU_CYCLE_1)
	s_and_b32 vcc_lo, exec_lo, s10
	s_cbranch_vccz .LBB8_53
; %bb.51:
	v_cmp_eq_u16_e32 vcc_lo, 29, v6
	s_mov_b32 s0, -1
	s_cbranch_vccz .LBB8_53
; %bb.52:
	v_trunc_f64_e32 v[2:3], v[0:1]
	s_mov_b32 s1, -1
	s_mov_b32 s0, 0
	s_mov_b32 s10, 0
	s_delay_alu instid0(VALU_DEP_1) | instskip(NEXT) | instid1(VALU_DEP_1)
	v_ldexp_f64 v[7:8], v[2:3], 0xffffffe0
	v_floor_f64_e32 v[7:8], v[7:8]
	s_delay_alu instid0(VALU_DEP_1) | instskip(SKIP_1) | instid1(VALU_DEP_2)
	v_fma_f64 v[2:3], 0xc1f00000, v[7:8], v[2:3]
	v_cvt_u32_f64_e32 v8, v[7:8]
	v_cvt_u32_f64_e32 v7, v[2:3]
	global_store_b64 v[4:5], v[7:8], off
	s_branch .LBB8_54
.LBB8_53:
	s_mov_b32 s10, 0
.LBB8_54:
	s_delay_alu instid0(SALU_CYCLE_1)
	s_and_b32 vcc_lo, exec_lo, s10
	s_cbranch_vccz .LBB8_70
; %bb.55:
	v_cmp_gt_i16_e32 vcc_lo, 27, v6
	s_mov_b32 s1, -1
	s_cbranch_vccnz .LBB8_61
; %bb.56:
	v_cmp_lt_i16_e32 vcc_lo, 27, v6
	s_cbranch_vccz .LBB8_58
; %bb.57:
	v_cvt_u32_f64_e32 v2, v[0:1]
	s_mov_b32 s1, 0
	global_store_b32 v[4:5], v2, off
.LBB8_58:
	s_and_not1_b32 vcc_lo, exec_lo, s1
	s_cbranch_vccnz .LBB8_60
; %bb.59:
	v_cvt_u32_f64_e32 v2, v[0:1]
	global_store_b16 v[4:5], v2, off
.LBB8_60:
	s_mov_b32 s1, 0
.LBB8_61:
	s_delay_alu instid0(SALU_CYCLE_1)
	s_and_not1_b32 vcc_lo, exec_lo, s1
	s_cbranch_vccnz .LBB8_69
; %bb.62:
	v_cvt_f32_f64_e32 v2, v[0:1]
	v_mov_b32_e32 v7, 0x80
	s_mov_b32 s1, exec_lo
	s_delay_alu instid0(VALU_DEP_2) | instskip(NEXT) | instid1(VALU_DEP_1)
	v_and_b32_e32 v3, 0x7fffffff, v2
	v_cmpx_gt_u32_e32 0x43800000, v3
	s_cbranch_execz .LBB8_68
; %bb.63:
	v_cmp_lt_u32_e32 vcc_lo, 0x3bffffff, v3
	s_mov_b32 s10, 0
                                        ; implicit-def: $vgpr3
	s_and_saveexec_b32 s15, vcc_lo
	s_delay_alu instid0(SALU_CYCLE_1)
	s_xor_b32 s15, exec_lo, s15
	s_cbranch_execz .LBB8_299
; %bb.64:
	v_bfe_u32 v3, v2, 20, 1
	s_mov_b32 s10, exec_lo
	s_delay_alu instid0(VALU_DEP_1) | instskip(NEXT) | instid1(VALU_DEP_1)
	v_add3_u32 v3, v2, v3, 0x487ffff
	v_lshrrev_b32_e32 v3, 20, v3
	s_or_saveexec_b32 s15, s15
                                        ; implicit-def: $sgpr16
	s_delay_alu instid0(SALU_CYCLE_1)
	s_xor_b32 exec_lo, exec_lo, s15
	s_cbranch_execnz .LBB8_300
.LBB8_65:
	s_or_b32 exec_lo, exec_lo, s15
	v_mov_b32_e32 v7, s16
	s_and_saveexec_b32 s15, s10
.LBB8_66:
	v_lshrrev_b32_e32 v2, 24, v2
	s_delay_alu instid0(VALU_DEP_1)
	v_and_or_b32 v7, 0x80, v2, v3
.LBB8_67:
	s_or_b32 exec_lo, exec_lo, s15
.LBB8_68:
	s_delay_alu instid0(SALU_CYCLE_1)
	s_or_b32 exec_lo, exec_lo, s1
	global_store_b8 v[4:5], v7, off
.LBB8_69:
	s_mov_b32 s1, -1
.LBB8_70:
	s_mov_b32 s10, 0
.LBB8_71:
	s_delay_alu instid0(SALU_CYCLE_1)
	s_and_b32 vcc_lo, exec_lo, s10
	s_cbranch_vccz .LBB8_112
; %bb.72:
	v_cmp_lt_i16_e32 vcc_lo, 22, v6
	s_mov_b32 s10, -1
	s_cbranch_vccz .LBB8_104
; %bb.73:
	v_cmp_gt_i16_e32 vcc_lo, 24, v6
	s_mov_b32 s1, -1
	s_cbranch_vccnz .LBB8_93
; %bb.74:
	v_cmp_lt_i16_e32 vcc_lo, 24, v6
	s_cbranch_vccz .LBB8_82
; %bb.75:
	v_cvt_f32_f64_e32 v2, v[0:1]
	v_mov_b32_e32 v7, 0x80
	s_mov_b32 s1, exec_lo
	s_delay_alu instid0(VALU_DEP_2) | instskip(NEXT) | instid1(VALU_DEP_1)
	v_and_b32_e32 v3, 0x7fffffff, v2
	v_cmpx_gt_u32_e32 0x47800000, v3
	s_cbranch_execz .LBB8_81
; %bb.76:
	v_cmp_lt_u32_e32 vcc_lo, 0x37ffffff, v3
	s_mov_b32 s10, 0
                                        ; implicit-def: $vgpr3
	s_and_saveexec_b32 s15, vcc_lo
	s_delay_alu instid0(SALU_CYCLE_1)
	s_xor_b32 s15, exec_lo, s15
	s_cbranch_execz .LBB8_303
; %bb.77:
	v_bfe_u32 v3, v2, 21, 1
	s_mov_b32 s10, exec_lo
	s_delay_alu instid0(VALU_DEP_1) | instskip(NEXT) | instid1(VALU_DEP_1)
	v_add3_u32 v3, v2, v3, 0x88fffff
	v_lshrrev_b32_e32 v3, 21, v3
	s_or_saveexec_b32 s15, s15
                                        ; implicit-def: $sgpr16
	s_delay_alu instid0(SALU_CYCLE_1)
	s_xor_b32 exec_lo, exec_lo, s15
	s_cbranch_execnz .LBB8_304
.LBB8_78:
	s_or_b32 exec_lo, exec_lo, s15
	v_mov_b32_e32 v7, s16
	s_and_saveexec_b32 s15, s10
.LBB8_79:
	v_lshrrev_b32_e32 v2, 24, v2
	s_delay_alu instid0(VALU_DEP_1)
	v_and_or_b32 v7, 0x80, v2, v3
.LBB8_80:
	s_or_b32 exec_lo, exec_lo, s15
.LBB8_81:
	s_delay_alu instid0(SALU_CYCLE_1)
	s_or_b32 exec_lo, exec_lo, s1
	s_mov_b32 s1, 0
	global_store_b8 v[4:5], v7, off
.LBB8_82:
	s_and_b32 vcc_lo, exec_lo, s1
	s_cbranch_vccz .LBB8_92
; %bb.83:
	v_cvt_f32_f64_e32 v2, v[0:1]
	s_mov_b32 s1, exec_lo
                                        ; implicit-def: $vgpr3
	s_delay_alu instid0(VALU_DEP_1) | instskip(NEXT) | instid1(VALU_DEP_1)
	v_and_b32_e32 v7, 0x7fffffff, v2
	v_cmpx_gt_u32_e32 0x43f00000, v7
	s_xor_b32 s1, exec_lo, s1
	s_cbranch_execz .LBB8_89
; %bb.84:
	s_mov_b32 s10, exec_lo
                                        ; implicit-def: $vgpr3
	v_cmpx_lt_u32_e32 0x3c7fffff, v7
	s_xor_b32 s10, exec_lo, s10
; %bb.85:
	v_bfe_u32 v3, v2, 20, 1
	s_delay_alu instid0(VALU_DEP_1) | instskip(NEXT) | instid1(VALU_DEP_1)
	v_add3_u32 v3, v2, v3, 0x407ffff
	v_and_b32_e32 v7, 0xff00000, v3
	v_lshrrev_b32_e32 v3, 20, v3
	s_delay_alu instid0(VALU_DEP_2) | instskip(NEXT) | instid1(VALU_DEP_2)
	v_cmp_ne_u32_e32 vcc_lo, 0x7f00000, v7
	v_cndmask_b32_e32 v3, 0x7e, v3, vcc_lo
; %bb.86:
	s_and_not1_saveexec_b32 s10, s10
; %bb.87:
	v_add_f32_e64 v3, 0x46800000, |v2|
; %bb.88:
	s_or_b32 exec_lo, exec_lo, s10
                                        ; implicit-def: $vgpr7
.LBB8_89:
	s_and_not1_saveexec_b32 s1, s1
; %bb.90:
	v_mov_b32_e32 v3, 0x7f
	v_cmp_lt_u32_e32 vcc_lo, 0x7f800000, v7
	s_delay_alu instid0(VALU_DEP_2)
	v_cndmask_b32_e32 v3, 0x7e, v3, vcc_lo
; %bb.91:
	s_or_b32 exec_lo, exec_lo, s1
	v_lshrrev_b32_e32 v2, 24, v2
	s_delay_alu instid0(VALU_DEP_1)
	v_and_or_b32 v2, 0x80, v2, v3
	global_store_b8 v[4:5], v2, off
.LBB8_92:
	s_mov_b32 s1, 0
.LBB8_93:
	s_delay_alu instid0(SALU_CYCLE_1)
	s_and_not1_b32 vcc_lo, exec_lo, s1
	s_cbranch_vccnz .LBB8_103
; %bb.94:
	v_cvt_f32_f64_e32 v2, v[0:1]
	s_mov_b32 s1, exec_lo
                                        ; implicit-def: $vgpr3
	s_delay_alu instid0(VALU_DEP_1) | instskip(NEXT) | instid1(VALU_DEP_1)
	v_and_b32_e32 v7, 0x7fffffff, v2
	v_cmpx_gt_u32_e32 0x47800000, v7
	s_xor_b32 s1, exec_lo, s1
	s_cbranch_execz .LBB8_100
; %bb.95:
	s_mov_b32 s10, exec_lo
                                        ; implicit-def: $vgpr3
	v_cmpx_lt_u32_e32 0x387fffff, v7
	s_xor_b32 s10, exec_lo, s10
; %bb.96:
	v_bfe_u32 v3, v2, 21, 1
	s_delay_alu instid0(VALU_DEP_1) | instskip(NEXT) | instid1(VALU_DEP_1)
	v_add3_u32 v3, v2, v3, 0x80fffff
	v_lshrrev_b32_e32 v3, 21, v3
; %bb.97:
	s_and_not1_saveexec_b32 s10, s10
; %bb.98:
	v_add_f32_e64 v3, 0x43000000, |v2|
; %bb.99:
	s_or_b32 exec_lo, exec_lo, s10
                                        ; implicit-def: $vgpr7
.LBB8_100:
	s_and_not1_saveexec_b32 s1, s1
; %bb.101:
	v_mov_b32_e32 v3, 0x7f
	v_cmp_lt_u32_e32 vcc_lo, 0x7f800000, v7
	s_delay_alu instid0(VALU_DEP_2)
	v_cndmask_b32_e32 v3, 0x7c, v3, vcc_lo
; %bb.102:
	s_or_b32 exec_lo, exec_lo, s1
	v_lshrrev_b32_e32 v2, 24, v2
	s_delay_alu instid0(VALU_DEP_1)
	v_and_or_b32 v2, 0x80, v2, v3
	global_store_b8 v[4:5], v2, off
.LBB8_103:
	s_mov_b32 s10, 0
	s_mov_b32 s1, -1
.LBB8_104:
	s_and_not1_b32 vcc_lo, exec_lo, s10
	s_cbranch_vccnz .LBB8_112
; %bb.105:
	v_cmp_lt_i16_e32 vcc_lo, 14, v6
	s_mov_b32 s10, -1
	s_cbranch_vccz .LBB8_109
; %bb.106:
	v_cmp_eq_u16_e32 vcc_lo, 15, v6
	s_mov_b32 s0, -1
	s_cbranch_vccz .LBB8_108
; %bb.107:
	v_cvt_f32_f64_e32 v2, v[0:1]
	s_mov_b32 s1, -1
	s_mov_b32 s0, 0
	s_delay_alu instid0(VALU_DEP_1) | instskip(SKIP_1) | instid1(VALU_DEP_2)
	v_bfe_u32 v3, v2, 16, 1
	v_cmp_o_f32_e32 vcc_lo, v2, v2
	v_add3_u32 v3, v2, v3, 0x7fff
	s_delay_alu instid0(VALU_DEP_1) | instskip(NEXT) | instid1(VALU_DEP_1)
	v_lshrrev_b32_e32 v3, 16, v3
	v_cndmask_b32_e32 v2, 0x7fc0, v3, vcc_lo
	global_store_b16 v[4:5], v2, off
.LBB8_108:
	s_mov_b32 s10, 0
.LBB8_109:
	s_delay_alu instid0(SALU_CYCLE_1)
	s_and_b32 vcc_lo, exec_lo, s10
	s_cbranch_vccz .LBB8_112
; %bb.110:
	v_cmp_eq_u16_e32 vcc_lo, 11, v6
	s_mov_b32 s0, -1
	s_cbranch_vccz .LBB8_112
; %bb.111:
	v_cmp_neq_f64_e32 vcc_lo, 0, v[0:1]
	s_mov_b32 s1, -1
	s_mov_b32 s0, 0
	v_cndmask_b32_e64 v2, 0, 1, vcc_lo
	global_store_b8 v[4:5], v2, off
.LBB8_112:
	s_branch .LBB8_32
.LBB8_113:
	v_cmp_gt_i16_e32 vcc_lo, 5, v6
	s_mov_b32 s1, -1
	s_cbranch_vccnz .LBB8_134
; %bb.114:
	v_cmp_gt_i16_e32 vcc_lo, 8, v6
	s_cbranch_vccnz .LBB8_124
; %bb.115:
	v_cmp_gt_i16_e32 vcc_lo, 9, v6
	s_cbranch_vccnz .LBB8_121
; %bb.116:
	v_cmp_lt_i16_e32 vcc_lo, 9, v6
	s_cbranch_vccz .LBB8_118
; %bb.117:
	v_mov_b32_e32 v2, 0
	s_mov_b32 s1, 0
	s_delay_alu instid0(VALU_DEP_1)
	v_mov_b32_e32 v3, v2
	global_store_b128 v[4:5], v[0:3], off
.LBB8_118:
	s_and_not1_b32 vcc_lo, exec_lo, s1
	s_cbranch_vccnz .LBB8_120
; %bb.119:
	v_cvt_f32_f64_e32 v2, v[0:1]
	v_mov_b32_e32 v3, 0
	global_store_b64 v[4:5], v[2:3], off
.LBB8_120:
	s_mov_b32 s1, 0
.LBB8_121:
	s_delay_alu instid0(SALU_CYCLE_1)
	s_and_not1_b32 vcc_lo, exec_lo, s1
	s_cbranch_vccnz .LBB8_123
; %bb.122:
	v_cvt_f32_f64_e32 v2, v[0:1]
	s_delay_alu instid0(VALU_DEP_1) | instskip(NEXT) | instid1(VALU_DEP_1)
	v_cvt_f16_f32_e32 v2, v2
	v_and_b32_e32 v2, 0xffff, v2
	global_store_b32 v[4:5], v2, off
.LBB8_123:
	s_mov_b32 s1, 0
.LBB8_124:
	s_delay_alu instid0(SALU_CYCLE_1)
	s_and_not1_b32 vcc_lo, exec_lo, s1
	s_cbranch_vccnz .LBB8_133
; %bb.125:
	v_cmp_gt_i16_e32 vcc_lo, 6, v6
	s_mov_b32 s1, -1
	s_cbranch_vccnz .LBB8_131
; %bb.126:
	v_cmp_lt_i16_e32 vcc_lo, 6, v6
	s_cbranch_vccz .LBB8_128
; %bb.127:
	s_mov_b32 s1, 0
	global_store_b64 v[4:5], v[0:1], off
.LBB8_128:
	s_and_not1_b32 vcc_lo, exec_lo, s1
	s_cbranch_vccnz .LBB8_130
; %bb.129:
	v_cvt_f32_f64_e32 v2, v[0:1]
	global_store_b32 v[4:5], v2, off
.LBB8_130:
	s_mov_b32 s1, 0
.LBB8_131:
	s_delay_alu instid0(SALU_CYCLE_1)
	s_and_not1_b32 vcc_lo, exec_lo, s1
	s_cbranch_vccnz .LBB8_133
; %bb.132:
	v_cvt_f32_f64_e32 v2, v[0:1]
	s_delay_alu instid0(VALU_DEP_1)
	v_cvt_f16_f32_e32 v2, v2
	global_store_b16 v[4:5], v2, off
.LBB8_133:
	s_mov_b32 s1, 0
.LBB8_134:
	s_delay_alu instid0(SALU_CYCLE_1)
	s_and_not1_b32 vcc_lo, exec_lo, s1
	s_cbranch_vccnz .LBB8_150
; %bb.135:
	v_cmp_gt_i16_e32 vcc_lo, 2, v6
	s_mov_b32 s1, -1
	s_cbranch_vccnz .LBB8_145
; %bb.136:
	v_cmp_gt_i16_e32 vcc_lo, 3, v6
	s_cbranch_vccnz .LBB8_142
; %bb.137:
	v_cmp_lt_i16_e32 vcc_lo, 3, v6
	s_cbranch_vccz .LBB8_139
; %bb.138:
	v_trunc_f64_e32 v[2:3], v[0:1]
	s_mov_b32 s1, 0
	s_delay_alu instid0(VALU_DEP_1) | instskip(NEXT) | instid1(VALU_DEP_1)
	v_ldexp_f64 v[7:8], v[2:3], 0xffffffe0
	v_floor_f64_e32 v[7:8], v[7:8]
	s_delay_alu instid0(VALU_DEP_1) | instskip(SKIP_1) | instid1(VALU_DEP_2)
	v_fma_f64 v[2:3], 0xc1f00000, v[7:8], v[2:3]
	v_cvt_i32_f64_e32 v8, v[7:8]
	v_cvt_u32_f64_e32 v7, v[2:3]
	global_store_b64 v[4:5], v[7:8], off
.LBB8_139:
	s_and_not1_b32 vcc_lo, exec_lo, s1
	s_cbranch_vccnz .LBB8_141
; %bb.140:
	v_cvt_i32_f64_e32 v2, v[0:1]
	global_store_b32 v[4:5], v2, off
.LBB8_141:
	s_mov_b32 s1, 0
.LBB8_142:
	s_delay_alu instid0(SALU_CYCLE_1)
	s_and_not1_b32 vcc_lo, exec_lo, s1
	s_cbranch_vccnz .LBB8_144
; %bb.143:
	v_cvt_i32_f64_e32 v2, v[0:1]
	global_store_b16 v[4:5], v2, off
.LBB8_144:
	s_mov_b32 s1, 0
.LBB8_145:
	s_delay_alu instid0(SALU_CYCLE_1)
	s_and_not1_b32 vcc_lo, exec_lo, s1
	s_cbranch_vccnz .LBB8_150
; %bb.146:
	v_cmp_lt_i16_e32 vcc_lo, 0, v6
	s_mov_b32 s1, -1
	s_cbranch_vccz .LBB8_148
; %bb.147:
	v_cvt_i32_f64_e32 v2, v[0:1]
	s_mov_b32 s1, 0
	global_store_b8 v[4:5], v2, off
.LBB8_148:
	s_and_not1_b32 vcc_lo, exec_lo, s1
	s_cbranch_vccnz .LBB8_150
; %bb.149:
	v_trunc_f64_e32 v[0:1], v[0:1]
	s_delay_alu instid0(VALU_DEP_1) | instskip(NEXT) | instid1(VALU_DEP_1)
	v_ldexp_f64 v[2:3], v[0:1], 0xffffffe0
	v_floor_f64_e32 v[2:3], v[2:3]
	s_delay_alu instid0(VALU_DEP_1) | instskip(NEXT) | instid1(VALU_DEP_1)
	v_fma_f64 v[0:1], 0xc1f00000, v[2:3], v[0:1]
	v_cvt_u32_f64_e32 v0, v[0:1]
	global_store_b8 v[4:5], v0, off
.LBB8_150:
.LBB8_151:
	v_add_nc_u32_e32 v15, 0x80, v15
	s_mov_b32 s1, -1
	s_branch .LBB8_262
.LBB8_152:
	s_mov_b32 s12, -1
                                        ; implicit-def: $vgpr2_vgpr3
.LBB8_153:
	s_mov_b32 s1, 0
.LBB8_154:
	s_delay_alu instid0(SALU_CYCLE_1)
	s_and_b32 vcc_lo, exec_lo, s1
	s_cbranch_vccz .LBB8_158
; %bb.155:
	v_cmp_eq_u16_e32 vcc_lo, 29, v16
	s_cbranch_vccz .LBB8_157
; %bb.156:
	global_load_b64 v[2:3], v[0:1], off
	s_mov_b32 s0, -1
	s_mov_b32 s12, 0
	s_mov_b32 s1, 0
	s_waitcnt vmcnt(0)
	v_cvt_f64_u32_e32 v[3:4], v3
	v_cvt_f64_u32_e32 v[5:6], v2
	s_delay_alu instid0(VALU_DEP_2) | instskip(NEXT) | instid1(VALU_DEP_1)
	v_ldexp_f64 v[3:4], v[3:4], 32
	v_add_f64 v[2:3], v[3:4], v[5:6]
	s_branch .LBB8_159
.LBB8_157:
	s_mov_b32 s12, -1
                                        ; implicit-def: $vgpr2_vgpr3
.LBB8_158:
	s_mov_b32 s1, 0
.LBB8_159:
	s_delay_alu instid0(SALU_CYCLE_1)
	s_and_b32 vcc_lo, exec_lo, s1
	s_cbranch_vccz .LBB8_179
; %bb.160:
	v_cmp_gt_i16_e32 vcc_lo, 27, v16
	s_cbranch_vccnz .LBB8_163
; %bb.161:
	v_cmp_lt_i16_e32 vcc_lo, 27, v16
	s_cbranch_vccz .LBB8_164
; %bb.162:
	global_load_b32 v2, v[0:1], off
	s_mov_b32 s0, 0
	s_waitcnt vmcnt(0)
	v_cvt_f64_u32_e32 v[2:3], v2
	s_branch .LBB8_165
.LBB8_163:
	s_mov_b32 s0, -1
                                        ; implicit-def: $vgpr2_vgpr3
	s_branch .LBB8_168
.LBB8_164:
	s_mov_b32 s0, -1
                                        ; implicit-def: $vgpr2_vgpr3
.LBB8_165:
	s_delay_alu instid0(SALU_CYCLE_1)
	s_and_not1_b32 vcc_lo, exec_lo, s0
	s_cbranch_vccnz .LBB8_167
; %bb.166:
	global_load_u16 v2, v[0:1], off
	s_waitcnt vmcnt(0)
	v_cvt_f64_u32_e32 v[2:3], v2
.LBB8_167:
	s_mov_b32 s0, 0
.LBB8_168:
	s_delay_alu instid0(SALU_CYCLE_1)
	s_and_not1_b32 vcc_lo, exec_lo, s0
	s_cbranch_vccnz .LBB8_178
; %bb.169:
	global_load_u8 v4, v[0:1], off
	s_mov_b32 s15, exec_lo
                                        ; implicit-def: $sgpr0_sgpr1
	s_waitcnt vmcnt(0)
	v_cmpx_lt_i16_e32 0x7f, v4
	s_xor_b32 s15, exec_lo, s15
	s_cbranch_execz .LBB8_173
; %bb.170:
	s_mov_b32 s16, -1
	s_mov_b32 s10, exec_lo
                                        ; implicit-def: $sgpr0_sgpr1
	v_cmpx_eq_u16_e32 0x80, v4
; %bb.171:
	s_mov_b32 s1, 0x7ff80000
	s_brev_b32 s0, 4
	s_xor_b32 s16, exec_lo, -1
; %bb.172:
	s_or_b32 exec_lo, exec_lo, s10
	s_delay_alu instid0(SALU_CYCLE_1)
	s_and_b32 s10, s16, exec_lo
.LBB8_173:
	s_or_saveexec_b32 s15, s15
	v_dual_mov_b32 v3, s1 :: v_dual_mov_b32 v2, s0
	s_xor_b32 exec_lo, exec_lo, s15
; %bb.174:
	v_cmp_ne_u16_e32 vcc_lo, 0, v4
	v_mov_b32_e32 v2, 0
	v_mov_b32_e32 v3, 0
	s_and_not1_b32 s0, s10, exec_lo
	s_and_b32 s1, vcc_lo, exec_lo
	s_delay_alu instid0(SALU_CYCLE_1)
	s_or_b32 s10, s0, s1
; %bb.175:
	s_or_b32 exec_lo, exec_lo, s15
	s_and_saveexec_b32 s0, s10
	s_cbranch_execz .LBB8_177
; %bb.176:
	v_and_b32_e32 v2, 0xffff, v4
	v_lshlrev_b32_e32 v4, 24, v4
	s_delay_alu instid0(VALU_DEP_2) | instskip(NEXT) | instid1(VALU_DEP_2)
	v_and_b32_e32 v3, 7, v2
	v_and_b32_e32 v4, 0x80000000, v4
	s_delay_alu instid0(VALU_DEP_2) | instskip(NEXT) | instid1(VALU_DEP_1)
	v_clz_i32_u32_e32 v5, v3
	v_min_u32_e32 v5, 32, v5
	s_delay_alu instid0(VALU_DEP_1) | instskip(SKIP_1) | instid1(VALU_DEP_2)
	v_subrev_nc_u32_e32 v6, 28, v5
	v_sub_nc_u32_e32 v5, 29, v5
	v_lshlrev_b32_e32 v6, v6, v2
	v_bfe_u32 v2, v2, 3, 4
	s_delay_alu instid0(VALU_DEP_2) | instskip(NEXT) | instid1(VALU_DEP_2)
	v_and_b32_e32 v6, 7, v6
	v_cmp_eq_u32_e32 vcc_lo, 0, v2
	s_delay_alu instid0(VALU_DEP_2) | instskip(NEXT) | instid1(VALU_DEP_1)
	v_dual_cndmask_b32 v2, v2, v5 :: v_dual_cndmask_b32 v3, v3, v6
	v_lshl_add_u32 v2, v2, 23, 0x3b800000
	s_delay_alu instid0(VALU_DEP_2) | instskip(NEXT) | instid1(VALU_DEP_1)
	v_lshlrev_b32_e32 v3, 20, v3
	v_or3_b32 v2, v4, v2, v3
	s_delay_alu instid0(VALU_DEP_1)
	v_cvt_f64_f32_e32 v[2:3], v2
.LBB8_177:
	s_or_b32 exec_lo, exec_lo, s0
.LBB8_178:
	s_mov_b32 s0, -1
.LBB8_179:
	s_branch .LBB8_212
.LBB8_180:
	v_cmp_lt_i16_e32 vcc_lo, 22, v16
	s_cbranch_vccz .LBB8_192
; %bb.181:
	v_cmp_gt_i16_e32 vcc_lo, 24, v16
	s_cbranch_vccnz .LBB8_193
; %bb.182:
	v_cmp_lt_i16_e32 vcc_lo, 24, v16
	s_cbranch_vccz .LBB8_194
; %bb.183:
	global_load_u8 v4, v[0:1], off
	s_mov_b32 s10, 0
	s_mov_b32 s15, exec_lo
                                        ; implicit-def: $sgpr0_sgpr1
	s_waitcnt vmcnt(0)
	v_cmpx_lt_i16_e32 0x7f, v4
	s_xor_b32 s15, exec_lo, s15
	s_cbranch_execz .LBB8_187
; %bb.184:
	s_mov_b32 s16, -1
	s_mov_b32 s10, exec_lo
                                        ; implicit-def: $sgpr0_sgpr1
	v_cmpx_eq_u16_e32 0x80, v4
; %bb.185:
	s_mov_b32 s1, 0x7ff80000
	s_brev_b32 s0, 4
	s_xor_b32 s16, exec_lo, -1
; %bb.186:
	s_or_b32 exec_lo, exec_lo, s10
	s_delay_alu instid0(SALU_CYCLE_1)
	s_and_b32 s10, s16, exec_lo
.LBB8_187:
	s_or_saveexec_b32 s15, s15
	v_dual_mov_b32 v3, s1 :: v_dual_mov_b32 v2, s0
	s_xor_b32 exec_lo, exec_lo, s15
; %bb.188:
	v_cmp_ne_u16_e32 vcc_lo, 0, v4
	v_mov_b32_e32 v2, 0
	v_mov_b32_e32 v3, 0
	s_and_not1_b32 s0, s10, exec_lo
	s_and_b32 s1, vcc_lo, exec_lo
	s_delay_alu instid0(SALU_CYCLE_1)
	s_or_b32 s10, s0, s1
; %bb.189:
	s_or_b32 exec_lo, exec_lo, s15
	s_and_saveexec_b32 s0, s10
	s_cbranch_execz .LBB8_191
; %bb.190:
	v_and_b32_e32 v2, 0xffff, v4
	v_lshlrev_b32_e32 v4, 24, v4
	s_delay_alu instid0(VALU_DEP_2) | instskip(NEXT) | instid1(VALU_DEP_2)
	v_and_b32_e32 v3, 3, v2
	v_and_b32_e32 v4, 0x80000000, v4
	s_delay_alu instid0(VALU_DEP_2) | instskip(NEXT) | instid1(VALU_DEP_1)
	v_clz_i32_u32_e32 v5, v3
	v_min_u32_e32 v5, 32, v5
	s_delay_alu instid0(VALU_DEP_1) | instskip(SKIP_1) | instid1(VALU_DEP_2)
	v_subrev_nc_u32_e32 v6, 29, v5
	v_sub_nc_u32_e32 v5, 30, v5
	v_lshlrev_b32_e32 v6, v6, v2
	v_bfe_u32 v2, v2, 2, 5
	s_delay_alu instid0(VALU_DEP_2) | instskip(NEXT) | instid1(VALU_DEP_2)
	v_and_b32_e32 v6, 3, v6
	v_cmp_eq_u32_e32 vcc_lo, 0, v2
	s_delay_alu instid0(VALU_DEP_2) | instskip(NEXT) | instid1(VALU_DEP_1)
	v_dual_cndmask_b32 v2, v2, v5 :: v_dual_cndmask_b32 v3, v3, v6
	v_lshl_add_u32 v2, v2, 23, 0x37800000
	s_delay_alu instid0(VALU_DEP_2) | instskip(NEXT) | instid1(VALU_DEP_1)
	v_lshlrev_b32_e32 v3, 21, v3
	v_or3_b32 v2, v4, v2, v3
	s_delay_alu instid0(VALU_DEP_1)
	v_cvt_f64_f32_e32 v[2:3], v2
.LBB8_191:
	s_or_b32 exec_lo, exec_lo, s0
	s_mov_b32 s0, 0
	s_branch .LBB8_195
.LBB8_192:
	s_mov_b32 s1, -1
                                        ; implicit-def: $vgpr2_vgpr3
	s_branch .LBB8_201
.LBB8_193:
	s_mov_b32 s0, -1
                                        ; implicit-def: $vgpr2_vgpr3
	s_branch .LBB8_198
.LBB8_194:
	s_mov_b32 s0, -1
                                        ; implicit-def: $vgpr2_vgpr3
.LBB8_195:
	s_delay_alu instid0(SALU_CYCLE_1)
	s_and_b32 vcc_lo, exec_lo, s0
	s_cbranch_vccz .LBB8_197
; %bb.196:
	global_load_u8 v2, v[0:1], off
	s_waitcnt vmcnt(0)
	v_lshlrev_b32_e32 v2, 24, v2
	s_delay_alu instid0(VALU_DEP_1) | instskip(NEXT) | instid1(VALU_DEP_1)
	v_and_b32_e32 v3, 0x7f000000, v2
	v_clz_i32_u32_e32 v4, v3
	v_add_nc_u32_e32 v6, 0x1000000, v3
	v_cmp_ne_u32_e32 vcc_lo, 0, v3
	s_delay_alu instid0(VALU_DEP_3) | instskip(NEXT) | instid1(VALU_DEP_1)
	v_min_u32_e32 v4, 32, v4
	v_sub_nc_u32_e64 v4, v4, 4 clamp
	s_delay_alu instid0(VALU_DEP_1) | instskip(SKIP_1) | instid1(VALU_DEP_2)
	v_lshlrev_b32_e32 v5, v4, v3
	v_lshlrev_b32_e32 v4, 23, v4
	v_lshrrev_b32_e32 v5, 4, v5
	s_delay_alu instid0(VALU_DEP_1) | instskip(SKIP_1) | instid1(VALU_DEP_2)
	v_sub_nc_u32_e32 v4, v5, v4
	v_ashrrev_i32_e32 v5, 8, v6
	v_add_nc_u32_e32 v4, 0x3c000000, v4
	s_delay_alu instid0(VALU_DEP_1) | instskip(NEXT) | instid1(VALU_DEP_1)
	v_and_or_b32 v4, 0x7f800000, v5, v4
	v_cndmask_b32_e32 v3, 0, v4, vcc_lo
	s_delay_alu instid0(VALU_DEP_1) | instskip(NEXT) | instid1(VALU_DEP_1)
	v_and_or_b32 v2, 0x80000000, v2, v3
	v_cvt_f64_f32_e32 v[2:3], v2
.LBB8_197:
	s_mov_b32 s0, 0
.LBB8_198:
	s_delay_alu instid0(SALU_CYCLE_1)
	s_and_not1_b32 vcc_lo, exec_lo, s0
	s_cbranch_vccnz .LBB8_200
; %bb.199:
	global_load_u8 v2, v[0:1], off
	s_waitcnt vmcnt(0)
	v_lshlrev_b32_e32 v3, 25, v2
	v_lshlrev_b16 v2, 8, v2
	s_delay_alu instid0(VALU_DEP_2) | instskip(NEXT) | instid1(VALU_DEP_2)
	v_lshrrev_b32_e32 v4, 4, v3
	v_and_or_b32 v5, 0x7f00, v2, 0.5
	v_bfe_i32 v2, v2, 0, 16
	s_delay_alu instid0(VALU_DEP_3) | instskip(NEXT) | instid1(VALU_DEP_1)
	v_or_b32_e32 v4, 0x70000000, v4
	v_dual_add_f32 v5, -0.5, v5 :: v_dual_mul_f32 v4, 0x7800000, v4
	v_cmp_gt_u32_e32 vcc_lo, 0x8000000, v3
	s_delay_alu instid0(VALU_DEP_2) | instskip(NEXT) | instid1(VALU_DEP_1)
	v_cndmask_b32_e32 v3, v4, v5, vcc_lo
	v_and_or_b32 v2, 0x80000000, v2, v3
	s_delay_alu instid0(VALU_DEP_1)
	v_cvt_f64_f32_e32 v[2:3], v2
.LBB8_200:
	s_mov_b32 s1, 0
	s_mov_b32 s0, -1
.LBB8_201:
	s_and_not1_b32 vcc_lo, exec_lo, s1
	s_cbranch_vccnz .LBB8_212
; %bb.202:
	v_cmp_lt_i16_e32 vcc_lo, 14, v16
	s_cbranch_vccz .LBB8_205
; %bb.203:
	v_cmp_eq_u16_e32 vcc_lo, 15, v16
	s_cbranch_vccz .LBB8_206
; %bb.204:
	global_load_u16 v2, v[0:1], off
	s_mov_b32 s0, -1
	s_mov_b32 s12, 0
	s_waitcnt vmcnt(0)
	v_lshlrev_b32_e32 v2, 16, v2
	s_delay_alu instid0(VALU_DEP_1)
	v_cvt_f64_f32_e32 v[2:3], v2
	s_branch .LBB8_207
.LBB8_205:
	s_mov_b32 s1, -1
                                        ; implicit-def: $vgpr2_vgpr3
	s_branch .LBB8_208
.LBB8_206:
	s_mov_b32 s12, -1
                                        ; implicit-def: $vgpr2_vgpr3
.LBB8_207:
	s_mov_b32 s1, 0
.LBB8_208:
	s_delay_alu instid0(SALU_CYCLE_1)
	s_and_b32 vcc_lo, exec_lo, s1
	s_cbranch_vccz .LBB8_212
; %bb.209:
	v_cmp_eq_u16_e32 vcc_lo, 11, v16
	s_cbranch_vccz .LBB8_211
; %bb.210:
	global_load_u8 v2, v[0:1], off
	s_mov_b32 s12, 0
	s_mov_b32 s0, -1
	s_waitcnt vmcnt(0)
	v_cmp_ne_u16_e32 vcc_lo, 0, v2
	v_mov_b32_e32 v2, 0
	v_cndmask_b32_e64 v3, 0, 0x3ff00000, vcc_lo
	s_branch .LBB8_212
.LBB8_211:
	s_mov_b32 s12, -1
                                        ; implicit-def: $vgpr2_vgpr3
.LBB8_212:
	s_branch .LBB8_10
.LBB8_213:
	v_cmp_gt_i16_e32 vcc_lo, 5, v16
	s_cbranch_vccnz .LBB8_218
; %bb.214:
	v_cmp_gt_i16_e32 vcc_lo, 8, v16
	s_cbranch_vccnz .LBB8_219
; %bb.215:
	v_cmp_gt_i16_e32 vcc_lo, 9, v16
	s_cbranch_vccnz .LBB8_220
; %bb.216:
	v_cmp_lt_i16_e32 vcc_lo, 9, v16
	s_cbranch_vccz .LBB8_221
; %bb.217:
	global_load_b64 v[2:3], v[0:1], off
	s_mov_b32 s0, 0
	s_branch .LBB8_222
.LBB8_218:
                                        ; implicit-def: $vgpr2_vgpr3
	s_branch .LBB8_240
.LBB8_219:
	s_mov_b32 s0, -1
                                        ; implicit-def: $vgpr2_vgpr3
	s_branch .LBB8_228
.LBB8_220:
	s_mov_b32 s0, -1
                                        ; implicit-def: $vgpr2_vgpr3
	s_branch .LBB8_225
.LBB8_221:
	s_mov_b32 s0, -1
                                        ; implicit-def: $vgpr2_vgpr3
.LBB8_222:
	s_delay_alu instid0(SALU_CYCLE_1)
	s_and_not1_b32 vcc_lo, exec_lo, s0
	s_cbranch_vccnz .LBB8_224
; %bb.223:
	global_load_b32 v2, v[0:1], off
	s_waitcnt vmcnt(0)
	v_cvt_f64_f32_e32 v[2:3], v2
.LBB8_224:
	s_mov_b32 s0, 0
.LBB8_225:
	s_delay_alu instid0(SALU_CYCLE_1)
	s_and_not1_b32 vcc_lo, exec_lo, s0
	s_cbranch_vccnz .LBB8_227
; %bb.226:
	global_load_b32 v2, v[0:1], off
	s_waitcnt vmcnt(0)
	v_cvt_f32_f16_e32 v2, v2
	s_delay_alu instid0(VALU_DEP_1)
	v_cvt_f64_f32_e32 v[2:3], v2
.LBB8_227:
	s_mov_b32 s0, 0
.LBB8_228:
	s_delay_alu instid0(SALU_CYCLE_1)
	s_and_not1_b32 vcc_lo, exec_lo, s0
	s_cbranch_vccnz .LBB8_239
; %bb.229:
	v_cmp_gt_i16_e32 vcc_lo, 6, v16
	s_cbranch_vccnz .LBB8_232
; %bb.230:
	v_cmp_lt_i16_e32 vcc_lo, 6, v16
	s_cbranch_vccz .LBB8_233
; %bb.231:
	global_load_b64 v[2:3], v[0:1], off
	s_mov_b32 s0, 0
	s_branch .LBB8_234
.LBB8_232:
	s_mov_b32 s0, -1
                                        ; implicit-def: $vgpr2_vgpr3
	s_branch .LBB8_237
.LBB8_233:
	s_mov_b32 s0, -1
                                        ; implicit-def: $vgpr2_vgpr3
.LBB8_234:
	s_delay_alu instid0(SALU_CYCLE_1)
	s_and_not1_b32 vcc_lo, exec_lo, s0
	s_cbranch_vccnz .LBB8_236
; %bb.235:
	global_load_b32 v2, v[0:1], off
	s_waitcnt vmcnt(0)
	v_cvt_f64_f32_e32 v[2:3], v2
.LBB8_236:
	s_mov_b32 s0, 0
.LBB8_237:
	s_delay_alu instid0(SALU_CYCLE_1)
	s_and_not1_b32 vcc_lo, exec_lo, s0
	s_cbranch_vccnz .LBB8_239
; %bb.238:
	global_load_u16 v2, v[0:1], off
	s_waitcnt vmcnt(0)
	v_cvt_f32_f16_e32 v2, v2
	s_delay_alu instid0(VALU_DEP_1)
	v_cvt_f64_f32_e32 v[2:3], v2
.LBB8_239:
	s_cbranch_execnz .LBB8_259
.LBB8_240:
	v_cmp_gt_i16_e32 vcc_lo, 2, v16
	s_cbranch_vccnz .LBB8_244
; %bb.241:
	v_cmp_gt_i16_e32 vcc_lo, 3, v16
	s_cbranch_vccnz .LBB8_245
; %bb.242:
	v_cmp_lt_i16_e32 vcc_lo, 3, v16
	s_cbranch_vccz .LBB8_246
; %bb.243:
	global_load_b64 v[2:3], v[0:1], off
	s_mov_b32 s0, 0
	s_waitcnt vmcnt(0)
	v_cvt_f64_i32_e32 v[3:4], v3
	v_cvt_f64_u32_e32 v[5:6], v2
	s_delay_alu instid0(VALU_DEP_2) | instskip(NEXT) | instid1(VALU_DEP_1)
	v_ldexp_f64 v[3:4], v[3:4], 32
	v_add_f64 v[2:3], v[3:4], v[5:6]
	s_branch .LBB8_247
.LBB8_244:
	s_mov_b32 s0, -1
                                        ; implicit-def: $vgpr2_vgpr3
	s_branch .LBB8_253
.LBB8_245:
	s_mov_b32 s0, -1
                                        ; implicit-def: $vgpr2_vgpr3
	s_branch .LBB8_250
.LBB8_246:
	s_mov_b32 s0, -1
                                        ; implicit-def: $vgpr2_vgpr3
.LBB8_247:
	s_delay_alu instid0(SALU_CYCLE_1)
	s_and_not1_b32 vcc_lo, exec_lo, s0
	s_cbranch_vccnz .LBB8_249
; %bb.248:
	global_load_b32 v2, v[0:1], off
	s_waitcnt vmcnt(0)
	v_cvt_f64_i32_e32 v[2:3], v2
.LBB8_249:
	s_mov_b32 s0, 0
.LBB8_250:
	s_delay_alu instid0(SALU_CYCLE_1)
	s_and_not1_b32 vcc_lo, exec_lo, s0
	s_cbranch_vccnz .LBB8_252
; %bb.251:
	global_load_i16 v2, v[0:1], off
	s_waitcnt vmcnt(0)
	v_cvt_f64_i32_e32 v[2:3], v2
.LBB8_252:
	s_mov_b32 s0, 0
.LBB8_253:
	s_delay_alu instid0(SALU_CYCLE_1)
	s_and_not1_b32 vcc_lo, exec_lo, s0
	s_cbranch_vccnz .LBB8_259
; %bb.254:
	v_cmp_lt_i16_e32 vcc_lo, 0, v16
	s_mov_b32 s0, 0
	s_cbranch_vccz .LBB8_256
; %bb.255:
	global_load_i8 v2, v[0:1], off
	s_waitcnt vmcnt(0)
	v_cvt_f64_i32_e32 v[2:3], v2
	s_branch .LBB8_257
.LBB8_256:
	s_mov_b32 s0, -1
                                        ; implicit-def: $vgpr2_vgpr3
.LBB8_257:
	s_delay_alu instid0(SALU_CYCLE_1)
	s_and_not1_b32 vcc_lo, exec_lo, s0
	s_cbranch_vccnz .LBB8_259
; %bb.258:
	global_load_u8 v0, v[0:1], off
	s_waitcnt vmcnt(0)
	v_cvt_f64_u32_e32 v[2:3], v0
.LBB8_259:
	s_branch .LBB8_11
.LBB8_260:
	s_mov_b32 s0, 0
.LBB8_261:
	s_mov_b32 s1, 0
                                        ; implicit-def: $vgpr15
.LBB8_262:
	s_and_b32 s10, s0, exec_lo
	s_and_b32 s12, s12, exec_lo
	s_or_not1_b32 s1, s1, exec_lo
.LBB8_263:
	s_or_b32 exec_lo, exec_lo, s13
	s_mov_b32 s15, 0
	s_mov_b32 s0, 0
                                        ; implicit-def: $vgpr0_vgpr1
                                        ; implicit-def: $vgpr2_vgpr3
	s_and_saveexec_b32 s13, s1
	s_cbranch_execz .LBB8_895
; %bb.264:
	s_mov_b32 s18, -1
	s_mov_b32 s14, s12
	s_mov_b32 s15, s10
	s_mov_b32 s16, exec_lo
	v_cmpx_gt_i32_e64 s11, v15
	s_cbranch_execz .LBB8_535
; %bb.265:
	v_mul_lo_u32 v0, v15, s3
	v_cmp_gt_i16_e32 vcc_lo, 11, v16
	s_delay_alu instid0(VALU_DEP_2) | instskip(SKIP_1) | instid1(VALU_DEP_1)
	v_ashrrev_i32_e32 v1, 31, v0
	v_add_co_u32 v0, s0, s6, v0
	v_add_co_ci_u32_e64 v1, s0, s7, v1, s0
	s_cbranch_vccnz .LBB8_272
; %bb.266:
	v_cmp_lt_i16_e32 vcc_lo, 25, v16
	s_cbranch_vccz .LBB8_293
; %bb.267:
	v_cmp_lt_i16_e32 vcc_lo, 28, v16
	s_cbranch_vccz .LBB8_295
	;; [unrolled: 3-line block ×4, first 2 shown]
; %bb.270:
	v_cmp_eq_u16_e32 vcc_lo, 46, v16
	s_mov_b32 s1, 0
	s_cbranch_vccz .LBB8_305
; %bb.271:
	global_load_b32 v2, v[0:1], off
	s_mov_b32 s0, -1
	s_mov_b32 s14, 0
	s_waitcnt vmcnt(0)
	v_lshlrev_b32_e32 v2, 16, v2
	s_delay_alu instid0(VALU_DEP_1)
	v_cvt_f64_f32_e32 v[2:3], v2
	s_branch .LBB8_307
.LBB8_272:
	s_mov_b32 s0, 0
	s_mov_b32 s14, s12
                                        ; implicit-def: $vgpr2_vgpr3
	s_cbranch_execnz .LBB8_484
.LBB8_273:
	s_and_not1_b32 vcc_lo, exec_lo, s0
	s_cbranch_vccnz .LBB8_532
.LBB8_274:
	s_waitcnt vmcnt(0)
	s_delay_alu instid0(VALU_DEP_1) | instskip(NEXT) | instid1(VALU_DEP_1)
	v_cmp_ge_f64_e64 s0, 0x40200000, |v[2:3]|
                                        ; implicit-def: $vgpr0_vgpr1
	s_and_saveexec_b32 s1, s0
	s_delay_alu instid0(SALU_CYCLE_1)
	s_xor_b32 s0, exec_lo, s1
	s_cbranch_execz .LBB8_280
; %bb.275:
	v_fma_f64 v[0:1], |v[2:3]|, 0.5, -2.0
	s_mov_b32 s18, 0xc38a0576
	s_mov_b32 s19, 0xbc7857d0
	s_mov_b32 s21, 0x3c499f2a
	s_mov_b32 s20, 0xc3c4014
	s_mov_b32 s1, exec_lo
	s_delay_alu instid0(VALU_DEP_1) | instskip(SKIP_3) | instid1(VALU_DEP_1)
	v_fma_f64 v[4:5], v[0:1], s[20:21], s[18:19]
	s_mov_b32 s21, 0xbc499f2a
	s_mov_b32 s18, 0xe593bfac
	;; [unrolled: 1-line block ×3, first 2 shown]
	v_fma_f64 v[6:7], v[0:1], v[4:5], s[20:21]
	s_delay_alu instid0(VALU_DEP_1) | instskip(SKIP_2) | instid1(VALU_DEP_1)
	v_add_f64 v[6:7], v[6:7], s[18:19]
	s_mov_b32 s18, 0x7e0d1573
	s_mov_b32 s19, 0xbcd3eaaa
	v_fma_f64 v[4:5], v[0:1], v[6:7], -v[4:5]
	s_delay_alu instid0(VALU_DEP_1) | instskip(SKIP_2) | instid1(VALU_DEP_1)
	v_add_f64 v[4:5], v[4:5], s[18:19]
	s_mov_b32 s18, 0x615290c
	s_mov_b32 s19, 0x3d011d7f
	v_fma_f64 v[6:7], v[0:1], v[4:5], -v[6:7]
	;; [unrolled: 5-line block ×26, first 2 shown]
	s_delay_alu instid0(VALU_DEP_1) | instskip(NEXT) | instid1(VALU_DEP_1)
	v_add_f64 v[0:1], v[0:1], s[18:19]
	v_add_f64 v[4:5], v[0:1], -v[6:7]
                                        ; implicit-def: $vgpr0_vgpr1
	v_cmpx_ngt_f64_e32 0, v[2:3]
	s_xor_b32 s1, exec_lo, s1
	s_cbranch_execz .LBB8_277
; %bb.276:
	s_mov_b32 s18, 0x652b82fe
	s_mov_b32 s19, 0x3ff71547
	;; [unrolled: 1-line block ×3, first 2 shown]
	v_mul_f64 v[0:1], |v[2:3]|, s[18:19]
	s_mov_b32 s18, 0xfefa39ef
	s_mov_b32 s19, 0xbfe62e42
	;; [unrolled: 1-line block ×3, first 2 shown]
	s_delay_alu instid0(VALU_DEP_3) | instskip(SKIP_1) | instid1(VALU_DEP_3)
	v_mul_f64 v[4:5], v[4:5], 0.5
	v_cmp_nlt_f64_e64 vcc_lo, 0x40900000, |v[2:3]|
	v_rndne_f64_e32 v[0:1], v[0:1]
	s_delay_alu instid0(VALU_DEP_1) | instskip(SKIP_4) | instid1(VALU_DEP_3)
	v_fma_f64 v[6:7], v[0:1], s[18:19], |v[2:3]|
	s_mov_b32 s18, 0x3b39803f
	s_mov_b32 s19, 0xbc7abc9e
	v_cvt_i32_f64_e32 v10, v[0:1]
	v_mul_f64 v[2:3], |v[2:3]|, v[4:5]
                                        ; implicit-def: $vgpr4_vgpr5
	v_fma_f64 v[6:7], v[0:1], s[18:19], v[6:7]
	s_mov_b32 s18, 0xfca7ab0c
	s_mov_b32 s19, 0x3e928af3
	s_delay_alu instid0(VALU_DEP_1) | instid1(SALU_CYCLE_1)
	v_fma_f64 v[8:9], v[6:7], s[20:21], s[18:19]
	s_mov_b32 s18, 0x623fde64
	s_mov_b32 s19, 0x3ec71dee
	s_delay_alu instid0(VALU_DEP_1) | instid1(SALU_CYCLE_1)
	;; [unrolled: 4-line block ×9, first 2 shown]
	v_fma_f64 v[8:9], v[6:7], v[8:9], s[18:19]
	s_delay_alu instid0(VALU_DEP_1) | instskip(NEXT) | instid1(VALU_DEP_1)
	v_fma_f64 v[8:9], v[6:7], v[8:9], 1.0
	v_fma_f64 v[0:1], v[6:7], v[8:9], 1.0
	s_delay_alu instid0(VALU_DEP_1) | instskip(NEXT) | instid1(VALU_DEP_1)
	v_ldexp_f64 v[0:1], v[0:1], v10
	v_cndmask_b32_e32 v1, 0x7ff00000, v1, vcc_lo
	s_delay_alu instid0(VALU_DEP_2) | instskip(NEXT) | instid1(VALU_DEP_1)
	v_cndmask_b32_e32 v0, 0, v0, vcc_lo
	v_mul_f64 v[0:1], v[0:1], v[2:3]
                                        ; implicit-def: $vgpr2_vgpr3
.LBB8_277:
	s_and_not1_saveexec_b32 s1, s1
	s_cbranch_execz .LBB8_279
; %bb.278:
	s_mov_b32 s18, 0x652b82fe
	s_mov_b32 s19, 0x3ff71547
	;; [unrolled: 1-line block ×3, first 2 shown]
	v_mul_f64 v[0:1], |v[2:3]|, s[18:19]
	s_mov_b32 s18, 0xfefa39ef
	s_mov_b32 s19, 0xbfe62e42
	;; [unrolled: 1-line block ×3, first 2 shown]
	s_delay_alu instid0(VALU_DEP_3) | instskip(SKIP_1) | instid1(VALU_DEP_3)
	v_mul_f64 v[4:5], v[4:5], -0.5
	v_cmp_nlt_f64_e64 vcc_lo, 0x40900000, |v[2:3]|
	v_rndne_f64_e32 v[0:1], v[0:1]
	s_delay_alu instid0(VALU_DEP_1) | instskip(SKIP_4) | instid1(VALU_DEP_3)
	v_fma_f64 v[6:7], v[0:1], s[18:19], |v[2:3]|
	s_mov_b32 s18, 0x3b39803f
	s_mov_b32 s19, 0xbc7abc9e
	v_cvt_i32_f64_e32 v10, v[0:1]
	v_mul_f64 v[2:3], |v[2:3]|, v[4:5]
	v_fma_f64 v[6:7], v[0:1], s[18:19], v[6:7]
	s_mov_b32 s18, 0xfca7ab0c
	s_mov_b32 s19, 0x3e928af3
	s_delay_alu instid0(VALU_DEP_1) | instid1(SALU_CYCLE_1)
	v_fma_f64 v[8:9], v[6:7], s[20:21], s[18:19]
	s_mov_b32 s18, 0x623fde64
	s_mov_b32 s19, 0x3ec71dee
	s_delay_alu instid0(VALU_DEP_1) | instid1(SALU_CYCLE_1)
	;; [unrolled: 4-line block ×9, first 2 shown]
	v_fma_f64 v[8:9], v[6:7], v[8:9], s[18:19]
	s_delay_alu instid0(VALU_DEP_1) | instskip(NEXT) | instid1(VALU_DEP_1)
	v_fma_f64 v[8:9], v[6:7], v[8:9], 1.0
	v_fma_f64 v[0:1], v[6:7], v[8:9], 1.0
	s_delay_alu instid0(VALU_DEP_1) | instskip(NEXT) | instid1(VALU_DEP_1)
	v_ldexp_f64 v[0:1], v[0:1], v10
	v_cndmask_b32_e32 v1, 0x7ff00000, v1, vcc_lo
	s_delay_alu instid0(VALU_DEP_2) | instskip(NEXT) | instid1(VALU_DEP_1)
	v_cndmask_b32_e32 v0, 0, v0, vcc_lo
	v_mul_f64 v[0:1], v[0:1], v[2:3]
.LBB8_279:
	s_or_b32 exec_lo, exec_lo, s1
                                        ; implicit-def: $vgpr2_vgpr3
.LBB8_280:
	s_and_not1_saveexec_b32 s0, s0
	s_cbranch_execz .LBB8_286
; %bb.281:
	v_dual_mov_b32 v0, v2 :: v_dual_and_b32 v1, 0x7fffffff, v3
	s_mov_b32 s18, 0xea87b950
	s_mov_b32 s19, 0x3c545b8a
	;; [unrolled: 1-line block ×4, first 2 shown]
	v_div_scale_f64 v[4:5], null, v[0:1], v[0:1], 0x40400000
	v_div_scale_f64 v[0:1], vcc_lo, 0x40400000, v[0:1], 0x40400000
	s_mov_b32 s22, 0x94bb46c1
	s_mov_b32 s23, 0xbe5c4153
	s_mov_b32 s1, exec_lo
	s_delay_alu instid0(VALU_DEP_2) | instskip(SKIP_2) | instid1(VALU_DEP_1)
	v_rcp_f64_e32 v[6:7], v[4:5]
	s_waitcnt_depctr 0xfff
	v_fma_f64 v[8:9], -v[4:5], v[6:7], 1.0
	v_fma_f64 v[6:7], v[6:7], v[8:9], v[6:7]
	s_delay_alu instid0(VALU_DEP_1) | instskip(NEXT) | instid1(VALU_DEP_1)
	v_fma_f64 v[8:9], -v[4:5], v[6:7], 1.0
	v_fma_f64 v[6:7], v[6:7], v[8:9], v[6:7]
	s_delay_alu instid0(VALU_DEP_1) | instskip(NEXT) | instid1(VALU_DEP_1)
	v_mul_f64 v[8:9], v[0:1], v[6:7]
	v_fma_f64 v[0:1], -v[4:5], v[8:9], v[0:1]
	s_delay_alu instid0(VALU_DEP_1) | instskip(NEXT) | instid1(VALU_DEP_1)
	v_div_fmas_f64 v[0:1], v[0:1], v[6:7], v[8:9]
	v_div_fixup_f64 v[0:1], v[0:1], |v[2:3]|, 0x40400000
	s_delay_alu instid0(VALU_DEP_1) | instskip(NEXT) | instid1(VALU_DEP_1)
	v_add_f64 v[0:1], v[0:1], -2.0
	v_fma_f64 v[4:5], v[0:1], s[20:21], s[18:19]
	s_mov_b32 s21, 0xbc61556d
	s_mov_b32 s18, 0xb2532277
	;; [unrolled: 1-line block ×3, first 2 shown]
	s_delay_alu instid0(VALU_DEP_1) | instskip(SKIP_2) | instid1(VALU_DEP_1)
	v_fma_f64 v[6:7], v[0:1], v[4:5], s[20:21]
	s_mov_b32 s20, 0x5423dd80
	s_mov_b32 s21, 0xbe0334ca
	v_add_f64 v[6:7], v[6:7], s[18:19]
	s_mov_b32 s18, 0x9c773320
	s_mov_b32 s19, 0xbc82806c
	s_delay_alu instid0(VALU_DEP_1) | instskip(NEXT) | instid1(VALU_DEP_1)
	v_fma_f64 v[4:5], v[0:1], v[6:7], -v[4:5]
	v_add_f64 v[4:5], v[4:5], s[18:19]
	s_mov_b32 s18, 0xfceb588a
	s_mov_b32 s19, 0x3cb55915
	s_delay_alu instid0(VALU_DEP_1) | instskip(NEXT) | instid1(VALU_DEP_1)
	v_fma_f64 v[6:7], v[0:1], v[4:5], -v[6:7]
	;; [unrolled: 5-line block ×14, first 2 shown]
	v_add_f64 v[6:7], v[6:7], s[18:19]
	s_mov_b32 s18, 0x652b82fe
	s_mov_b32 s19, 0x3ff71547
	s_delay_alu instid0(SALU_CYCLE_1) | instskip(SKIP_2) | instid1(VALU_DEP_2)
	v_mul_f64 v[8:9], |v[2:3]|, s[18:19]
	s_mov_b32 s18, 0xfefa39ef
	s_mov_b32 s19, 0xbfe62e42
	v_fma_f64 v[4:5], v[0:1], v[6:7], -v[4:5]
	s_delay_alu instid0(VALU_DEP_2) | instskip(NEXT) | instid1(VALU_DEP_2)
	v_rndne_f64_e32 v[10:11], v[8:9]
	v_add_f64 v[4:5], v[4:5], s[20:21]
	s_mov_b32 s20, 0x9ad53528
	s_mov_b32 s21, 0xbe30790b
	s_delay_alu instid0(VALU_DEP_2) | instskip(SKIP_2) | instid1(VALU_DEP_2)
	v_fma_f64 v[8:9], v[10:11], s[18:19], |v[2:3]|
	s_mov_b32 s18, 0x3b39803f
	s_mov_b32 s19, 0xbc7abc9e
	v_fma_f64 v[6:7], v[0:1], v[4:5], -v[6:7]
	s_delay_alu instid0(VALU_DEP_2) | instskip(SKIP_3) | instid1(VALU_DEP_3)
	v_fma_f64 v[8:9], v[10:11], s[18:19], v[8:9]
	s_mov_b32 s18, 0xfca7ab0c
	s_mov_b32 s19, 0x3e928af3
	v_cvt_i32_f64_e32 v10, v[10:11]
	v_add_f64 v[6:7], v[6:7], s[20:21]
	s_mov_b32 s20, 0x6a5dcb37
	s_mov_b32 s21, 0x3e5ade15
	s_delay_alu instid0(VALU_DEP_3) | instid1(SALU_CYCLE_1)
	v_fma_f64 v[12:13], v[8:9], s[20:21], s[18:19]
	s_mov_b32 s18, 0x623fde64
	s_mov_b32 s19, 0x3ec71dee
	;; [unrolled: 1-line block ×4, first 2 shown]
	s_delay_alu instid0(VALU_DEP_2) | instskip(NEXT) | instid1(VALU_DEP_2)
	v_fma_f64 v[4:5], v[0:1], v[6:7], -v[4:5]
	v_fma_f64 v[12:13], v[8:9], v[12:13], s[18:19]
	s_mov_b32 s18, 0x7c89e6b0
	s_mov_b32 s19, 0x3efa0199
	s_delay_alu instid0(VALU_DEP_2) | instskip(NEXT) | instid1(VALU_DEP_2)
	v_add_f64 v[4:5], v[4:5], s[22:23]
	v_fma_f64 v[12:13], v[8:9], v[12:13], s[18:19]
	s_mov_b32 s18, 0x14761f6e
	s_mov_b32 s19, 0x3f2a01a0
	s_delay_alu instid0(VALU_DEP_2) | instskip(NEXT) | instid1(VALU_DEP_2)
	v_fma_f64 v[6:7], v[0:1], v[4:5], -v[6:7]
	v_fma_f64 v[12:13], v[8:9], v[12:13], s[18:19]
	s_mov_b32 s18, 0x1852b7b0
	s_mov_b32 s19, 0x3f56c16c
	s_delay_alu instid0(VALU_DEP_2) | instskip(SKIP_2) | instid1(VALU_DEP_2)
	v_add_f64 v[6:7], v[6:7], s[20:21]
	s_mov_b32 s20, 0x49ca0373
	s_mov_b32 s21, 0xbed048df
	v_fma_f64 v[12:13], v[8:9], v[12:13], s[18:19]
	s_mov_b32 s18, 0x11122322
	s_mov_b32 s19, 0x3f811111
	s_delay_alu instid0(VALU_DEP_2) | instskip(NEXT) | instid1(VALU_DEP_1)
	v_fma_f64 v[4:5], v[0:1], v[6:7], -v[4:5]
	v_add_f64 v[17:18], v[4:5], s[20:21]
	s_delay_alu instid0(VALU_DEP_3) | instskip(SKIP_4) | instid1(VALU_DEP_2)
	v_fma_f64 v[4:5], v[8:9], v[12:13], s[18:19]
	s_mov_b32 s18, 0x555502a1
	s_mov_b32 s20, 0x804aa9a6
	s_mov_b32 s19, 0x3fa55555
	s_mov_b32 s21, 0xbf1cfd7f
	v_fma_f64 v[6:7], v[0:1], v[17:18], -v[6:7]
	s_delay_alu instid0(VALU_DEP_2) | instskip(SKIP_2) | instid1(VALU_DEP_2)
	v_fma_f64 v[12:13], v[8:9], v[4:5], s[18:19]
	s_mov_b32 s18, 0x55555511
	s_mov_b32 s19, 0x3fc55555
	v_add_f64 v[4:5], v[6:7], s[20:21]
	s_delay_alu instid0(VALU_DEP_2) | instskip(SKIP_4) | instid1(VALU_DEP_2)
	v_fma_f64 v[6:7], v[8:9], v[12:13], s[18:19]
	s_mov_b32 s18, 11
	s_mov_b32 s20, 0x53fcdb4c
	;; [unrolled: 1-line block ×4, first 2 shown]
	v_fma_f64 v[12:13], v[0:1], v[4:5], -v[17:18]
	s_delay_alu instid0(VALU_DEP_2) | instskip(SKIP_2) | instid1(VALU_DEP_2)
	v_fma_f64 v[6:7], v[8:9], v[6:7], s[18:19]
	s_mov_b32 s18, 0xb55b1514
	s_mov_b32 s19, 0x3fe8ea18
	v_add_f64 v[12:13], v[12:13], s[20:21]
	s_delay_alu instid0(VALU_DEP_2) | instskip(NEXT) | instid1(VALU_DEP_2)
	v_fma_f64 v[6:7], v[8:9], v[6:7], 1.0
	v_fma_f64 v[0:1], v[0:1], v[12:13], -v[4:5]
	s_delay_alu instid0(VALU_DEP_2) | instskip(NEXT) | instid1(VALU_DEP_2)
	v_fma_f64 v[6:7], v[8:9], v[6:7], 1.0
	v_add_f64 v[8:9], v[0:1], s[18:19]
                                        ; implicit-def: $vgpr0_vgpr1
	v_cmpx_ngt_f64_e32 0, v[2:3]
	s_xor_b32 s1, exec_lo, s1
	s_cbranch_execz .LBB8_283
; %bb.282:
	v_cmp_gt_f64_e64 s15, 0x10000000, |v[2:3]|
	s_delay_alu instid0(VALU_DEP_4) | instskip(SKIP_2) | instid1(VALU_DEP_4)
	v_ldexp_f64 v[6:7], v[6:7], v10
	v_cmp_nlt_f64_e64 vcc_lo, 0x40900000, |v[2:3]|
	v_add_f64 v[4:5], v[8:9], -v[4:5]
	v_cndmask_b32_e64 v0, 0, 1, s15
	v_cndmask_b32_e64 v8, 0, 0xffffff80, s15
	v_cndmask_b32_e32 v7, 0x7ff00000, v7, vcc_lo
	s_delay_alu instid0(VALU_DEP_4) | instskip(NEXT) | instid1(VALU_DEP_4)
	v_mul_f64 v[4:5], v[4:5], 0.5
	v_lshlrev_b32_e32 v0, 8, v0
	s_delay_alu instid0(VALU_DEP_1) | instskip(NEXT) | instid1(VALU_DEP_1)
	v_ldexp_f64 v[0:1], |v[2:3]|, v0
	v_rsq_f64_e32 v[11:12], v[0:1]
	s_waitcnt_depctr 0xfff
	v_mul_f64 v[17:18], v[0:1], v[11:12]
	v_mul_f64 v[11:12], v[11:12], 0.5
	s_delay_alu instid0(VALU_DEP_1) | instskip(NEXT) | instid1(VALU_DEP_1)
	v_fma_f64 v[19:20], -v[11:12], v[17:18], 0.5
	v_fma_f64 v[17:18], v[17:18], v[19:20], v[17:18]
	v_fma_f64 v[11:12], v[11:12], v[19:20], v[11:12]
	s_delay_alu instid0(VALU_DEP_2) | instskip(NEXT) | instid1(VALU_DEP_1)
	v_fma_f64 v[19:20], -v[17:18], v[17:18], v[0:1]
	v_fma_f64 v[17:18], v[19:20], v[11:12], v[17:18]
	s_delay_alu instid0(VALU_DEP_1) | instskip(NEXT) | instid1(VALU_DEP_1)
	v_fma_f64 v[19:20], -v[17:18], v[17:18], v[0:1]
	v_fma_f64 v[2:3], v[19:20], v[11:12], v[17:18]
	s_delay_alu instid0(VALU_DEP_1) | instskip(SKIP_2) | instid1(VALU_DEP_3)
	v_ldexp_f64 v[2:3], v[2:3], v8
	v_cndmask_b32_e32 v6, 0, v6, vcc_lo
	v_cmp_class_f64_e64 vcc_lo, v[0:1], 0x260
	v_cndmask_b32_e32 v1, v3, v1, vcc_lo
	s_delay_alu instid0(VALU_DEP_3) | instskip(SKIP_1) | instid1(VALU_DEP_1)
	v_mul_f64 v[4:5], v[6:7], v[4:5]
	v_cndmask_b32_e32 v0, v2, v0, vcc_lo
	v_div_scale_f64 v[2:3], null, v[0:1], v[0:1], v[4:5]
	s_delay_alu instid0(VALU_DEP_1) | instskip(SKIP_2) | instid1(VALU_DEP_1)
	v_rcp_f64_e32 v[6:7], v[2:3]
	s_waitcnt_depctr 0xfff
	v_fma_f64 v[8:9], -v[2:3], v[6:7], 1.0
	v_fma_f64 v[6:7], v[6:7], v[8:9], v[6:7]
	s_delay_alu instid0(VALU_DEP_1) | instskip(NEXT) | instid1(VALU_DEP_1)
	v_fma_f64 v[8:9], -v[2:3], v[6:7], 1.0
	v_fma_f64 v[6:7], v[6:7], v[8:9], v[6:7]
	v_div_scale_f64 v[8:9], vcc_lo, v[4:5], v[0:1], v[4:5]
	s_delay_alu instid0(VALU_DEP_1) | instskip(NEXT) | instid1(VALU_DEP_1)
	v_mul_f64 v[10:11], v[8:9], v[6:7]
	v_fma_f64 v[2:3], -v[2:3], v[10:11], v[8:9]
                                        ; implicit-def: $vgpr8_vgpr9
	s_delay_alu instid0(VALU_DEP_1) | instskip(NEXT) | instid1(VALU_DEP_1)
	v_div_fmas_f64 v[2:3], v[2:3], v[6:7], v[10:11]
                                        ; implicit-def: $vgpr6_vgpr7
                                        ; implicit-def: $vgpr10
	v_div_fixup_f64 v[0:1], v[2:3], v[0:1], v[4:5]
                                        ; implicit-def: $vgpr4_vgpr5
                                        ; implicit-def: $vgpr2_vgpr3
.LBB8_283:
	s_and_not1_saveexec_b32 s1, s1
	s_cbranch_execz .LBB8_285
; %bb.284:
	v_cmp_gt_f64_e64 s15, 0x10000000, |v[2:3]|
	s_delay_alu instid0(VALU_DEP_4) | instskip(SKIP_2) | instid1(VALU_DEP_4)
	v_ldexp_f64 v[6:7], -v[6:7], v10
	v_cmp_nlt_f64_e64 vcc_lo, 0x40900000, |v[2:3]|
	v_add_f64 v[4:5], v[8:9], -v[4:5]
	v_cndmask_b32_e64 v0, 0, 1, s15
	v_cndmask_b32_e64 v8, 0, 0xffffff80, s15
	v_cndmask_b32_e32 v7, 0xfff00000, v7, vcc_lo
	s_delay_alu instid0(VALU_DEP_4) | instskip(NEXT) | instid1(VALU_DEP_4)
	v_mul_f64 v[4:5], v[4:5], 0.5
	v_lshlrev_b32_e32 v0, 8, v0
	s_delay_alu instid0(VALU_DEP_1) | instskip(NEXT) | instid1(VALU_DEP_1)
	v_ldexp_f64 v[0:1], |v[2:3]|, v0
	v_rsq_f64_e32 v[11:12], v[0:1]
	s_waitcnt_depctr 0xfff
	v_mul_f64 v[17:18], v[0:1], v[11:12]
	v_mul_f64 v[11:12], v[11:12], 0.5
	s_delay_alu instid0(VALU_DEP_1) | instskip(NEXT) | instid1(VALU_DEP_1)
	v_fma_f64 v[19:20], -v[11:12], v[17:18], 0.5
	v_fma_f64 v[17:18], v[17:18], v[19:20], v[17:18]
	v_fma_f64 v[11:12], v[11:12], v[19:20], v[11:12]
	s_delay_alu instid0(VALU_DEP_2) | instskip(NEXT) | instid1(VALU_DEP_1)
	v_fma_f64 v[19:20], -v[17:18], v[17:18], v[0:1]
	v_fma_f64 v[17:18], v[19:20], v[11:12], v[17:18]
	s_delay_alu instid0(VALU_DEP_1) | instskip(NEXT) | instid1(VALU_DEP_1)
	v_fma_f64 v[19:20], -v[17:18], v[17:18], v[0:1]
	v_fma_f64 v[2:3], v[19:20], v[11:12], v[17:18]
	s_delay_alu instid0(VALU_DEP_1) | instskip(SKIP_2) | instid1(VALU_DEP_3)
	v_ldexp_f64 v[2:3], v[2:3], v8
	v_cndmask_b32_e32 v6, 0, v6, vcc_lo
	v_cmp_class_f64_e64 vcc_lo, v[0:1], 0x260
	v_cndmask_b32_e32 v1, v3, v1, vcc_lo
	s_delay_alu instid0(VALU_DEP_3) | instskip(SKIP_1) | instid1(VALU_DEP_1)
	v_mul_f64 v[4:5], v[6:7], v[4:5]
	v_cndmask_b32_e32 v0, v2, v0, vcc_lo
	v_div_scale_f64 v[2:3], null, v[0:1], v[0:1], v[4:5]
	s_delay_alu instid0(VALU_DEP_1) | instskip(SKIP_2) | instid1(VALU_DEP_1)
	v_rcp_f64_e32 v[6:7], v[2:3]
	s_waitcnt_depctr 0xfff
	v_fma_f64 v[8:9], -v[2:3], v[6:7], 1.0
	v_fma_f64 v[6:7], v[6:7], v[8:9], v[6:7]
	s_delay_alu instid0(VALU_DEP_1) | instskip(NEXT) | instid1(VALU_DEP_1)
	v_fma_f64 v[8:9], -v[2:3], v[6:7], 1.0
	v_fma_f64 v[6:7], v[6:7], v[8:9], v[6:7]
	v_div_scale_f64 v[8:9], vcc_lo, v[4:5], v[0:1], v[4:5]
	s_delay_alu instid0(VALU_DEP_1) | instskip(NEXT) | instid1(VALU_DEP_1)
	v_mul_f64 v[10:11], v[8:9], v[6:7]
	v_fma_f64 v[2:3], -v[2:3], v[10:11], v[8:9]
	s_delay_alu instid0(VALU_DEP_1) | instskip(NEXT) | instid1(VALU_DEP_1)
	v_div_fmas_f64 v[2:3], v[2:3], v[6:7], v[10:11]
	v_div_fixup_f64 v[0:1], v[2:3], v[0:1], v[4:5]
.LBB8_285:
	s_or_b32 exec_lo, exec_lo, s1
.LBB8_286:
	s_delay_alu instid0(SALU_CYCLE_1) | instskip(SKIP_2) | instid1(VALU_DEP_1)
	s_or_b32 exec_lo, exec_lo, s0
	v_mul_lo_u32 v2, v15, s2
	v_and_b32_e32 v6, 0xff, v14
	v_cmp_gt_i16_e32 vcc_lo, 11, v6
	s_delay_alu instid0(VALU_DEP_3) | instskip(SKIP_1) | instid1(VALU_DEP_1)
	v_ashrrev_i32_e32 v3, 31, v2
	v_add_co_u32 v4, s0, s4, v2
	v_add_co_ci_u32_e64 v5, s0, s5, v3, s0
	s_cbranch_vccnz .LBB8_294
; %bb.287:
	v_cmp_lt_i16_e32 vcc_lo, 25, v6
	s_cbranch_vccz .LBB8_296
; %bb.288:
	v_cmp_lt_i16_e32 vcc_lo, 28, v6
	s_cbranch_vccz .LBB8_298
	;; [unrolled: 3-line block ×4, first 2 shown]
; %bb.291:
	v_cmp_eq_u16_e32 vcc_lo, 46, v6
	s_mov_b32 s15, 0
	s_mov_b32 s0, -1
	s_mov_b32 s1, 0
	s_cbranch_vccz .LBB8_311
; %bb.292:
	v_cvt_f32_f64_e32 v2, v[0:1]
	s_mov_b32 s1, -1
	s_mov_b32 s0, 0
	s_delay_alu instid0(VALU_DEP_1) | instskip(SKIP_1) | instid1(VALU_DEP_2)
	v_bfe_u32 v3, v2, 16, 1
	v_cmp_o_f32_e32 vcc_lo, v2, v2
	v_add3_u32 v3, v2, v3, 0x7fff
	s_delay_alu instid0(VALU_DEP_1) | instskip(NEXT) | instid1(VALU_DEP_1)
	v_lshrrev_b32_e32 v3, 16, v3
	v_cndmask_b32_e32 v2, 0x7fc0, v3, vcc_lo
	global_store_b32 v[4:5], v2, off
	s_branch .LBB8_311
.LBB8_293:
	s_mov_b32 s1, -1
	s_mov_b32 s0, 0
	s_mov_b32 s14, s12
                                        ; implicit-def: $vgpr2_vgpr3
	s_branch .LBB8_450
.LBB8_294:
	s_mov_b32 s15, -1
	s_mov_b32 s1, 0
	s_mov_b32 s0, s10
	s_branch .LBB8_380
.LBB8_295:
	s_mov_b32 s1, -1
	s_mov_b32 s0, 0
	s_mov_b32 s14, s12
                                        ; implicit-def: $vgpr2_vgpr3
	s_branch .LBB8_429
.LBB8_296:
	s_mov_b32 s15, -1
	s_mov_b32 s1, 0
	s_mov_b32 s0, s10
	s_branch .LBB8_338
.LBB8_297:
	s_mov_b32 s1, -1
	s_mov_b32 s0, 0
	s_mov_b32 s14, s12
                                        ; implicit-def: $vgpr2_vgpr3
	s_branch .LBB8_424
.LBB8_298:
	s_mov_b32 s15, -1
	s_mov_b32 s1, 0
	s_mov_b32 s0, s10
	s_branch .LBB8_321
.LBB8_299:
	s_or_saveexec_b32 s15, s15
                                        ; implicit-def: $sgpr16
	s_delay_alu instid0(SALU_CYCLE_1)
	s_xor_b32 exec_lo, exec_lo, s15
	s_cbranch_execz .LBB8_65
.LBB8_300:
	v_add_f32_e64 v3, 0x46000000, |v2|
	s_and_not1_b32 s10, s10, exec_lo
	s_mov_b32 s16, 0
	s_delay_alu instid0(VALU_DEP_1) | instskip(NEXT) | instid1(VALU_DEP_1)
	v_and_b32_e32 v3, 0xff, v3
	v_cmp_ne_u32_e32 vcc_lo, 0, v3
	s_and_b32 s17, vcc_lo, exec_lo
	s_delay_alu instid0(SALU_CYCLE_1)
	s_or_b32 s10, s10, s17
	s_or_b32 exec_lo, exec_lo, s15
	v_mov_b32_e32 v7, s16
	s_and_saveexec_b32 s15, s10
	s_cbranch_execnz .LBB8_66
	s_branch .LBB8_67
.LBB8_301:
	s_mov_b32 s1, -1
	s_mov_b32 s0, 0
	s_mov_b32 s14, s12
	s_branch .LBB8_306
.LBB8_302:
	s_mov_b32 s15, -1
	s_mov_b32 s1, 0
	s_mov_b32 s0, s10
	s_branch .LBB8_317
.LBB8_303:
	s_or_saveexec_b32 s15, s15
                                        ; implicit-def: $sgpr16
	s_delay_alu instid0(SALU_CYCLE_1)
	s_xor_b32 exec_lo, exec_lo, s15
	s_cbranch_execz .LBB8_78
.LBB8_304:
	v_add_f32_e64 v3, 0x42800000, |v2|
	s_and_not1_b32 s10, s10, exec_lo
	s_mov_b32 s16, 0
	s_delay_alu instid0(VALU_DEP_1) | instskip(NEXT) | instid1(VALU_DEP_1)
	v_and_b32_e32 v3, 0xff, v3
	v_cmp_ne_u32_e32 vcc_lo, 0, v3
	s_and_b32 s17, vcc_lo, exec_lo
	s_delay_alu instid0(SALU_CYCLE_1)
	s_or_b32 s10, s10, s17
	s_or_b32 exec_lo, exec_lo, s15
	v_mov_b32_e32 v7, s16
	s_and_saveexec_b32 s15, s10
	s_cbranch_execnz .LBB8_79
	s_branch .LBB8_80
.LBB8_305:
	s_mov_b32 s14, -1
	s_mov_b32 s0, 0
.LBB8_306:
                                        ; implicit-def: $vgpr2_vgpr3
.LBB8_307:
	s_and_b32 vcc_lo, exec_lo, s1
	s_cbranch_vccz .LBB8_423
; %bb.308:
	v_cmp_eq_u16_e32 vcc_lo, 44, v16
	s_cbranch_vccz .LBB8_422
; %bb.309:
	global_load_u8 v4, v[0:1], off
	s_mov_b32 s14, 0
	s_mov_b32 s0, -1
	s_waitcnt vmcnt(0)
	v_cmp_ne_u32_e32 vcc_lo, 0xff, v4
	v_lshlrev_b32_e32 v2, 23, v4
	s_delay_alu instid0(VALU_DEP_1) | instskip(NEXT) | instid1(VALU_DEP_1)
	v_cvt_f64_f32_e32 v[2:3], v2
	v_cndmask_b32_e32 v3, 0x7ff80000, v3, vcc_lo
	s_delay_alu instid0(VALU_DEP_2) | instskip(SKIP_1) | instid1(VALU_DEP_3)
	v_cndmask_b32_e32 v2, 0x20000000, v2, vcc_lo
	v_cmp_ne_u32_e32 vcc_lo, 0, v4
	v_cndmask_b32_e32 v3, 0x38000000, v3, vcc_lo
	s_delay_alu instid0(VALU_DEP_3)
	v_cndmask_b32_e32 v2, 0, v2, vcc_lo
	s_branch .LBB8_423
.LBB8_310:
	s_mov_b32 s15, -1
	s_mov_b32 s1, 0
	s_mov_b32 s0, s10
.LBB8_311:
	s_and_b32 vcc_lo, exec_lo, s15
	s_cbranch_vccz .LBB8_316
; %bb.312:
	v_cmp_eq_u16_e32 vcc_lo, 44, v6
	s_mov_b32 s0, -1
	s_cbranch_vccz .LBB8_316
; %bb.313:
	v_cvt_f32_f64_e32 v2, v[0:1]
	v_mov_b32_e32 v3, 0xff
	s_mov_b32 s1, exec_lo
	s_delay_alu instid0(VALU_DEP_2) | instskip(NEXT) | instid1(VALU_DEP_1)
	v_bfe_u32 v7, v2, 23, 8
	v_cmpx_ne_u32_e32 0xff, v7
; %bb.314:
	v_and_b32_e32 v3, 0x400000, v2
	v_and_or_b32 v7, 0x3fffff, v2, v7
	v_lshrrev_b32_e32 v2, 23, v2
	s_delay_alu instid0(VALU_DEP_3) | instskip(NEXT) | instid1(VALU_DEP_3)
	v_cmp_ne_u32_e32 vcc_lo, 0, v3
	v_cmp_ne_u32_e64 s0, 0, v7
	s_delay_alu instid0(VALU_DEP_1) | instskip(NEXT) | instid1(SALU_CYCLE_1)
	s_and_b32 s0, vcc_lo, s0
	v_cndmask_b32_e64 v3, 0, 1, s0
	s_delay_alu instid0(VALU_DEP_1)
	v_add_nc_u32_e32 v3, v2, v3
; %bb.315:
	s_or_b32 exec_lo, exec_lo, s1
	s_mov_b32 s1, -1
	s_mov_b32 s0, 0
	global_store_b8 v[4:5], v3, off
.LBB8_316:
	s_mov_b32 s15, 0
.LBB8_317:
	s_delay_alu instid0(SALU_CYCLE_1)
	s_and_b32 vcc_lo, exec_lo, s15
	s_cbranch_vccz .LBB8_320
; %bb.318:
	v_cmp_eq_u16_e32 vcc_lo, 29, v6
	s_mov_b32 s0, -1
	s_cbranch_vccz .LBB8_320
; %bb.319:
	v_trunc_f64_e32 v[2:3], v[0:1]
	s_mov_b32 s1, -1
	s_mov_b32 s0, 0
	s_mov_b32 s15, 0
	s_delay_alu instid0(VALU_DEP_1) | instskip(NEXT) | instid1(VALU_DEP_1)
	v_ldexp_f64 v[7:8], v[2:3], 0xffffffe0
	v_floor_f64_e32 v[7:8], v[7:8]
	s_delay_alu instid0(VALU_DEP_1) | instskip(SKIP_1) | instid1(VALU_DEP_2)
	v_fma_f64 v[2:3], 0xc1f00000, v[7:8], v[2:3]
	v_cvt_u32_f64_e32 v8, v[7:8]
	v_cvt_u32_f64_e32 v7, v[2:3]
	global_store_b64 v[4:5], v[7:8], off
	s_branch .LBB8_321
.LBB8_320:
	s_mov_b32 s15, 0
.LBB8_321:
	s_delay_alu instid0(SALU_CYCLE_1)
	s_and_b32 vcc_lo, exec_lo, s15
	s_cbranch_vccz .LBB8_337
; %bb.322:
	v_cmp_gt_i16_e32 vcc_lo, 27, v6
	s_mov_b32 s1, -1
	s_cbranch_vccnz .LBB8_328
; %bb.323:
	v_cmp_lt_i16_e32 vcc_lo, 27, v6
	s_cbranch_vccz .LBB8_325
; %bb.324:
	v_cvt_u32_f64_e32 v2, v[0:1]
	s_mov_b32 s1, 0
	global_store_b32 v[4:5], v2, off
.LBB8_325:
	s_and_not1_b32 vcc_lo, exec_lo, s1
	s_cbranch_vccnz .LBB8_327
; %bb.326:
	v_cvt_u32_f64_e32 v2, v[0:1]
	global_store_b16 v[4:5], v2, off
.LBB8_327:
	s_mov_b32 s1, 0
.LBB8_328:
	s_delay_alu instid0(SALU_CYCLE_1)
	s_and_not1_b32 vcc_lo, exec_lo, s1
	s_cbranch_vccnz .LBB8_336
; %bb.329:
	v_cvt_f32_f64_e32 v2, v[0:1]
	v_mov_b32_e32 v7, 0x80
	s_mov_b32 s1, exec_lo
	s_delay_alu instid0(VALU_DEP_2) | instskip(NEXT) | instid1(VALU_DEP_1)
	v_and_b32_e32 v3, 0x7fffffff, v2
	v_cmpx_gt_u32_e32 0x43800000, v3
	s_cbranch_execz .LBB8_335
; %bb.330:
	v_cmp_lt_u32_e32 vcc_lo, 0x3bffffff, v3
	s_mov_b32 s15, 0
                                        ; implicit-def: $vgpr3
	s_and_saveexec_b32 s17, vcc_lo
	s_delay_alu instid0(SALU_CYCLE_1)
	s_xor_b32 s17, exec_lo, s17
	s_cbranch_execz .LBB8_548
; %bb.331:
	v_bfe_u32 v3, v2, 20, 1
	s_mov_b32 s15, exec_lo
	s_delay_alu instid0(VALU_DEP_1) | instskip(NEXT) | instid1(VALU_DEP_1)
	v_add3_u32 v3, v2, v3, 0x487ffff
	v_lshrrev_b32_e32 v3, 20, v3
	s_or_saveexec_b32 s17, s17
                                        ; implicit-def: $sgpr18
	s_delay_alu instid0(SALU_CYCLE_1)
	s_xor_b32 exec_lo, exec_lo, s17
	s_cbranch_execnz .LBB8_549
.LBB8_332:
	s_or_b32 exec_lo, exec_lo, s17
	v_mov_b32_e32 v7, s18
	s_and_saveexec_b32 s17, s15
.LBB8_333:
	v_lshrrev_b32_e32 v2, 24, v2
	s_delay_alu instid0(VALU_DEP_1)
	v_and_or_b32 v7, 0x80, v2, v3
.LBB8_334:
	s_or_b32 exec_lo, exec_lo, s17
.LBB8_335:
	s_delay_alu instid0(SALU_CYCLE_1)
	s_or_b32 exec_lo, exec_lo, s1
	global_store_b8 v[4:5], v7, off
.LBB8_336:
	s_mov_b32 s1, -1
.LBB8_337:
	s_mov_b32 s15, 0
.LBB8_338:
	s_delay_alu instid0(SALU_CYCLE_1)
	s_and_b32 vcc_lo, exec_lo, s15
	s_cbranch_vccz .LBB8_379
; %bb.339:
	v_cmp_lt_i16_e32 vcc_lo, 22, v6
	s_mov_b32 s15, -1
	s_cbranch_vccz .LBB8_371
; %bb.340:
	v_cmp_gt_i16_e32 vcc_lo, 24, v6
	s_mov_b32 s1, -1
	s_cbranch_vccnz .LBB8_360
; %bb.341:
	v_cmp_lt_i16_e32 vcc_lo, 24, v6
	s_cbranch_vccz .LBB8_349
; %bb.342:
	v_cvt_f32_f64_e32 v2, v[0:1]
	v_mov_b32_e32 v7, 0x80
	s_mov_b32 s1, exec_lo
	s_delay_alu instid0(VALU_DEP_2) | instskip(NEXT) | instid1(VALU_DEP_1)
	v_and_b32_e32 v3, 0x7fffffff, v2
	v_cmpx_gt_u32_e32 0x47800000, v3
	s_cbranch_execz .LBB8_348
; %bb.343:
	v_cmp_lt_u32_e32 vcc_lo, 0x37ffffff, v3
	s_mov_b32 s15, 0
                                        ; implicit-def: $vgpr3
	s_and_saveexec_b32 s17, vcc_lo
	s_delay_alu instid0(SALU_CYCLE_1)
	s_xor_b32 s17, exec_lo, s17
	s_cbranch_execz .LBB8_551
; %bb.344:
	v_bfe_u32 v3, v2, 21, 1
	s_mov_b32 s15, exec_lo
	s_delay_alu instid0(VALU_DEP_1) | instskip(NEXT) | instid1(VALU_DEP_1)
	v_add3_u32 v3, v2, v3, 0x88fffff
	v_lshrrev_b32_e32 v3, 21, v3
	s_or_saveexec_b32 s17, s17
                                        ; implicit-def: $sgpr18
	s_delay_alu instid0(SALU_CYCLE_1)
	s_xor_b32 exec_lo, exec_lo, s17
	s_cbranch_execnz .LBB8_552
.LBB8_345:
	s_or_b32 exec_lo, exec_lo, s17
	v_mov_b32_e32 v7, s18
	s_and_saveexec_b32 s17, s15
.LBB8_346:
	v_lshrrev_b32_e32 v2, 24, v2
	s_delay_alu instid0(VALU_DEP_1)
	v_and_or_b32 v7, 0x80, v2, v3
.LBB8_347:
	s_or_b32 exec_lo, exec_lo, s17
.LBB8_348:
	s_delay_alu instid0(SALU_CYCLE_1)
	s_or_b32 exec_lo, exec_lo, s1
	s_mov_b32 s1, 0
	global_store_b8 v[4:5], v7, off
.LBB8_349:
	s_and_b32 vcc_lo, exec_lo, s1
	s_cbranch_vccz .LBB8_359
; %bb.350:
	v_cvt_f32_f64_e32 v2, v[0:1]
	s_mov_b32 s1, exec_lo
                                        ; implicit-def: $vgpr3
	s_delay_alu instid0(VALU_DEP_1) | instskip(NEXT) | instid1(VALU_DEP_1)
	v_and_b32_e32 v7, 0x7fffffff, v2
	v_cmpx_gt_u32_e32 0x43f00000, v7
	s_xor_b32 s1, exec_lo, s1
	s_cbranch_execz .LBB8_356
; %bb.351:
	s_mov_b32 s15, exec_lo
                                        ; implicit-def: $vgpr3
	v_cmpx_lt_u32_e32 0x3c7fffff, v7
	s_xor_b32 s15, exec_lo, s15
; %bb.352:
	v_bfe_u32 v3, v2, 20, 1
	s_delay_alu instid0(VALU_DEP_1) | instskip(NEXT) | instid1(VALU_DEP_1)
	v_add3_u32 v3, v2, v3, 0x407ffff
	v_and_b32_e32 v7, 0xff00000, v3
	v_lshrrev_b32_e32 v3, 20, v3
	s_delay_alu instid0(VALU_DEP_2) | instskip(NEXT) | instid1(VALU_DEP_2)
	v_cmp_ne_u32_e32 vcc_lo, 0x7f00000, v7
	v_cndmask_b32_e32 v3, 0x7e, v3, vcc_lo
; %bb.353:
	s_and_not1_saveexec_b32 s15, s15
; %bb.354:
	v_add_f32_e64 v3, 0x46800000, |v2|
; %bb.355:
	s_or_b32 exec_lo, exec_lo, s15
                                        ; implicit-def: $vgpr7
.LBB8_356:
	s_and_not1_saveexec_b32 s1, s1
; %bb.357:
	v_mov_b32_e32 v3, 0x7f
	v_cmp_lt_u32_e32 vcc_lo, 0x7f800000, v7
	s_delay_alu instid0(VALU_DEP_2)
	v_cndmask_b32_e32 v3, 0x7e, v3, vcc_lo
; %bb.358:
	s_or_b32 exec_lo, exec_lo, s1
	v_lshrrev_b32_e32 v2, 24, v2
	s_delay_alu instid0(VALU_DEP_1)
	v_and_or_b32 v2, 0x80, v2, v3
	global_store_b8 v[4:5], v2, off
.LBB8_359:
	s_mov_b32 s1, 0
.LBB8_360:
	s_delay_alu instid0(SALU_CYCLE_1)
	s_and_not1_b32 vcc_lo, exec_lo, s1
	s_cbranch_vccnz .LBB8_370
; %bb.361:
	v_cvt_f32_f64_e32 v2, v[0:1]
	s_mov_b32 s1, exec_lo
                                        ; implicit-def: $vgpr3
	s_delay_alu instid0(VALU_DEP_1) | instskip(NEXT) | instid1(VALU_DEP_1)
	v_and_b32_e32 v7, 0x7fffffff, v2
	v_cmpx_gt_u32_e32 0x47800000, v7
	s_xor_b32 s1, exec_lo, s1
	s_cbranch_execz .LBB8_367
; %bb.362:
	s_mov_b32 s15, exec_lo
                                        ; implicit-def: $vgpr3
	v_cmpx_lt_u32_e32 0x387fffff, v7
	s_xor_b32 s15, exec_lo, s15
; %bb.363:
	v_bfe_u32 v3, v2, 21, 1
	s_delay_alu instid0(VALU_DEP_1) | instskip(NEXT) | instid1(VALU_DEP_1)
	v_add3_u32 v3, v2, v3, 0x80fffff
	v_lshrrev_b32_e32 v3, 21, v3
; %bb.364:
	s_and_not1_saveexec_b32 s15, s15
; %bb.365:
	v_add_f32_e64 v3, 0x43000000, |v2|
; %bb.366:
	s_or_b32 exec_lo, exec_lo, s15
                                        ; implicit-def: $vgpr7
.LBB8_367:
	s_and_not1_saveexec_b32 s1, s1
; %bb.368:
	v_mov_b32_e32 v3, 0x7f
	v_cmp_lt_u32_e32 vcc_lo, 0x7f800000, v7
	s_delay_alu instid0(VALU_DEP_2)
	v_cndmask_b32_e32 v3, 0x7c, v3, vcc_lo
; %bb.369:
	s_or_b32 exec_lo, exec_lo, s1
	v_lshrrev_b32_e32 v2, 24, v2
	s_delay_alu instid0(VALU_DEP_1)
	v_and_or_b32 v2, 0x80, v2, v3
	global_store_b8 v[4:5], v2, off
.LBB8_370:
	s_mov_b32 s15, 0
	s_mov_b32 s1, -1
.LBB8_371:
	s_and_not1_b32 vcc_lo, exec_lo, s15
	s_cbranch_vccnz .LBB8_379
; %bb.372:
	v_cmp_lt_i16_e32 vcc_lo, 14, v6
	s_mov_b32 s15, -1
	s_cbranch_vccz .LBB8_376
; %bb.373:
	v_cmp_eq_u16_e32 vcc_lo, 15, v6
	s_mov_b32 s0, -1
	s_cbranch_vccz .LBB8_375
; %bb.374:
	v_cvt_f32_f64_e32 v2, v[0:1]
	s_mov_b32 s1, -1
	s_mov_b32 s0, 0
	s_delay_alu instid0(VALU_DEP_1) | instskip(SKIP_1) | instid1(VALU_DEP_2)
	v_bfe_u32 v3, v2, 16, 1
	v_cmp_o_f32_e32 vcc_lo, v2, v2
	v_add3_u32 v3, v2, v3, 0x7fff
	s_delay_alu instid0(VALU_DEP_1) | instskip(NEXT) | instid1(VALU_DEP_1)
	v_lshrrev_b32_e32 v3, 16, v3
	v_cndmask_b32_e32 v2, 0x7fc0, v3, vcc_lo
	global_store_b16 v[4:5], v2, off
.LBB8_375:
	s_mov_b32 s15, 0
.LBB8_376:
	s_delay_alu instid0(SALU_CYCLE_1)
	s_and_b32 vcc_lo, exec_lo, s15
	s_cbranch_vccz .LBB8_379
; %bb.377:
	v_cmp_eq_u16_e32 vcc_lo, 11, v6
	s_mov_b32 s0, -1
	s_cbranch_vccz .LBB8_379
; %bb.378:
	v_cmp_neq_f64_e32 vcc_lo, 0, v[0:1]
	s_mov_b32 s1, -1
	s_mov_b32 s0, 0
	v_cndmask_b32_e64 v2, 0, 1, vcc_lo
	global_store_b8 v[4:5], v2, off
.LBB8_379:
	s_mov_b32 s15, 0
.LBB8_380:
	s_delay_alu instid0(SALU_CYCLE_1)
	s_and_b32 vcc_lo, exec_lo, s15
	s_cbranch_vccz .LBB8_419
; %bb.381:
	v_cmp_gt_i16_e32 vcc_lo, 5, v6
	s_mov_b32 s1, -1
	s_cbranch_vccnz .LBB8_402
; %bb.382:
	v_cmp_gt_i16_e32 vcc_lo, 8, v6
	s_cbranch_vccnz .LBB8_392
; %bb.383:
	v_cmp_gt_i16_e32 vcc_lo, 9, v6
	s_cbranch_vccnz .LBB8_389
; %bb.384:
	v_cmp_lt_i16_e32 vcc_lo, 9, v6
	s_cbranch_vccz .LBB8_386
; %bb.385:
	v_mov_b32_e32 v2, 0
	s_mov_b32 s1, 0
	s_delay_alu instid0(VALU_DEP_1)
	v_mov_b32_e32 v3, v2
	global_store_b128 v[4:5], v[0:3], off
.LBB8_386:
	s_and_not1_b32 vcc_lo, exec_lo, s1
	s_cbranch_vccnz .LBB8_388
; %bb.387:
	v_cvt_f32_f64_e32 v2, v[0:1]
	v_mov_b32_e32 v3, 0
	global_store_b64 v[4:5], v[2:3], off
.LBB8_388:
	s_mov_b32 s1, 0
.LBB8_389:
	s_delay_alu instid0(SALU_CYCLE_1)
	s_and_not1_b32 vcc_lo, exec_lo, s1
	s_cbranch_vccnz .LBB8_391
; %bb.390:
	v_cvt_f32_f64_e32 v2, v[0:1]
	s_delay_alu instid0(VALU_DEP_1) | instskip(NEXT) | instid1(VALU_DEP_1)
	v_cvt_f16_f32_e32 v2, v2
	v_and_b32_e32 v2, 0xffff, v2
	global_store_b32 v[4:5], v2, off
.LBB8_391:
	s_mov_b32 s1, 0
.LBB8_392:
	s_delay_alu instid0(SALU_CYCLE_1)
	s_and_not1_b32 vcc_lo, exec_lo, s1
	s_cbranch_vccnz .LBB8_401
; %bb.393:
	v_cmp_gt_i16_e32 vcc_lo, 6, v6
	s_mov_b32 s1, -1
	s_cbranch_vccnz .LBB8_399
; %bb.394:
	v_cmp_lt_i16_e32 vcc_lo, 6, v6
	s_cbranch_vccz .LBB8_396
; %bb.395:
	s_mov_b32 s1, 0
	global_store_b64 v[4:5], v[0:1], off
.LBB8_396:
	s_and_not1_b32 vcc_lo, exec_lo, s1
	s_cbranch_vccnz .LBB8_398
; %bb.397:
	v_cvt_f32_f64_e32 v2, v[0:1]
	global_store_b32 v[4:5], v2, off
.LBB8_398:
	s_mov_b32 s1, 0
.LBB8_399:
	s_delay_alu instid0(SALU_CYCLE_1)
	s_and_not1_b32 vcc_lo, exec_lo, s1
	s_cbranch_vccnz .LBB8_401
; %bb.400:
	v_cvt_f32_f64_e32 v2, v[0:1]
	s_delay_alu instid0(VALU_DEP_1)
	v_cvt_f16_f32_e32 v2, v2
	global_store_b16 v[4:5], v2, off
.LBB8_401:
	s_mov_b32 s1, 0
.LBB8_402:
	s_delay_alu instid0(SALU_CYCLE_1)
	s_and_not1_b32 vcc_lo, exec_lo, s1
	s_cbranch_vccnz .LBB8_418
; %bb.403:
	v_cmp_gt_i16_e32 vcc_lo, 2, v6
	s_mov_b32 s1, -1
	s_cbranch_vccnz .LBB8_413
; %bb.404:
	v_cmp_gt_i16_e32 vcc_lo, 3, v6
	s_cbranch_vccnz .LBB8_410
; %bb.405:
	v_cmp_lt_i16_e32 vcc_lo, 3, v6
	s_cbranch_vccz .LBB8_407
; %bb.406:
	v_trunc_f64_e32 v[2:3], v[0:1]
	s_mov_b32 s1, 0
	s_delay_alu instid0(VALU_DEP_1) | instskip(NEXT) | instid1(VALU_DEP_1)
	v_ldexp_f64 v[7:8], v[2:3], 0xffffffe0
	v_floor_f64_e32 v[7:8], v[7:8]
	s_delay_alu instid0(VALU_DEP_1) | instskip(SKIP_1) | instid1(VALU_DEP_2)
	v_fma_f64 v[2:3], 0xc1f00000, v[7:8], v[2:3]
	v_cvt_i32_f64_e32 v8, v[7:8]
	v_cvt_u32_f64_e32 v7, v[2:3]
	global_store_b64 v[4:5], v[7:8], off
.LBB8_407:
	s_and_not1_b32 vcc_lo, exec_lo, s1
	s_cbranch_vccnz .LBB8_409
; %bb.408:
	v_cvt_i32_f64_e32 v2, v[0:1]
	global_store_b32 v[4:5], v2, off
.LBB8_409:
	s_mov_b32 s1, 0
.LBB8_410:
	s_delay_alu instid0(SALU_CYCLE_1)
	s_and_not1_b32 vcc_lo, exec_lo, s1
	s_cbranch_vccnz .LBB8_412
; %bb.411:
	v_cvt_i32_f64_e32 v2, v[0:1]
	global_store_b16 v[4:5], v2, off
.LBB8_412:
	s_mov_b32 s1, 0
.LBB8_413:
	s_delay_alu instid0(SALU_CYCLE_1)
	s_and_not1_b32 vcc_lo, exec_lo, s1
	s_cbranch_vccnz .LBB8_418
; %bb.414:
	v_cmp_lt_i16_e32 vcc_lo, 0, v6
	s_mov_b32 s1, -1
	s_cbranch_vccz .LBB8_416
; %bb.415:
	v_cvt_i32_f64_e32 v2, v[0:1]
	s_mov_b32 s1, 0
	global_store_b8 v[4:5], v2, off
.LBB8_416:
	s_and_not1_b32 vcc_lo, exec_lo, s1
	s_cbranch_vccnz .LBB8_418
; %bb.417:
	v_trunc_f64_e32 v[0:1], v[0:1]
	s_delay_alu instid0(VALU_DEP_1) | instskip(NEXT) | instid1(VALU_DEP_1)
	v_ldexp_f64 v[2:3], v[0:1], 0xffffffe0
	v_floor_f64_e32 v[2:3], v[2:3]
	s_delay_alu instid0(VALU_DEP_1) | instskip(NEXT) | instid1(VALU_DEP_1)
	v_fma_f64 v[0:1], 0xc1f00000, v[2:3], v[0:1]
	v_cvt_u32_f64_e32 v0, v[0:1]
	global_store_b8 v[4:5], v0, off
.LBB8_418:
	s_mov_b32 s1, -1
.LBB8_419:
	s_delay_alu instid0(SALU_CYCLE_1)
	s_and_not1_b32 vcc_lo, exec_lo, s1
	s_cbranch_vccnz .LBB8_421
; %bb.420:
	v_add_nc_u32_e32 v15, 0x80, v15
	s_mov_b32 s1, -1
	s_branch .LBB8_534
.LBB8_421:
	s_mov_b32 s1, 0
	s_branch .LBB8_533
.LBB8_422:
	s_mov_b32 s14, -1
                                        ; implicit-def: $vgpr2_vgpr3
.LBB8_423:
	s_mov_b32 s1, 0
.LBB8_424:
	s_delay_alu instid0(SALU_CYCLE_1)
	s_and_b32 vcc_lo, exec_lo, s1
	s_cbranch_vccz .LBB8_428
; %bb.425:
	v_cmp_eq_u16_e32 vcc_lo, 29, v16
	s_cbranch_vccz .LBB8_427
; %bb.426:
	global_load_b64 v[2:3], v[0:1], off
	s_mov_b32 s0, -1
	s_mov_b32 s14, 0
	s_mov_b32 s1, 0
	s_waitcnt vmcnt(0)
	v_cvt_f64_u32_e32 v[3:4], v3
	v_cvt_f64_u32_e32 v[5:6], v2
	s_delay_alu instid0(VALU_DEP_2) | instskip(NEXT) | instid1(VALU_DEP_1)
	v_ldexp_f64 v[3:4], v[3:4], 32
	v_add_f64 v[2:3], v[3:4], v[5:6]
	s_branch .LBB8_429
.LBB8_427:
	s_mov_b32 s14, -1
                                        ; implicit-def: $vgpr2_vgpr3
.LBB8_428:
	s_mov_b32 s1, 0
.LBB8_429:
	s_delay_alu instid0(SALU_CYCLE_1)
	s_and_b32 vcc_lo, exec_lo, s1
	s_cbranch_vccz .LBB8_449
; %bb.430:
	v_cmp_gt_i16_e32 vcc_lo, 27, v16
	s_cbranch_vccnz .LBB8_433
; %bb.431:
	v_cmp_lt_i16_e32 vcc_lo, 27, v16
	s_cbranch_vccz .LBB8_434
; %bb.432:
	global_load_b32 v2, v[0:1], off
	s_mov_b32 s0, 0
	s_waitcnt vmcnt(0)
	v_cvt_f64_u32_e32 v[2:3], v2
	s_branch .LBB8_435
.LBB8_433:
	s_mov_b32 s0, -1
                                        ; implicit-def: $vgpr2_vgpr3
	s_branch .LBB8_438
.LBB8_434:
	s_mov_b32 s0, -1
                                        ; implicit-def: $vgpr2_vgpr3
.LBB8_435:
	s_delay_alu instid0(SALU_CYCLE_1)
	s_and_not1_b32 vcc_lo, exec_lo, s0
	s_cbranch_vccnz .LBB8_437
; %bb.436:
	global_load_u16 v2, v[0:1], off
	s_waitcnt vmcnt(0)
	v_cvt_f64_u32_e32 v[2:3], v2
.LBB8_437:
	s_mov_b32 s0, 0
.LBB8_438:
	s_delay_alu instid0(SALU_CYCLE_1)
	s_and_not1_b32 vcc_lo, exec_lo, s0
	s_cbranch_vccnz .LBB8_448
; %bb.439:
	global_load_u8 v4, v[0:1], off
	s_mov_b32 s15, 0
	s_mov_b32 s17, exec_lo
                                        ; implicit-def: $sgpr0_sgpr1
	s_waitcnt vmcnt(0)
	v_cmpx_lt_i16_e32 0x7f, v4
	s_xor_b32 s17, exec_lo, s17
	s_cbranch_execz .LBB8_443
; %bb.440:
	s_mov_b32 s15, exec_lo
                                        ; implicit-def: $sgpr0_sgpr1
	v_cmpx_eq_u16_e32 0x80, v4
; %bb.441:
	s_mov_b32 s1, 0x7ff80000
	s_brev_b32 s0, 4
	s_xor_b32 s18, exec_lo, -1
; %bb.442:
	s_or_b32 exec_lo, exec_lo, s15
	s_delay_alu instid0(SALU_CYCLE_1)
	s_and_b32 s15, s18, exec_lo
.LBB8_443:
	s_or_saveexec_b32 s17, s17
	v_dual_mov_b32 v3, s1 :: v_dual_mov_b32 v2, s0
	s_xor_b32 exec_lo, exec_lo, s17
; %bb.444:
	v_cmp_ne_u16_e32 vcc_lo, 0, v4
	v_mov_b32_e32 v2, 0
	v_mov_b32_e32 v3, 0
	s_and_not1_b32 s0, s15, exec_lo
	s_and_b32 s1, vcc_lo, exec_lo
	s_delay_alu instid0(SALU_CYCLE_1)
	s_or_b32 s15, s0, s1
; %bb.445:
	s_or_b32 exec_lo, exec_lo, s17
	s_and_saveexec_b32 s0, s15
	s_cbranch_execz .LBB8_447
; %bb.446:
	v_and_b32_e32 v2, 0xffff, v4
	v_lshlrev_b32_e32 v4, 24, v4
	s_delay_alu instid0(VALU_DEP_2) | instskip(NEXT) | instid1(VALU_DEP_2)
	v_and_b32_e32 v3, 7, v2
	v_and_b32_e32 v4, 0x80000000, v4
	s_delay_alu instid0(VALU_DEP_2) | instskip(NEXT) | instid1(VALU_DEP_1)
	v_clz_i32_u32_e32 v5, v3
	v_min_u32_e32 v5, 32, v5
	s_delay_alu instid0(VALU_DEP_1) | instskip(SKIP_1) | instid1(VALU_DEP_2)
	v_subrev_nc_u32_e32 v6, 28, v5
	v_sub_nc_u32_e32 v5, 29, v5
	v_lshlrev_b32_e32 v6, v6, v2
	v_bfe_u32 v2, v2, 3, 4
	s_delay_alu instid0(VALU_DEP_2) | instskip(NEXT) | instid1(VALU_DEP_2)
	v_and_b32_e32 v6, 7, v6
	v_cmp_eq_u32_e32 vcc_lo, 0, v2
	s_delay_alu instid0(VALU_DEP_2) | instskip(NEXT) | instid1(VALU_DEP_1)
	v_dual_cndmask_b32 v2, v2, v5 :: v_dual_cndmask_b32 v3, v3, v6
	v_lshl_add_u32 v2, v2, 23, 0x3b800000
	s_delay_alu instid0(VALU_DEP_2) | instskip(NEXT) | instid1(VALU_DEP_1)
	v_lshlrev_b32_e32 v3, 20, v3
	v_or3_b32 v2, v4, v2, v3
	s_delay_alu instid0(VALU_DEP_1)
	v_cvt_f64_f32_e32 v[2:3], v2
.LBB8_447:
	s_or_b32 exec_lo, exec_lo, s0
.LBB8_448:
	s_mov_b32 s0, -1
.LBB8_449:
	s_mov_b32 s1, 0
.LBB8_450:
	s_delay_alu instid0(SALU_CYCLE_1)
	s_and_b32 vcc_lo, exec_lo, s1
	s_cbranch_vccz .LBB8_483
; %bb.451:
	v_cmp_lt_i16_e32 vcc_lo, 22, v16
	s_cbranch_vccz .LBB8_463
; %bb.452:
	v_cmp_gt_i16_e32 vcc_lo, 24, v16
	s_cbranch_vccnz .LBB8_464
; %bb.453:
	v_cmp_lt_i16_e32 vcc_lo, 24, v16
	s_cbranch_vccz .LBB8_465
; %bb.454:
	global_load_u8 v4, v[0:1], off
	s_mov_b32 s15, 0
	s_mov_b32 s17, exec_lo
                                        ; implicit-def: $sgpr0_sgpr1
	s_waitcnt vmcnt(0)
	v_cmpx_lt_i16_e32 0x7f, v4
	s_xor_b32 s17, exec_lo, s17
	s_cbranch_execz .LBB8_458
; %bb.455:
	s_mov_b32 s18, -1
	s_mov_b32 s15, exec_lo
                                        ; implicit-def: $sgpr0_sgpr1
	v_cmpx_eq_u16_e32 0x80, v4
; %bb.456:
	s_mov_b32 s1, 0x7ff80000
	s_brev_b32 s0, 4
	s_xor_b32 s18, exec_lo, -1
; %bb.457:
	s_or_b32 exec_lo, exec_lo, s15
	s_delay_alu instid0(SALU_CYCLE_1)
	s_and_b32 s15, s18, exec_lo
.LBB8_458:
	s_or_saveexec_b32 s17, s17
	v_dual_mov_b32 v3, s1 :: v_dual_mov_b32 v2, s0
	s_xor_b32 exec_lo, exec_lo, s17
; %bb.459:
	v_cmp_ne_u16_e32 vcc_lo, 0, v4
	v_mov_b32_e32 v2, 0
	v_mov_b32_e32 v3, 0
	s_and_not1_b32 s0, s15, exec_lo
	s_and_b32 s1, vcc_lo, exec_lo
	s_delay_alu instid0(SALU_CYCLE_1)
	s_or_b32 s15, s0, s1
; %bb.460:
	s_or_b32 exec_lo, exec_lo, s17
	s_and_saveexec_b32 s0, s15
	s_cbranch_execz .LBB8_462
; %bb.461:
	v_and_b32_e32 v2, 0xffff, v4
	v_lshlrev_b32_e32 v4, 24, v4
	s_delay_alu instid0(VALU_DEP_2) | instskip(NEXT) | instid1(VALU_DEP_2)
	v_and_b32_e32 v3, 3, v2
	v_and_b32_e32 v4, 0x80000000, v4
	s_delay_alu instid0(VALU_DEP_2) | instskip(NEXT) | instid1(VALU_DEP_1)
	v_clz_i32_u32_e32 v5, v3
	v_min_u32_e32 v5, 32, v5
	s_delay_alu instid0(VALU_DEP_1) | instskip(SKIP_1) | instid1(VALU_DEP_2)
	v_subrev_nc_u32_e32 v6, 29, v5
	v_sub_nc_u32_e32 v5, 30, v5
	v_lshlrev_b32_e32 v6, v6, v2
	v_bfe_u32 v2, v2, 2, 5
	s_delay_alu instid0(VALU_DEP_2) | instskip(NEXT) | instid1(VALU_DEP_2)
	v_and_b32_e32 v6, 3, v6
	v_cmp_eq_u32_e32 vcc_lo, 0, v2
	s_delay_alu instid0(VALU_DEP_2) | instskip(NEXT) | instid1(VALU_DEP_1)
	v_dual_cndmask_b32 v2, v2, v5 :: v_dual_cndmask_b32 v3, v3, v6
	v_lshl_add_u32 v2, v2, 23, 0x37800000
	s_delay_alu instid0(VALU_DEP_2) | instskip(NEXT) | instid1(VALU_DEP_1)
	v_lshlrev_b32_e32 v3, 21, v3
	v_or3_b32 v2, v4, v2, v3
	s_delay_alu instid0(VALU_DEP_1)
	v_cvt_f64_f32_e32 v[2:3], v2
.LBB8_462:
	s_or_b32 exec_lo, exec_lo, s0
	s_mov_b32 s0, 0
	s_branch .LBB8_466
.LBB8_463:
	s_mov_b32 s1, -1
                                        ; implicit-def: $vgpr2_vgpr3
	s_branch .LBB8_472
.LBB8_464:
	s_mov_b32 s0, -1
                                        ; implicit-def: $vgpr2_vgpr3
	s_branch .LBB8_469
.LBB8_465:
	s_mov_b32 s0, -1
                                        ; implicit-def: $vgpr2_vgpr3
.LBB8_466:
	s_delay_alu instid0(SALU_CYCLE_1)
	s_and_b32 vcc_lo, exec_lo, s0
	s_cbranch_vccz .LBB8_468
; %bb.467:
	global_load_u8 v2, v[0:1], off
	s_waitcnt vmcnt(0)
	v_lshlrev_b32_e32 v2, 24, v2
	s_delay_alu instid0(VALU_DEP_1) | instskip(NEXT) | instid1(VALU_DEP_1)
	v_and_b32_e32 v3, 0x7f000000, v2
	v_clz_i32_u32_e32 v4, v3
	v_add_nc_u32_e32 v6, 0x1000000, v3
	v_cmp_ne_u32_e32 vcc_lo, 0, v3
	s_delay_alu instid0(VALU_DEP_3) | instskip(NEXT) | instid1(VALU_DEP_1)
	v_min_u32_e32 v4, 32, v4
	v_sub_nc_u32_e64 v4, v4, 4 clamp
	s_delay_alu instid0(VALU_DEP_1) | instskip(SKIP_1) | instid1(VALU_DEP_2)
	v_lshlrev_b32_e32 v5, v4, v3
	v_lshlrev_b32_e32 v4, 23, v4
	v_lshrrev_b32_e32 v5, 4, v5
	s_delay_alu instid0(VALU_DEP_1) | instskip(SKIP_1) | instid1(VALU_DEP_2)
	v_sub_nc_u32_e32 v4, v5, v4
	v_ashrrev_i32_e32 v5, 8, v6
	v_add_nc_u32_e32 v4, 0x3c000000, v4
	s_delay_alu instid0(VALU_DEP_1) | instskip(NEXT) | instid1(VALU_DEP_1)
	v_and_or_b32 v4, 0x7f800000, v5, v4
	v_cndmask_b32_e32 v3, 0, v4, vcc_lo
	s_delay_alu instid0(VALU_DEP_1) | instskip(NEXT) | instid1(VALU_DEP_1)
	v_and_or_b32 v2, 0x80000000, v2, v3
	v_cvt_f64_f32_e32 v[2:3], v2
.LBB8_468:
	s_mov_b32 s0, 0
.LBB8_469:
	s_delay_alu instid0(SALU_CYCLE_1)
	s_and_not1_b32 vcc_lo, exec_lo, s0
	s_cbranch_vccnz .LBB8_471
; %bb.470:
	global_load_u8 v2, v[0:1], off
	s_waitcnt vmcnt(0)
	v_lshlrev_b32_e32 v3, 25, v2
	v_lshlrev_b16 v2, 8, v2
	s_delay_alu instid0(VALU_DEP_2) | instskip(NEXT) | instid1(VALU_DEP_2)
	v_lshrrev_b32_e32 v4, 4, v3
	v_and_or_b32 v5, 0x7f00, v2, 0.5
	v_bfe_i32 v2, v2, 0, 16
	s_delay_alu instid0(VALU_DEP_3) | instskip(NEXT) | instid1(VALU_DEP_1)
	v_or_b32_e32 v4, 0x70000000, v4
	v_dual_add_f32 v5, -0.5, v5 :: v_dual_mul_f32 v4, 0x7800000, v4
	v_cmp_gt_u32_e32 vcc_lo, 0x8000000, v3
	s_delay_alu instid0(VALU_DEP_2) | instskip(NEXT) | instid1(VALU_DEP_1)
	v_cndmask_b32_e32 v3, v4, v5, vcc_lo
	v_and_or_b32 v2, 0x80000000, v2, v3
	s_delay_alu instid0(VALU_DEP_1)
	v_cvt_f64_f32_e32 v[2:3], v2
.LBB8_471:
	s_mov_b32 s1, 0
	s_mov_b32 s0, -1
.LBB8_472:
	s_and_not1_b32 vcc_lo, exec_lo, s1
	s_cbranch_vccnz .LBB8_483
; %bb.473:
	v_cmp_lt_i16_e32 vcc_lo, 14, v16
	s_cbranch_vccz .LBB8_476
; %bb.474:
	v_cmp_eq_u16_e32 vcc_lo, 15, v16
	s_cbranch_vccz .LBB8_477
; %bb.475:
	global_load_u16 v2, v[0:1], off
	s_mov_b32 s0, -1
	s_mov_b32 s14, 0
	s_waitcnt vmcnt(0)
	v_lshlrev_b32_e32 v2, 16, v2
	s_delay_alu instid0(VALU_DEP_1)
	v_cvt_f64_f32_e32 v[2:3], v2
	s_branch .LBB8_478
.LBB8_476:
	s_mov_b32 s1, -1
                                        ; implicit-def: $vgpr2_vgpr3
	s_branch .LBB8_479
.LBB8_477:
	s_mov_b32 s14, -1
                                        ; implicit-def: $vgpr2_vgpr3
.LBB8_478:
	s_mov_b32 s1, 0
.LBB8_479:
	s_delay_alu instid0(SALU_CYCLE_1)
	s_and_b32 vcc_lo, exec_lo, s1
	s_cbranch_vccz .LBB8_483
; %bb.480:
	v_cmp_eq_u16_e32 vcc_lo, 11, v16
	s_cbranch_vccz .LBB8_482
; %bb.481:
	global_load_u8 v2, v[0:1], off
	s_mov_b32 s14, 0
	s_mov_b32 s0, -1
	s_waitcnt vmcnt(0)
	v_cmp_ne_u16_e32 vcc_lo, 0, v2
	v_mov_b32_e32 v2, 0
	v_cndmask_b32_e64 v3, 0, 0x3ff00000, vcc_lo
	s_branch .LBB8_483
.LBB8_482:
	s_mov_b32 s14, -1
                                        ; implicit-def: $vgpr2_vgpr3
.LBB8_483:
	s_branch .LBB8_273
.LBB8_484:
	v_cmp_gt_i16_e32 vcc_lo, 5, v16
	s_cbranch_vccnz .LBB8_489
; %bb.485:
	v_cmp_gt_i16_e32 vcc_lo, 8, v16
	s_cbranch_vccnz .LBB8_490
; %bb.486:
	;; [unrolled: 3-line block ×3, first 2 shown]
	v_cmp_lt_i16_e32 vcc_lo, 9, v16
	s_cbranch_vccz .LBB8_492
; %bb.488:
	global_load_b64 v[2:3], v[0:1], off
	s_mov_b32 s0, 0
	s_branch .LBB8_493
.LBB8_489:
	s_mov_b32 s0, -1
                                        ; implicit-def: $vgpr2_vgpr3
	s_branch .LBB8_511
.LBB8_490:
	s_mov_b32 s0, -1
                                        ; implicit-def: $vgpr2_vgpr3
	s_branch .LBB8_499
.LBB8_491:
	s_mov_b32 s0, -1
                                        ; implicit-def: $vgpr2_vgpr3
	s_branch .LBB8_496
.LBB8_492:
	s_mov_b32 s0, -1
                                        ; implicit-def: $vgpr2_vgpr3
.LBB8_493:
	s_delay_alu instid0(SALU_CYCLE_1)
	s_and_not1_b32 vcc_lo, exec_lo, s0
	s_cbranch_vccnz .LBB8_495
; %bb.494:
	global_load_b32 v2, v[0:1], off
	s_waitcnt vmcnt(0)
	v_cvt_f64_f32_e32 v[2:3], v2
.LBB8_495:
	s_mov_b32 s0, 0
.LBB8_496:
	s_delay_alu instid0(SALU_CYCLE_1)
	s_and_not1_b32 vcc_lo, exec_lo, s0
	s_cbranch_vccnz .LBB8_498
; %bb.497:
	global_load_b32 v2, v[0:1], off
	s_waitcnt vmcnt(0)
	v_cvt_f32_f16_e32 v2, v2
	s_delay_alu instid0(VALU_DEP_1)
	v_cvt_f64_f32_e32 v[2:3], v2
.LBB8_498:
	s_mov_b32 s0, 0
.LBB8_499:
	s_delay_alu instid0(SALU_CYCLE_1)
	s_and_not1_b32 vcc_lo, exec_lo, s0
	s_cbranch_vccnz .LBB8_510
; %bb.500:
	v_cmp_gt_i16_e32 vcc_lo, 6, v16
	s_cbranch_vccnz .LBB8_503
; %bb.501:
	v_cmp_lt_i16_e32 vcc_lo, 6, v16
	s_cbranch_vccz .LBB8_504
; %bb.502:
	global_load_b64 v[2:3], v[0:1], off
	s_mov_b32 s0, 0
	s_branch .LBB8_505
.LBB8_503:
	s_mov_b32 s0, -1
                                        ; implicit-def: $vgpr2_vgpr3
	s_branch .LBB8_508
.LBB8_504:
	s_mov_b32 s0, -1
                                        ; implicit-def: $vgpr2_vgpr3
.LBB8_505:
	s_delay_alu instid0(SALU_CYCLE_1)
	s_and_not1_b32 vcc_lo, exec_lo, s0
	s_cbranch_vccnz .LBB8_507
; %bb.506:
	global_load_b32 v2, v[0:1], off
	s_waitcnt vmcnt(0)
	v_cvt_f64_f32_e32 v[2:3], v2
.LBB8_507:
	s_mov_b32 s0, 0
.LBB8_508:
	s_delay_alu instid0(SALU_CYCLE_1)
	s_and_not1_b32 vcc_lo, exec_lo, s0
	s_cbranch_vccnz .LBB8_510
; %bb.509:
	global_load_u16 v2, v[0:1], off
	s_waitcnt vmcnt(0)
	v_cvt_f32_f16_e32 v2, v2
	s_delay_alu instid0(VALU_DEP_1)
	v_cvt_f64_f32_e32 v[2:3], v2
.LBB8_510:
	s_mov_b32 s0, 0
.LBB8_511:
	s_delay_alu instid0(SALU_CYCLE_1)
	s_and_not1_b32 vcc_lo, exec_lo, s0
	s_cbranch_vccnz .LBB8_531
; %bb.512:
	v_cmp_gt_i16_e32 vcc_lo, 2, v16
	s_cbranch_vccnz .LBB8_516
; %bb.513:
	v_cmp_gt_i16_e32 vcc_lo, 3, v16
	s_cbranch_vccnz .LBB8_517
; %bb.514:
	v_cmp_lt_i16_e32 vcc_lo, 3, v16
	s_cbranch_vccz .LBB8_518
; %bb.515:
	global_load_b64 v[2:3], v[0:1], off
	s_mov_b32 s0, 0
	s_waitcnt vmcnt(0)
	v_cvt_f64_i32_e32 v[3:4], v3
	v_cvt_f64_u32_e32 v[5:6], v2
	s_delay_alu instid0(VALU_DEP_2) | instskip(NEXT) | instid1(VALU_DEP_1)
	v_ldexp_f64 v[3:4], v[3:4], 32
	v_add_f64 v[2:3], v[3:4], v[5:6]
	s_branch .LBB8_519
.LBB8_516:
	s_mov_b32 s0, -1
                                        ; implicit-def: $vgpr2_vgpr3
	s_branch .LBB8_525
.LBB8_517:
	s_mov_b32 s0, -1
                                        ; implicit-def: $vgpr2_vgpr3
	s_branch .LBB8_522
.LBB8_518:
	s_mov_b32 s0, -1
                                        ; implicit-def: $vgpr2_vgpr3
.LBB8_519:
	s_delay_alu instid0(SALU_CYCLE_1)
	s_and_not1_b32 vcc_lo, exec_lo, s0
	s_cbranch_vccnz .LBB8_521
; %bb.520:
	global_load_b32 v2, v[0:1], off
	s_waitcnt vmcnt(0)
	v_cvt_f64_i32_e32 v[2:3], v2
.LBB8_521:
	s_mov_b32 s0, 0
.LBB8_522:
	s_delay_alu instid0(SALU_CYCLE_1)
	s_and_not1_b32 vcc_lo, exec_lo, s0
	s_cbranch_vccnz .LBB8_524
; %bb.523:
	global_load_i16 v2, v[0:1], off
	s_waitcnt vmcnt(0)
	v_cvt_f64_i32_e32 v[2:3], v2
.LBB8_524:
	s_mov_b32 s0, 0
.LBB8_525:
	s_delay_alu instid0(SALU_CYCLE_1)
	s_and_not1_b32 vcc_lo, exec_lo, s0
	s_cbranch_vccnz .LBB8_531
; %bb.526:
	v_cmp_lt_i16_e32 vcc_lo, 0, v16
	s_mov_b32 s0, 0
	s_cbranch_vccz .LBB8_528
; %bb.527:
	global_load_i8 v2, v[0:1], off
	s_waitcnt vmcnt(0)
	v_cvt_f64_i32_e32 v[2:3], v2
	s_branch .LBB8_529
.LBB8_528:
	s_mov_b32 s0, -1
                                        ; implicit-def: $vgpr2_vgpr3
.LBB8_529:
	s_delay_alu instid0(SALU_CYCLE_1)
	s_and_not1_b32 vcc_lo, exec_lo, s0
	s_cbranch_vccnz .LBB8_531
; %bb.530:
	global_load_u8 v0, v[0:1], off
	s_waitcnt vmcnt(0)
	v_cvt_f64_u32_e32 v[2:3], v0
.LBB8_531:
	s_branch .LBB8_274
.LBB8_532:
	s_mov_b32 s1, 0
	s_mov_b32 s0, s10
.LBB8_533:
                                        ; implicit-def: $vgpr15
.LBB8_534:
	s_and_not1_b32 s15, s10, exec_lo
	s_and_b32 s0, s0, exec_lo
	s_and_not1_b32 s17, s12, exec_lo
	s_and_b32 s14, s14, exec_lo
	s_or_b32 s15, s15, s0
	s_or_b32 s14, s17, s14
	s_or_not1_b32 s18, s1, exec_lo
.LBB8_535:
	s_or_b32 exec_lo, exec_lo, s16
	s_mov_b32 s1, 0
	s_mov_b32 s17, 0
	;; [unrolled: 1-line block ×3, first 2 shown]
                                        ; implicit-def: $vgpr0_vgpr1
                                        ; implicit-def: $vgpr2_vgpr3
	s_and_saveexec_b32 s16, s18
	s_cbranch_execz .LBB8_894
; %bb.536:
	s_mov_b32 s0, -1
	s_mov_b32 s18, s14
	s_mov_b32 s19, s15
	s_mov_b32 s17, exec_lo
	v_cmpx_gt_i32_e64 s11, v15
	s_cbranch_execz .LBB8_808
; %bb.537:
	v_mul_lo_u32 v0, v15, s3
	v_cmp_gt_i16_e32 vcc_lo, 11, v16
	s_delay_alu instid0(VALU_DEP_2) | instskip(SKIP_1) | instid1(VALU_DEP_1)
	v_ashrrev_i32_e32 v1, 31, v0
	v_add_co_u32 v0, s0, s6, v0
	v_add_co_ci_u32_e64 v1, s0, s7, v1, s0
	s_cbranch_vccnz .LBB8_544
; %bb.538:
	v_cmp_lt_i16_e32 vcc_lo, 25, v16
	s_cbranch_vccz .LBB8_545
; %bb.539:
	v_cmp_lt_i16_e32 vcc_lo, 28, v16
	s_cbranch_vccz .LBB8_546
	;; [unrolled: 3-line block ×4, first 2 shown]
; %bb.542:
	v_cmp_eq_u16_e32 vcc_lo, 46, v16
	s_cbranch_vccz .LBB8_553
; %bb.543:
	global_load_b32 v2, v[0:1], off
	s_mov_b32 s0, -1
	s_mov_b32 s18, 0
	s_waitcnt vmcnt(0)
	v_lshlrev_b32_e32 v2, 16, v2
	s_delay_alu instid0(VALU_DEP_1)
	v_cvt_f64_f32_e32 v[2:3], v2
	s_branch .LBB8_555
.LBB8_544:
	s_mov_b32 s1, -1
	s_mov_b32 s0, 0
	s_mov_b32 s18, s14
                                        ; implicit-def: $vgpr2_vgpr3
	s_branch .LBB8_620
.LBB8_545:
	s_mov_b32 s1, -1
	s_mov_b32 s0, 0
	s_mov_b32 s18, s14
                                        ; implicit-def: $vgpr2_vgpr3
	s_branch .LBB8_586
.LBB8_546:
	s_mov_b32 s1, -1
	s_mov_b32 s0, 0
	s_mov_b32 s18, s14
                                        ; implicit-def: $vgpr2_vgpr3
	s_branch .LBB8_565
.LBB8_547:
	s_mov_b32 s1, -1
	s_mov_b32 s0, 0
	s_mov_b32 s18, s14
                                        ; implicit-def: $vgpr2_vgpr3
	s_branch .LBB8_560
.LBB8_548:
	s_or_saveexec_b32 s17, s17
                                        ; implicit-def: $sgpr18
	s_delay_alu instid0(SALU_CYCLE_1)
	s_xor_b32 exec_lo, exec_lo, s17
	s_cbranch_execz .LBB8_332
.LBB8_549:
	v_add_f32_e64 v3, 0x46000000, |v2|
	s_and_not1_b32 s15, s15, exec_lo
	s_mov_b32 s18, 0
	s_delay_alu instid0(VALU_DEP_1) | instskip(NEXT) | instid1(VALU_DEP_1)
	v_and_b32_e32 v3, 0xff, v3
	v_cmp_ne_u32_e32 vcc_lo, 0, v3
	s_and_b32 s19, vcc_lo, exec_lo
	s_delay_alu instid0(SALU_CYCLE_1)
	s_or_b32 s15, s15, s19
	s_or_b32 exec_lo, exec_lo, s17
	v_mov_b32_e32 v7, s18
	s_and_saveexec_b32 s17, s15
	s_cbranch_execnz .LBB8_333
	s_branch .LBB8_334
.LBB8_550:
	s_mov_b32 s1, -1
	s_mov_b32 s0, 0
	s_mov_b32 s18, s14
	s_branch .LBB8_554
.LBB8_551:
	s_or_saveexec_b32 s17, s17
                                        ; implicit-def: $sgpr18
	s_delay_alu instid0(SALU_CYCLE_1)
	s_xor_b32 exec_lo, exec_lo, s17
	s_cbranch_execz .LBB8_345
.LBB8_552:
	v_add_f32_e64 v3, 0x42800000, |v2|
	s_and_not1_b32 s15, s15, exec_lo
	s_mov_b32 s18, 0
	s_delay_alu instid0(VALU_DEP_1) | instskip(NEXT) | instid1(VALU_DEP_1)
	v_and_b32_e32 v3, 0xff, v3
	v_cmp_ne_u32_e32 vcc_lo, 0, v3
	s_and_b32 s19, vcc_lo, exec_lo
	s_delay_alu instid0(SALU_CYCLE_1)
	s_or_b32 s15, s15, s19
	s_or_b32 exec_lo, exec_lo, s17
	v_mov_b32_e32 v7, s18
	s_and_saveexec_b32 s17, s15
	s_cbranch_execnz .LBB8_346
	s_branch .LBB8_347
.LBB8_553:
	s_mov_b32 s18, -1
	s_mov_b32 s0, 0
.LBB8_554:
                                        ; implicit-def: $vgpr2_vgpr3
.LBB8_555:
	s_and_b32 vcc_lo, exec_lo, s1
	s_cbranch_vccz .LBB8_559
; %bb.556:
	v_cmp_eq_u16_e32 vcc_lo, 44, v16
	s_cbranch_vccz .LBB8_558
; %bb.557:
	global_load_u8 v4, v[0:1], off
	s_mov_b32 s18, 0
	s_mov_b32 s0, -1
	s_waitcnt vmcnt(0)
	v_cmp_ne_u32_e32 vcc_lo, 0xff, v4
	v_lshlrev_b32_e32 v2, 23, v4
	s_delay_alu instid0(VALU_DEP_1) | instskip(NEXT) | instid1(VALU_DEP_1)
	v_cvt_f64_f32_e32 v[2:3], v2
	v_cndmask_b32_e32 v3, 0x7ff80000, v3, vcc_lo
	s_delay_alu instid0(VALU_DEP_2) | instskip(SKIP_1) | instid1(VALU_DEP_3)
	v_cndmask_b32_e32 v2, 0x20000000, v2, vcc_lo
	v_cmp_ne_u32_e32 vcc_lo, 0, v4
	v_cndmask_b32_e32 v3, 0x38000000, v3, vcc_lo
	s_delay_alu instid0(VALU_DEP_3)
	v_cndmask_b32_e32 v2, 0, v2, vcc_lo
	s_branch .LBB8_559
.LBB8_558:
	s_mov_b32 s18, -1
                                        ; implicit-def: $vgpr2_vgpr3
.LBB8_559:
	s_mov_b32 s1, 0
.LBB8_560:
	s_delay_alu instid0(SALU_CYCLE_1)
	s_and_b32 vcc_lo, exec_lo, s1
	s_cbranch_vccz .LBB8_564
; %bb.561:
	v_cmp_eq_u16_e32 vcc_lo, 29, v16
	s_cbranch_vccz .LBB8_563
; %bb.562:
	global_load_b64 v[2:3], v[0:1], off
	s_mov_b32 s0, -1
	s_mov_b32 s18, 0
	s_mov_b32 s1, 0
	s_waitcnt vmcnt(0)
	v_cvt_f64_u32_e32 v[3:4], v3
	v_cvt_f64_u32_e32 v[5:6], v2
	s_delay_alu instid0(VALU_DEP_2) | instskip(NEXT) | instid1(VALU_DEP_1)
	v_ldexp_f64 v[3:4], v[3:4], 32
	v_add_f64 v[2:3], v[3:4], v[5:6]
	s_branch .LBB8_565
.LBB8_563:
	s_mov_b32 s18, -1
                                        ; implicit-def: $vgpr2_vgpr3
.LBB8_564:
	s_mov_b32 s1, 0
.LBB8_565:
	s_delay_alu instid0(SALU_CYCLE_1)
	s_and_b32 vcc_lo, exec_lo, s1
	s_cbranch_vccz .LBB8_585
; %bb.566:
	v_cmp_gt_i16_e32 vcc_lo, 27, v16
	s_cbranch_vccnz .LBB8_569
; %bb.567:
	v_cmp_lt_i16_e32 vcc_lo, 27, v16
	s_cbranch_vccz .LBB8_570
; %bb.568:
	global_load_b32 v2, v[0:1], off
	s_mov_b32 s0, 0
	s_waitcnt vmcnt(0)
	v_cvt_f64_u32_e32 v[2:3], v2
	s_branch .LBB8_571
.LBB8_569:
	s_mov_b32 s0, -1
                                        ; implicit-def: $vgpr2_vgpr3
	s_branch .LBB8_574
.LBB8_570:
	s_mov_b32 s0, -1
                                        ; implicit-def: $vgpr2_vgpr3
.LBB8_571:
	s_delay_alu instid0(SALU_CYCLE_1)
	s_and_not1_b32 vcc_lo, exec_lo, s0
	s_cbranch_vccnz .LBB8_573
; %bb.572:
	global_load_u16 v2, v[0:1], off
	s_waitcnt vmcnt(0)
	v_cvt_f64_u32_e32 v[2:3], v2
.LBB8_573:
	s_mov_b32 s0, 0
.LBB8_574:
	s_delay_alu instid0(SALU_CYCLE_1)
	s_and_not1_b32 vcc_lo, exec_lo, s0
	s_cbranch_vccnz .LBB8_584
; %bb.575:
	global_load_u8 v4, v[0:1], off
	s_mov_b32 s19, 0
	s_mov_b32 s20, exec_lo
                                        ; implicit-def: $sgpr0_sgpr1
	s_waitcnt vmcnt(0)
	v_cmpx_lt_i16_e32 0x7f, v4
	s_xor_b32 s20, exec_lo, s20
	s_cbranch_execz .LBB8_579
; %bb.576:
	s_mov_b32 s21, -1
	s_mov_b32 s19, exec_lo
                                        ; implicit-def: $sgpr0_sgpr1
	v_cmpx_eq_u16_e32 0x80, v4
; %bb.577:
	s_mov_b32 s1, 0x7ff80000
	s_brev_b32 s0, 4
	s_xor_b32 s21, exec_lo, -1
; %bb.578:
	s_or_b32 exec_lo, exec_lo, s19
	s_delay_alu instid0(SALU_CYCLE_1)
	s_and_b32 s19, s21, exec_lo
.LBB8_579:
	s_or_saveexec_b32 s20, s20
	v_dual_mov_b32 v3, s1 :: v_dual_mov_b32 v2, s0
	s_xor_b32 exec_lo, exec_lo, s20
; %bb.580:
	v_cmp_ne_u16_e32 vcc_lo, 0, v4
	v_mov_b32_e32 v2, 0
	v_mov_b32_e32 v3, 0
	s_and_not1_b32 s0, s19, exec_lo
	s_and_b32 s1, vcc_lo, exec_lo
	s_delay_alu instid0(SALU_CYCLE_1)
	s_or_b32 s19, s0, s1
; %bb.581:
	s_or_b32 exec_lo, exec_lo, s20
	s_and_saveexec_b32 s0, s19
	s_cbranch_execz .LBB8_583
; %bb.582:
	v_and_b32_e32 v2, 0xffff, v4
	v_lshlrev_b32_e32 v4, 24, v4
	s_delay_alu instid0(VALU_DEP_2) | instskip(NEXT) | instid1(VALU_DEP_2)
	v_and_b32_e32 v3, 7, v2
	v_and_b32_e32 v4, 0x80000000, v4
	s_delay_alu instid0(VALU_DEP_2) | instskip(NEXT) | instid1(VALU_DEP_1)
	v_clz_i32_u32_e32 v5, v3
	v_min_u32_e32 v5, 32, v5
	s_delay_alu instid0(VALU_DEP_1) | instskip(SKIP_1) | instid1(VALU_DEP_2)
	v_subrev_nc_u32_e32 v6, 28, v5
	v_sub_nc_u32_e32 v5, 29, v5
	v_lshlrev_b32_e32 v6, v6, v2
	v_bfe_u32 v2, v2, 3, 4
	s_delay_alu instid0(VALU_DEP_2) | instskip(NEXT) | instid1(VALU_DEP_2)
	v_and_b32_e32 v6, 7, v6
	v_cmp_eq_u32_e32 vcc_lo, 0, v2
	s_delay_alu instid0(VALU_DEP_2) | instskip(NEXT) | instid1(VALU_DEP_1)
	v_dual_cndmask_b32 v2, v2, v5 :: v_dual_cndmask_b32 v3, v3, v6
	v_lshl_add_u32 v2, v2, 23, 0x3b800000
	s_delay_alu instid0(VALU_DEP_2) | instskip(NEXT) | instid1(VALU_DEP_1)
	v_lshlrev_b32_e32 v3, 20, v3
	v_or3_b32 v2, v4, v2, v3
	s_delay_alu instid0(VALU_DEP_1)
	v_cvt_f64_f32_e32 v[2:3], v2
.LBB8_583:
	s_or_b32 exec_lo, exec_lo, s0
.LBB8_584:
	s_mov_b32 s0, -1
.LBB8_585:
	s_mov_b32 s1, 0
.LBB8_586:
	s_delay_alu instid0(SALU_CYCLE_1)
	s_and_b32 vcc_lo, exec_lo, s1
	s_cbranch_vccz .LBB8_619
; %bb.587:
	v_cmp_lt_i16_e32 vcc_lo, 22, v16
	s_cbranch_vccz .LBB8_599
; %bb.588:
	v_cmp_gt_i16_e32 vcc_lo, 24, v16
	s_cbranch_vccnz .LBB8_600
; %bb.589:
	v_cmp_lt_i16_e32 vcc_lo, 24, v16
	s_cbranch_vccz .LBB8_601
; %bb.590:
	global_load_u8 v4, v[0:1], off
	s_mov_b32 s19, 0
	s_mov_b32 s20, exec_lo
                                        ; implicit-def: $sgpr0_sgpr1
	s_waitcnt vmcnt(0)
	v_cmpx_lt_i16_e32 0x7f, v4
	s_xor_b32 s20, exec_lo, s20
	s_cbranch_execz .LBB8_594
; %bb.591:
	s_mov_b32 s21, -1
	s_mov_b32 s19, exec_lo
                                        ; implicit-def: $sgpr0_sgpr1
	v_cmpx_eq_u16_e32 0x80, v4
; %bb.592:
	s_mov_b32 s1, 0x7ff80000
	s_brev_b32 s0, 4
	s_xor_b32 s21, exec_lo, -1
; %bb.593:
	s_or_b32 exec_lo, exec_lo, s19
	s_delay_alu instid0(SALU_CYCLE_1)
	s_and_b32 s19, s21, exec_lo
.LBB8_594:
	s_or_saveexec_b32 s20, s20
	v_dual_mov_b32 v3, s1 :: v_dual_mov_b32 v2, s0
	s_xor_b32 exec_lo, exec_lo, s20
; %bb.595:
	v_cmp_ne_u16_e32 vcc_lo, 0, v4
	v_mov_b32_e32 v2, 0
	v_mov_b32_e32 v3, 0
	s_and_not1_b32 s0, s19, exec_lo
	s_and_b32 s1, vcc_lo, exec_lo
	s_delay_alu instid0(SALU_CYCLE_1)
	s_or_b32 s19, s0, s1
; %bb.596:
	s_or_b32 exec_lo, exec_lo, s20
	s_and_saveexec_b32 s0, s19
	s_cbranch_execz .LBB8_598
; %bb.597:
	v_and_b32_e32 v2, 0xffff, v4
	v_lshlrev_b32_e32 v4, 24, v4
	s_delay_alu instid0(VALU_DEP_2) | instskip(NEXT) | instid1(VALU_DEP_2)
	v_and_b32_e32 v3, 3, v2
	v_and_b32_e32 v4, 0x80000000, v4
	s_delay_alu instid0(VALU_DEP_2) | instskip(NEXT) | instid1(VALU_DEP_1)
	v_clz_i32_u32_e32 v5, v3
	v_min_u32_e32 v5, 32, v5
	s_delay_alu instid0(VALU_DEP_1) | instskip(SKIP_1) | instid1(VALU_DEP_2)
	v_subrev_nc_u32_e32 v6, 29, v5
	v_sub_nc_u32_e32 v5, 30, v5
	v_lshlrev_b32_e32 v6, v6, v2
	v_bfe_u32 v2, v2, 2, 5
	s_delay_alu instid0(VALU_DEP_2) | instskip(NEXT) | instid1(VALU_DEP_2)
	v_and_b32_e32 v6, 3, v6
	v_cmp_eq_u32_e32 vcc_lo, 0, v2
	s_delay_alu instid0(VALU_DEP_2) | instskip(NEXT) | instid1(VALU_DEP_1)
	v_dual_cndmask_b32 v2, v2, v5 :: v_dual_cndmask_b32 v3, v3, v6
	v_lshl_add_u32 v2, v2, 23, 0x37800000
	s_delay_alu instid0(VALU_DEP_2) | instskip(NEXT) | instid1(VALU_DEP_1)
	v_lshlrev_b32_e32 v3, 21, v3
	v_or3_b32 v2, v4, v2, v3
	s_delay_alu instid0(VALU_DEP_1)
	v_cvt_f64_f32_e32 v[2:3], v2
.LBB8_598:
	s_or_b32 exec_lo, exec_lo, s0
	s_mov_b32 s0, 0
	s_branch .LBB8_602
.LBB8_599:
	s_mov_b32 s1, -1
                                        ; implicit-def: $vgpr2_vgpr3
	s_branch .LBB8_608
.LBB8_600:
	s_mov_b32 s0, -1
                                        ; implicit-def: $vgpr2_vgpr3
	s_branch .LBB8_605
.LBB8_601:
	s_mov_b32 s0, -1
                                        ; implicit-def: $vgpr2_vgpr3
.LBB8_602:
	s_delay_alu instid0(SALU_CYCLE_1)
	s_and_b32 vcc_lo, exec_lo, s0
	s_cbranch_vccz .LBB8_604
; %bb.603:
	global_load_u8 v2, v[0:1], off
	s_waitcnt vmcnt(0)
	v_lshlrev_b32_e32 v2, 24, v2
	s_delay_alu instid0(VALU_DEP_1) | instskip(NEXT) | instid1(VALU_DEP_1)
	v_and_b32_e32 v3, 0x7f000000, v2
	v_clz_i32_u32_e32 v4, v3
	v_add_nc_u32_e32 v6, 0x1000000, v3
	v_cmp_ne_u32_e32 vcc_lo, 0, v3
	s_delay_alu instid0(VALU_DEP_3) | instskip(NEXT) | instid1(VALU_DEP_1)
	v_min_u32_e32 v4, 32, v4
	v_sub_nc_u32_e64 v4, v4, 4 clamp
	s_delay_alu instid0(VALU_DEP_1) | instskip(SKIP_1) | instid1(VALU_DEP_2)
	v_lshlrev_b32_e32 v5, v4, v3
	v_lshlrev_b32_e32 v4, 23, v4
	v_lshrrev_b32_e32 v5, 4, v5
	s_delay_alu instid0(VALU_DEP_1) | instskip(SKIP_1) | instid1(VALU_DEP_2)
	v_sub_nc_u32_e32 v4, v5, v4
	v_ashrrev_i32_e32 v5, 8, v6
	v_add_nc_u32_e32 v4, 0x3c000000, v4
	s_delay_alu instid0(VALU_DEP_1) | instskip(NEXT) | instid1(VALU_DEP_1)
	v_and_or_b32 v4, 0x7f800000, v5, v4
	v_cndmask_b32_e32 v3, 0, v4, vcc_lo
	s_delay_alu instid0(VALU_DEP_1) | instskip(NEXT) | instid1(VALU_DEP_1)
	v_and_or_b32 v2, 0x80000000, v2, v3
	v_cvt_f64_f32_e32 v[2:3], v2
.LBB8_604:
	s_mov_b32 s0, 0
.LBB8_605:
	s_delay_alu instid0(SALU_CYCLE_1)
	s_and_not1_b32 vcc_lo, exec_lo, s0
	s_cbranch_vccnz .LBB8_607
; %bb.606:
	global_load_u8 v2, v[0:1], off
	s_waitcnt vmcnt(0)
	v_lshlrev_b32_e32 v3, 25, v2
	v_lshlrev_b16 v2, 8, v2
	s_delay_alu instid0(VALU_DEP_2) | instskip(NEXT) | instid1(VALU_DEP_2)
	v_lshrrev_b32_e32 v4, 4, v3
	v_and_or_b32 v5, 0x7f00, v2, 0.5
	v_bfe_i32 v2, v2, 0, 16
	s_delay_alu instid0(VALU_DEP_3) | instskip(NEXT) | instid1(VALU_DEP_1)
	v_or_b32_e32 v4, 0x70000000, v4
	v_dual_add_f32 v5, -0.5, v5 :: v_dual_mul_f32 v4, 0x7800000, v4
	v_cmp_gt_u32_e32 vcc_lo, 0x8000000, v3
	s_delay_alu instid0(VALU_DEP_2) | instskip(NEXT) | instid1(VALU_DEP_1)
	v_cndmask_b32_e32 v3, v4, v5, vcc_lo
	v_and_or_b32 v2, 0x80000000, v2, v3
	s_delay_alu instid0(VALU_DEP_1)
	v_cvt_f64_f32_e32 v[2:3], v2
.LBB8_607:
	s_mov_b32 s1, 0
	s_mov_b32 s0, -1
.LBB8_608:
	s_and_not1_b32 vcc_lo, exec_lo, s1
	s_cbranch_vccnz .LBB8_619
; %bb.609:
	v_cmp_lt_i16_e32 vcc_lo, 14, v16
	s_cbranch_vccz .LBB8_612
; %bb.610:
	v_cmp_eq_u16_e32 vcc_lo, 15, v16
	s_cbranch_vccz .LBB8_613
; %bb.611:
	global_load_u16 v2, v[0:1], off
	s_mov_b32 s0, -1
	s_mov_b32 s18, 0
	s_waitcnt vmcnt(0)
	v_lshlrev_b32_e32 v2, 16, v2
	s_delay_alu instid0(VALU_DEP_1)
	v_cvt_f64_f32_e32 v[2:3], v2
	s_branch .LBB8_614
.LBB8_612:
	s_mov_b32 s1, -1
                                        ; implicit-def: $vgpr2_vgpr3
	s_branch .LBB8_615
.LBB8_613:
	s_mov_b32 s18, -1
                                        ; implicit-def: $vgpr2_vgpr3
.LBB8_614:
	s_mov_b32 s1, 0
.LBB8_615:
	s_delay_alu instid0(SALU_CYCLE_1)
	s_and_b32 vcc_lo, exec_lo, s1
	s_cbranch_vccz .LBB8_619
; %bb.616:
	v_cmp_eq_u16_e32 vcc_lo, 11, v16
	s_cbranch_vccz .LBB8_618
; %bb.617:
	global_load_u8 v2, v[0:1], off
	s_mov_b32 s18, 0
	s_mov_b32 s0, -1
	s_waitcnt vmcnt(0)
	v_cmp_ne_u16_e32 vcc_lo, 0, v2
	v_mov_b32_e32 v2, 0
	v_cndmask_b32_e64 v3, 0, 0x3ff00000, vcc_lo
	s_branch .LBB8_619
.LBB8_618:
	s_mov_b32 s18, -1
                                        ; implicit-def: $vgpr2_vgpr3
.LBB8_619:
	s_mov_b32 s1, 0
.LBB8_620:
	s_delay_alu instid0(SALU_CYCLE_1)
	s_and_b32 vcc_lo, exec_lo, s1
	s_cbranch_vccz .LBB8_669
; %bb.621:
	v_cmp_gt_i16_e32 vcc_lo, 5, v16
	s_cbranch_vccnz .LBB8_626
; %bb.622:
	v_cmp_gt_i16_e32 vcc_lo, 8, v16
	s_cbranch_vccnz .LBB8_627
	;; [unrolled: 3-line block ×3, first 2 shown]
; %bb.624:
	v_cmp_lt_i16_e32 vcc_lo, 9, v16
	s_cbranch_vccz .LBB8_629
; %bb.625:
	global_load_b64 v[2:3], v[0:1], off
	s_mov_b32 s0, 0
	s_branch .LBB8_630
.LBB8_626:
	s_mov_b32 s0, -1
                                        ; implicit-def: $vgpr2_vgpr3
	s_branch .LBB8_648
.LBB8_627:
	s_mov_b32 s0, -1
                                        ; implicit-def: $vgpr2_vgpr3
	s_branch .LBB8_636
.LBB8_628:
	s_mov_b32 s0, -1
                                        ; implicit-def: $vgpr2_vgpr3
	s_branch .LBB8_633
.LBB8_629:
	s_mov_b32 s0, -1
                                        ; implicit-def: $vgpr2_vgpr3
.LBB8_630:
	s_delay_alu instid0(SALU_CYCLE_1)
	s_and_not1_b32 vcc_lo, exec_lo, s0
	s_cbranch_vccnz .LBB8_632
; %bb.631:
	global_load_b32 v2, v[0:1], off
	s_waitcnt vmcnt(0)
	v_cvt_f64_f32_e32 v[2:3], v2
.LBB8_632:
	s_mov_b32 s0, 0
.LBB8_633:
	s_delay_alu instid0(SALU_CYCLE_1)
	s_and_not1_b32 vcc_lo, exec_lo, s0
	s_cbranch_vccnz .LBB8_635
; %bb.634:
	global_load_b32 v2, v[0:1], off
	s_waitcnt vmcnt(0)
	v_cvt_f32_f16_e32 v2, v2
	s_delay_alu instid0(VALU_DEP_1)
	v_cvt_f64_f32_e32 v[2:3], v2
.LBB8_635:
	s_mov_b32 s0, 0
.LBB8_636:
	s_delay_alu instid0(SALU_CYCLE_1)
	s_and_not1_b32 vcc_lo, exec_lo, s0
	s_cbranch_vccnz .LBB8_647
; %bb.637:
	v_cmp_gt_i16_e32 vcc_lo, 6, v16
	s_cbranch_vccnz .LBB8_640
; %bb.638:
	v_cmp_lt_i16_e32 vcc_lo, 6, v16
	s_cbranch_vccz .LBB8_641
; %bb.639:
	global_load_b64 v[2:3], v[0:1], off
	s_mov_b32 s0, 0
	s_branch .LBB8_642
.LBB8_640:
	s_mov_b32 s0, -1
                                        ; implicit-def: $vgpr2_vgpr3
	s_branch .LBB8_645
.LBB8_641:
	s_mov_b32 s0, -1
                                        ; implicit-def: $vgpr2_vgpr3
.LBB8_642:
	s_delay_alu instid0(SALU_CYCLE_1)
	s_and_not1_b32 vcc_lo, exec_lo, s0
	s_cbranch_vccnz .LBB8_644
; %bb.643:
	global_load_b32 v2, v[0:1], off
	s_waitcnt vmcnt(0)
	v_cvt_f64_f32_e32 v[2:3], v2
.LBB8_644:
	s_mov_b32 s0, 0
.LBB8_645:
	s_delay_alu instid0(SALU_CYCLE_1)
	s_and_not1_b32 vcc_lo, exec_lo, s0
	s_cbranch_vccnz .LBB8_647
; %bb.646:
	global_load_u16 v2, v[0:1], off
	s_waitcnt vmcnt(0)
	v_cvt_f32_f16_e32 v2, v2
	s_delay_alu instid0(VALU_DEP_1)
	v_cvt_f64_f32_e32 v[2:3], v2
.LBB8_647:
	s_mov_b32 s0, 0
.LBB8_648:
	s_delay_alu instid0(SALU_CYCLE_1)
	s_and_not1_b32 vcc_lo, exec_lo, s0
	s_cbranch_vccnz .LBB8_668
; %bb.649:
	v_cmp_gt_i16_e32 vcc_lo, 2, v16
	s_cbranch_vccnz .LBB8_653
; %bb.650:
	v_cmp_gt_i16_e32 vcc_lo, 3, v16
	s_cbranch_vccnz .LBB8_654
; %bb.651:
	v_cmp_lt_i16_e32 vcc_lo, 3, v16
	s_cbranch_vccz .LBB8_655
; %bb.652:
	global_load_b64 v[2:3], v[0:1], off
	s_mov_b32 s0, 0
	s_waitcnt vmcnt(0)
	v_cvt_f64_i32_e32 v[3:4], v3
	v_cvt_f64_u32_e32 v[5:6], v2
	s_delay_alu instid0(VALU_DEP_2) | instskip(NEXT) | instid1(VALU_DEP_1)
	v_ldexp_f64 v[3:4], v[3:4], 32
	v_add_f64 v[2:3], v[3:4], v[5:6]
	s_branch .LBB8_656
.LBB8_653:
	s_mov_b32 s0, -1
                                        ; implicit-def: $vgpr2_vgpr3
	s_branch .LBB8_662
.LBB8_654:
	s_mov_b32 s0, -1
                                        ; implicit-def: $vgpr2_vgpr3
	s_branch .LBB8_659
.LBB8_655:
	s_mov_b32 s0, -1
                                        ; implicit-def: $vgpr2_vgpr3
.LBB8_656:
	s_delay_alu instid0(SALU_CYCLE_1)
	s_and_not1_b32 vcc_lo, exec_lo, s0
	s_cbranch_vccnz .LBB8_658
; %bb.657:
	global_load_b32 v2, v[0:1], off
	s_waitcnt vmcnt(0)
	v_cvt_f64_i32_e32 v[2:3], v2
.LBB8_658:
	s_mov_b32 s0, 0
.LBB8_659:
	s_delay_alu instid0(SALU_CYCLE_1)
	s_and_not1_b32 vcc_lo, exec_lo, s0
	s_cbranch_vccnz .LBB8_661
; %bb.660:
	global_load_i16 v2, v[0:1], off
	s_waitcnt vmcnt(0)
	v_cvt_f64_i32_e32 v[2:3], v2
.LBB8_661:
	s_mov_b32 s0, 0
.LBB8_662:
	s_delay_alu instid0(SALU_CYCLE_1)
	s_and_not1_b32 vcc_lo, exec_lo, s0
	s_cbranch_vccnz .LBB8_668
; %bb.663:
	v_cmp_lt_i16_e32 vcc_lo, 0, v16
	s_mov_b32 s0, 0
	s_cbranch_vccz .LBB8_665
; %bb.664:
	global_load_i8 v2, v[0:1], off
	s_waitcnt vmcnt(0)
	v_cvt_f64_i32_e32 v[2:3], v2
	s_branch .LBB8_666
.LBB8_665:
	s_mov_b32 s0, -1
                                        ; implicit-def: $vgpr2_vgpr3
.LBB8_666:
	s_delay_alu instid0(SALU_CYCLE_1)
	s_and_not1_b32 vcc_lo, exec_lo, s0
	s_cbranch_vccnz .LBB8_668
; %bb.667:
	global_load_u8 v0, v[0:1], off
	s_waitcnt vmcnt(0)
	v_cvt_f64_u32_e32 v[2:3], v0
.LBB8_668:
	s_mov_b32 s0, -1
.LBB8_669:
	s_delay_alu instid0(SALU_CYCLE_1)
	s_and_not1_b32 vcc_lo, exec_lo, s0
	s_cbranch_vccnz .LBB8_689
; %bb.670:
	s_waitcnt vmcnt(0)
	s_delay_alu instid0(VALU_DEP_1) | instskip(NEXT) | instid1(VALU_DEP_1)
	v_cmp_ge_f64_e64 s0, 0x40200000, |v[2:3]|
                                        ; implicit-def: $vgpr0_vgpr1
	s_and_saveexec_b32 s1, s0
	s_delay_alu instid0(SALU_CYCLE_1)
	s_xor_b32 s0, exec_lo, s1
	s_cbranch_execz .LBB8_676
; %bb.671:
	v_fma_f64 v[0:1], |v[2:3]|, 0.5, -2.0
	s_mov_b32 s20, 0xc38a0576
	s_mov_b32 s21, 0xbc7857d0
	;; [unrolled: 1-line block ×4, first 2 shown]
	s_mov_b32 s1, exec_lo
	s_delay_alu instid0(VALU_DEP_1) | instskip(SKIP_3) | instid1(VALU_DEP_1)
	v_fma_f64 v[4:5], v[0:1], s[22:23], s[20:21]
	s_mov_b32 s23, 0xbc499f2a
	s_mov_b32 s20, 0xe593bfac
	;; [unrolled: 1-line block ×3, first 2 shown]
	v_fma_f64 v[6:7], v[0:1], v[4:5], s[22:23]
	s_delay_alu instid0(VALU_DEP_1) | instskip(SKIP_2) | instid1(VALU_DEP_1)
	v_add_f64 v[6:7], v[6:7], s[20:21]
	s_mov_b32 s20, 0x7e0d1573
	s_mov_b32 s21, 0xbcd3eaaa
	v_fma_f64 v[4:5], v[0:1], v[6:7], -v[4:5]
	s_delay_alu instid0(VALU_DEP_1) | instskip(SKIP_2) | instid1(VALU_DEP_1)
	v_add_f64 v[4:5], v[4:5], s[20:21]
	s_mov_b32 s20, 0x615290c
	s_mov_b32 s21, 0x3d011d7f
	v_fma_f64 v[6:7], v[0:1], v[4:5], -v[6:7]
	;; [unrolled: 5-line block ×26, first 2 shown]
	s_delay_alu instid0(VALU_DEP_1) | instskip(NEXT) | instid1(VALU_DEP_1)
	v_add_f64 v[0:1], v[0:1], s[20:21]
	v_add_f64 v[4:5], v[0:1], -v[6:7]
                                        ; implicit-def: $vgpr0_vgpr1
	v_cmpx_ngt_f64_e32 0, v[2:3]
	s_xor_b32 s1, exec_lo, s1
	s_cbranch_execz .LBB8_673
; %bb.672:
	s_mov_b32 s20, 0x652b82fe
	s_mov_b32 s21, 0x3ff71547
	;; [unrolled: 1-line block ×3, first 2 shown]
	v_mul_f64 v[0:1], |v[2:3]|, s[20:21]
	s_mov_b32 s20, 0xfefa39ef
	s_mov_b32 s21, 0xbfe62e42
	;; [unrolled: 1-line block ×3, first 2 shown]
	s_delay_alu instid0(VALU_DEP_3) | instskip(SKIP_1) | instid1(VALU_DEP_3)
	v_mul_f64 v[4:5], v[4:5], 0.5
	v_cmp_nlt_f64_e64 vcc_lo, 0x40900000, |v[2:3]|
	v_rndne_f64_e32 v[0:1], v[0:1]
	s_delay_alu instid0(VALU_DEP_1) | instskip(SKIP_4) | instid1(VALU_DEP_3)
	v_fma_f64 v[6:7], v[0:1], s[20:21], |v[2:3]|
	s_mov_b32 s20, 0x3b39803f
	s_mov_b32 s21, 0xbc7abc9e
	v_cvt_i32_f64_e32 v10, v[0:1]
	v_mul_f64 v[2:3], |v[2:3]|, v[4:5]
                                        ; implicit-def: $vgpr4_vgpr5
	v_fma_f64 v[6:7], v[0:1], s[20:21], v[6:7]
	s_mov_b32 s20, 0xfca7ab0c
	s_mov_b32 s21, 0x3e928af3
	s_delay_alu instid0(VALU_DEP_1) | instid1(SALU_CYCLE_1)
	v_fma_f64 v[8:9], v[6:7], s[22:23], s[20:21]
	s_mov_b32 s20, 0x623fde64
	s_mov_b32 s21, 0x3ec71dee
	s_delay_alu instid0(VALU_DEP_1) | instid1(SALU_CYCLE_1)
	;; [unrolled: 4-line block ×9, first 2 shown]
	v_fma_f64 v[8:9], v[6:7], v[8:9], s[20:21]
	s_delay_alu instid0(VALU_DEP_1) | instskip(NEXT) | instid1(VALU_DEP_1)
	v_fma_f64 v[8:9], v[6:7], v[8:9], 1.0
	v_fma_f64 v[0:1], v[6:7], v[8:9], 1.0
	s_delay_alu instid0(VALU_DEP_1) | instskip(NEXT) | instid1(VALU_DEP_1)
	v_ldexp_f64 v[0:1], v[0:1], v10
	v_cndmask_b32_e32 v1, 0x7ff00000, v1, vcc_lo
	s_delay_alu instid0(VALU_DEP_2) | instskip(NEXT) | instid1(VALU_DEP_1)
	v_cndmask_b32_e32 v0, 0, v0, vcc_lo
	v_mul_f64 v[0:1], v[0:1], v[2:3]
                                        ; implicit-def: $vgpr2_vgpr3
.LBB8_673:
	s_and_not1_saveexec_b32 s1, s1
	s_cbranch_execz .LBB8_675
; %bb.674:
	s_mov_b32 s20, 0x652b82fe
	s_mov_b32 s21, 0x3ff71547
	;; [unrolled: 1-line block ×3, first 2 shown]
	v_mul_f64 v[0:1], |v[2:3]|, s[20:21]
	s_mov_b32 s20, 0xfefa39ef
	s_mov_b32 s21, 0xbfe62e42
	;; [unrolled: 1-line block ×3, first 2 shown]
	s_delay_alu instid0(VALU_DEP_3) | instskip(SKIP_1) | instid1(VALU_DEP_3)
	v_mul_f64 v[4:5], v[4:5], -0.5
	v_cmp_nlt_f64_e64 vcc_lo, 0x40900000, |v[2:3]|
	v_rndne_f64_e32 v[0:1], v[0:1]
	s_delay_alu instid0(VALU_DEP_1) | instskip(SKIP_4) | instid1(VALU_DEP_3)
	v_fma_f64 v[6:7], v[0:1], s[20:21], |v[2:3]|
	s_mov_b32 s20, 0x3b39803f
	s_mov_b32 s21, 0xbc7abc9e
	v_cvt_i32_f64_e32 v10, v[0:1]
	v_mul_f64 v[2:3], |v[2:3]|, v[4:5]
	v_fma_f64 v[6:7], v[0:1], s[20:21], v[6:7]
	s_mov_b32 s20, 0xfca7ab0c
	s_mov_b32 s21, 0x3e928af3
	s_delay_alu instid0(VALU_DEP_1) | instid1(SALU_CYCLE_1)
	v_fma_f64 v[8:9], v[6:7], s[22:23], s[20:21]
	s_mov_b32 s20, 0x623fde64
	s_mov_b32 s21, 0x3ec71dee
	s_delay_alu instid0(VALU_DEP_1) | instid1(SALU_CYCLE_1)
	;; [unrolled: 4-line block ×9, first 2 shown]
	v_fma_f64 v[8:9], v[6:7], v[8:9], s[20:21]
	s_delay_alu instid0(VALU_DEP_1) | instskip(NEXT) | instid1(VALU_DEP_1)
	v_fma_f64 v[8:9], v[6:7], v[8:9], 1.0
	v_fma_f64 v[0:1], v[6:7], v[8:9], 1.0
	s_delay_alu instid0(VALU_DEP_1) | instskip(NEXT) | instid1(VALU_DEP_1)
	v_ldexp_f64 v[0:1], v[0:1], v10
	v_cndmask_b32_e32 v1, 0x7ff00000, v1, vcc_lo
	s_delay_alu instid0(VALU_DEP_2) | instskip(NEXT) | instid1(VALU_DEP_1)
	v_cndmask_b32_e32 v0, 0, v0, vcc_lo
	v_mul_f64 v[0:1], v[0:1], v[2:3]
.LBB8_675:
	s_or_b32 exec_lo, exec_lo, s1
                                        ; implicit-def: $vgpr2_vgpr3
.LBB8_676:
	s_and_not1_saveexec_b32 s0, s0
	s_cbranch_execz .LBB8_682
; %bb.677:
	v_dual_mov_b32 v0, v2 :: v_dual_and_b32 v1, 0x7fffffff, v3
	s_mov_b32 s20, 0xea87b950
	s_mov_b32 s21, 0x3c545b8a
	;; [unrolled: 1-line block ×4, first 2 shown]
	v_div_scale_f64 v[4:5], null, v[0:1], v[0:1], 0x40400000
	v_div_scale_f64 v[0:1], vcc_lo, 0x40400000, v[0:1], 0x40400000
	s_mov_b32 s24, 0x2e9e5443
	s_mov_b32 s25, 0xbe90dbfd
	s_mov_b32 s1, exec_lo
	s_delay_alu instid0(VALU_DEP_2) | instskip(SKIP_2) | instid1(VALU_DEP_1)
	v_rcp_f64_e32 v[6:7], v[4:5]
	s_waitcnt_depctr 0xfff
	v_fma_f64 v[8:9], -v[4:5], v[6:7], 1.0
	v_fma_f64 v[6:7], v[6:7], v[8:9], v[6:7]
	s_delay_alu instid0(VALU_DEP_1) | instskip(NEXT) | instid1(VALU_DEP_1)
	v_fma_f64 v[8:9], -v[4:5], v[6:7], 1.0
	v_fma_f64 v[6:7], v[6:7], v[8:9], v[6:7]
	s_delay_alu instid0(VALU_DEP_1) | instskip(NEXT) | instid1(VALU_DEP_1)
	v_mul_f64 v[8:9], v[0:1], v[6:7]
	v_fma_f64 v[0:1], -v[4:5], v[8:9], v[0:1]
	s_delay_alu instid0(VALU_DEP_1) | instskip(NEXT) | instid1(VALU_DEP_1)
	v_div_fmas_f64 v[0:1], v[0:1], v[6:7], v[8:9]
	v_div_fixup_f64 v[0:1], v[0:1], |v[2:3]|, 0x40400000
	s_delay_alu instid0(VALU_DEP_1) | instskip(NEXT) | instid1(VALU_DEP_1)
	v_add_f64 v[0:1], v[0:1], -2.0
	v_fma_f64 v[4:5], v[0:1], s[22:23], s[20:21]
	s_mov_b32 s23, 0xbc61556d
	s_mov_b32 s20, 0xb2532277
	;; [unrolled: 1-line block ×3, first 2 shown]
	s_delay_alu instid0(VALU_DEP_1) | instskip(SKIP_2) | instid1(VALU_DEP_1)
	v_fma_f64 v[6:7], v[0:1], v[4:5], s[22:23]
	s_mov_b32 s22, 0x9ad53528
	s_mov_b32 s23, 0xbe30790b
	v_add_f64 v[6:7], v[6:7], s[20:21]
	s_mov_b32 s20, 0x9c773320
	s_mov_b32 s21, 0xbc82806c
	s_delay_alu instid0(VALU_DEP_1) | instskip(NEXT) | instid1(VALU_DEP_1)
	v_fma_f64 v[4:5], v[0:1], v[6:7], -v[4:5]
	v_add_f64 v[4:5], v[4:5], s[20:21]
	s_mov_b32 s20, 0xfceb588a
	s_mov_b32 s21, 0x3cb55915
	s_delay_alu instid0(VALU_DEP_1) | instskip(NEXT) | instid1(VALU_DEP_1)
	v_fma_f64 v[6:7], v[0:1], v[4:5], -v[6:7]
	;; [unrolled: 5-line block ×15, first 2 shown]
	v_add_f64 v[4:5], v[4:5], s[20:21]
	s_mov_b32 s20, 0x652b82fe
	s_mov_b32 s21, 0x3ff71547
	s_delay_alu instid0(SALU_CYCLE_1) | instskip(SKIP_2) | instid1(VALU_DEP_2)
	v_mul_f64 v[8:9], |v[2:3]|, s[20:21]
	s_mov_b32 s20, 0xfefa39ef
	s_mov_b32 s21, 0xbfe62e42
	v_fma_f64 v[6:7], v[0:1], v[4:5], -v[6:7]
	s_delay_alu instid0(VALU_DEP_2) | instskip(NEXT) | instid1(VALU_DEP_2)
	v_rndne_f64_e32 v[8:9], v[8:9]
	v_add_f64 v[6:7], v[6:7], s[22:23]
	s_mov_b32 s22, 0x94bb46c1
	s_mov_b32 s23, 0xbe5c4153
	s_delay_alu instid0(VALU_DEP_2) | instskip(SKIP_2) | instid1(VALU_DEP_2)
	v_fma_f64 v[10:11], v[8:9], s[20:21], |v[2:3]|
	s_mov_b32 s20, 0x3b39803f
	s_mov_b32 s21, 0xbc7abc9e
	v_fma_f64 v[4:5], v[0:1], v[6:7], -v[4:5]
	s_delay_alu instid0(VALU_DEP_2) | instskip(SKIP_3) | instid1(VALU_DEP_3)
	v_fma_f64 v[10:11], v[8:9], s[20:21], v[10:11]
	s_mov_b32 s20, 0xfca7ab0c
	s_mov_b32 s21, 0x3e928af3
	v_cvt_i32_f64_e32 v8, v[8:9]
	v_add_f64 v[4:5], v[4:5], s[22:23]
	s_mov_b32 s22, 0x6a5dcb37
	s_mov_b32 s23, 0x3e5ade15
	s_delay_alu instid0(VALU_DEP_3) | instid1(SALU_CYCLE_1)
	v_fma_f64 v[12:13], v[10:11], s[22:23], s[20:21]
	s_mov_b32 s20, 0x623fde64
	s_mov_b32 s21, 0x3ec71dee
	;; [unrolled: 1-line block ×4, first 2 shown]
	s_delay_alu instid0(VALU_DEP_2) | instskip(NEXT) | instid1(VALU_DEP_2)
	v_fma_f64 v[6:7], v[0:1], v[4:5], -v[6:7]
	v_fma_f64 v[12:13], v[10:11], v[12:13], s[20:21]
	s_mov_b32 s20, 0x7c89e6b0
	s_mov_b32 s21, 0x3efa0199
	s_delay_alu instid0(VALU_DEP_2) | instskip(NEXT) | instid1(VALU_DEP_2)
	v_add_f64 v[6:7], v[6:7], s[24:25]
	v_fma_f64 v[12:13], v[10:11], v[12:13], s[20:21]
	s_mov_b32 s20, 0x14761f6e
	s_mov_b32 s21, 0x3f2a01a0
	s_delay_alu instid0(VALU_DEP_2) | instskip(NEXT) | instid1(VALU_DEP_2)
	v_fma_f64 v[4:5], v[0:1], v[6:7], -v[4:5]
	v_fma_f64 v[12:13], v[10:11], v[12:13], s[20:21]
	s_mov_b32 s20, 0x1852b7b0
	s_mov_b32 s21, 0x3f56c16c
	s_delay_alu instid0(VALU_DEP_2) | instskip(SKIP_2) | instid1(VALU_DEP_2)
	v_add_f64 v[4:5], v[4:5], s[22:23]
	s_mov_b32 s22, 0x804aa9a6
	s_mov_b32 s23, 0xbf1cfd7f
	v_fma_f64 v[12:13], v[10:11], v[12:13], s[20:21]
	s_mov_b32 s20, 0x11122322
	s_mov_b32 s21, 0x3f811111
	s_delay_alu instid0(VALU_DEP_2) | instskip(NEXT) | instid1(VALU_DEP_2)
	v_fma_f64 v[6:7], v[0:1], v[4:5], -v[6:7]
	v_fma_f64 v[12:13], v[10:11], v[12:13], s[20:21]
	s_mov_b32 s20, 0x555502a1
	s_mov_b32 s21, 0x3fa55555
	s_delay_alu instid0(VALU_DEP_2) | instskip(SKIP_2) | instid1(VALU_DEP_2)
	v_add_f64 v[6:7], v[6:7], s[22:23]
	s_mov_b32 s22, 0x53fcdb4c
	s_mov_b32 s23, 0xbf83fda0
	v_fma_f64 v[12:13], v[10:11], v[12:13], s[20:21]
	s_mov_b32 s20, 0x55555511
	s_mov_b32 s21, 0x3fc55555
	s_delay_alu instid0(VALU_DEP_2) | instskip(NEXT) | instid1(VALU_DEP_2)
	v_fma_f64 v[4:5], v[0:1], v[6:7], -v[4:5]
	v_fma_f64 v[12:13], v[10:11], v[12:13], s[20:21]
	s_mov_b32 s20, 11
	s_mov_b32 s21, 0x3fe00000
	s_delay_alu instid0(VALU_DEP_2) | instskip(SKIP_2) | instid1(VALU_DEP_1)
	v_add_f64 v[4:5], v[4:5], s[22:23]
	s_mov_b32 s22, 0xb55b1514
	s_mov_b32 s23, 0x3fe8ea18
	v_fma_f64 v[0:1], v[0:1], v[4:5], -v[6:7]
	s_delay_alu instid0(VALU_DEP_3) | instskip(NEXT) | instid1(VALU_DEP_2)
	v_fma_f64 v[4:5], v[10:11], v[12:13], s[20:21]
	v_add_f64 v[0:1], v[0:1], s[22:23]
	s_delay_alu instid0(VALU_DEP_2) | instskip(NEXT) | instid1(VALU_DEP_2)
	v_fma_f64 v[4:5], v[10:11], v[4:5], 1.0
	v_add_f64 v[0:1], v[0:1], -v[6:7]
	s_delay_alu instid0(VALU_DEP_2) | instskip(NEXT) | instid1(VALU_DEP_2)
	v_fma_f64 v[6:7], v[10:11], v[4:5], 1.0
	v_mul_f64 v[4:5], v[0:1], 0.5
                                        ; implicit-def: $vgpr0_vgpr1
	v_cmpx_ngt_f64_e32 0, v[2:3]
	s_xor_b32 s1, exec_lo, s1
	s_cbranch_execz .LBB8_679
; %bb.678:
	v_cmp_gt_f64_e64 s19, 0x10000000, |v[2:3]|
	s_delay_alu instid0(VALU_DEP_4) | instskip(SKIP_1) | instid1(VALU_DEP_3)
	v_ldexp_f64 v[6:7], v[6:7], v8
	v_cmp_nlt_f64_e64 vcc_lo, 0x40900000, |v[2:3]|
	v_cndmask_b32_e64 v0, 0, 1, s19
	v_cndmask_b32_e64 v8, 0, 0xffffff80, s19
	s_delay_alu instid0(VALU_DEP_2) | instskip(NEXT) | instid1(VALU_DEP_1)
	v_dual_cndmask_b32 v7, 0x7ff00000, v7 :: v_dual_lshlrev_b32 v0, 8, v0
	v_ldexp_f64 v[0:1], |v[2:3]|, v0
	s_delay_alu instid0(VALU_DEP_1) | instskip(SKIP_3) | instid1(VALU_DEP_1)
	v_rsq_f64_e32 v[9:10], v[0:1]
	s_waitcnt_depctr 0xfff
	v_mul_f64 v[11:12], v[0:1], v[9:10]
	v_mul_f64 v[9:10], v[9:10], 0.5
	v_fma_f64 v[17:18], -v[9:10], v[11:12], 0.5
	s_delay_alu instid0(VALU_DEP_1) | instskip(SKIP_1) | instid1(VALU_DEP_2)
	v_fma_f64 v[11:12], v[11:12], v[17:18], v[11:12]
	v_fma_f64 v[9:10], v[9:10], v[17:18], v[9:10]
	v_fma_f64 v[17:18], -v[11:12], v[11:12], v[0:1]
	s_delay_alu instid0(VALU_DEP_1) | instskip(NEXT) | instid1(VALU_DEP_1)
	v_fma_f64 v[11:12], v[17:18], v[9:10], v[11:12]
	v_fma_f64 v[17:18], -v[11:12], v[11:12], v[0:1]
	s_delay_alu instid0(VALU_DEP_1) | instskip(NEXT) | instid1(VALU_DEP_1)
	v_fma_f64 v[2:3], v[17:18], v[9:10], v[11:12]
	v_ldexp_f64 v[2:3], v[2:3], v8
	v_cndmask_b32_e32 v6, 0, v6, vcc_lo
	v_cmp_class_f64_e64 vcc_lo, v[0:1], 0x260
	s_delay_alu instid0(VALU_DEP_3) | instskip(NEXT) | instid1(VALU_DEP_3)
	v_cndmask_b32_e32 v1, v3, v1, vcc_lo
	v_mul_f64 v[4:5], v[6:7], v[4:5]
	v_cndmask_b32_e32 v0, v2, v0, vcc_lo
	s_delay_alu instid0(VALU_DEP_1) | instskip(NEXT) | instid1(VALU_DEP_1)
	v_div_scale_f64 v[2:3], null, v[0:1], v[0:1], v[4:5]
	v_rcp_f64_e32 v[6:7], v[2:3]
	s_waitcnt_depctr 0xfff
	v_fma_f64 v[8:9], -v[2:3], v[6:7], 1.0
	s_delay_alu instid0(VALU_DEP_1) | instskip(NEXT) | instid1(VALU_DEP_1)
	v_fma_f64 v[6:7], v[6:7], v[8:9], v[6:7]
	v_fma_f64 v[8:9], -v[2:3], v[6:7], 1.0
	s_delay_alu instid0(VALU_DEP_1) | instskip(SKIP_1) | instid1(VALU_DEP_1)
	v_fma_f64 v[6:7], v[6:7], v[8:9], v[6:7]
	v_div_scale_f64 v[8:9], vcc_lo, v[4:5], v[0:1], v[4:5]
	v_mul_f64 v[10:11], v[8:9], v[6:7]
	s_delay_alu instid0(VALU_DEP_1) | instskip(NEXT) | instid1(VALU_DEP_1)
	v_fma_f64 v[2:3], -v[2:3], v[10:11], v[8:9]
                                        ; implicit-def: $vgpr8
	v_div_fmas_f64 v[2:3], v[2:3], v[6:7], v[10:11]
                                        ; implicit-def: $vgpr6_vgpr7
	s_delay_alu instid0(VALU_DEP_1)
	v_div_fixup_f64 v[0:1], v[2:3], v[0:1], v[4:5]
                                        ; implicit-def: $vgpr2_vgpr3
                                        ; implicit-def: $vgpr4_vgpr5
.LBB8_679:
	s_and_not1_saveexec_b32 s1, s1
	s_cbranch_execz .LBB8_681
; %bb.680:
	v_cmp_gt_f64_e64 s19, 0x10000000, |v[2:3]|
	s_delay_alu instid0(VALU_DEP_4) | instskip(SKIP_1) | instid1(VALU_DEP_3)
	v_ldexp_f64 v[6:7], -v[6:7], v8
	v_cmp_nlt_f64_e64 vcc_lo, 0x40900000, |v[2:3]|
	v_cndmask_b32_e64 v0, 0, 1, s19
	v_cndmask_b32_e64 v8, 0, 0xffffff80, s19
	s_delay_alu instid0(VALU_DEP_2) | instskip(NEXT) | instid1(VALU_DEP_1)
	v_dual_cndmask_b32 v7, 0xfff00000, v7 :: v_dual_lshlrev_b32 v0, 8, v0
	v_ldexp_f64 v[0:1], |v[2:3]|, v0
	s_delay_alu instid0(VALU_DEP_1) | instskip(SKIP_3) | instid1(VALU_DEP_1)
	v_rsq_f64_e32 v[9:10], v[0:1]
	s_waitcnt_depctr 0xfff
	v_mul_f64 v[11:12], v[0:1], v[9:10]
	v_mul_f64 v[9:10], v[9:10], 0.5
	v_fma_f64 v[17:18], -v[9:10], v[11:12], 0.5
	s_delay_alu instid0(VALU_DEP_1) | instskip(SKIP_1) | instid1(VALU_DEP_2)
	v_fma_f64 v[11:12], v[11:12], v[17:18], v[11:12]
	v_fma_f64 v[9:10], v[9:10], v[17:18], v[9:10]
	v_fma_f64 v[17:18], -v[11:12], v[11:12], v[0:1]
	s_delay_alu instid0(VALU_DEP_1) | instskip(NEXT) | instid1(VALU_DEP_1)
	v_fma_f64 v[11:12], v[17:18], v[9:10], v[11:12]
	v_fma_f64 v[17:18], -v[11:12], v[11:12], v[0:1]
	s_delay_alu instid0(VALU_DEP_1) | instskip(NEXT) | instid1(VALU_DEP_1)
	v_fma_f64 v[2:3], v[17:18], v[9:10], v[11:12]
	v_ldexp_f64 v[2:3], v[2:3], v8
	v_cndmask_b32_e32 v6, 0, v6, vcc_lo
	v_cmp_class_f64_e64 vcc_lo, v[0:1], 0x260
	s_delay_alu instid0(VALU_DEP_3) | instskip(NEXT) | instid1(VALU_DEP_3)
	v_cndmask_b32_e32 v1, v3, v1, vcc_lo
	v_mul_f64 v[4:5], v[6:7], v[4:5]
	v_cndmask_b32_e32 v0, v2, v0, vcc_lo
	s_delay_alu instid0(VALU_DEP_1) | instskip(NEXT) | instid1(VALU_DEP_1)
	v_div_scale_f64 v[2:3], null, v[0:1], v[0:1], v[4:5]
	v_rcp_f64_e32 v[6:7], v[2:3]
	s_waitcnt_depctr 0xfff
	v_fma_f64 v[8:9], -v[2:3], v[6:7], 1.0
	s_delay_alu instid0(VALU_DEP_1) | instskip(NEXT) | instid1(VALU_DEP_1)
	v_fma_f64 v[6:7], v[6:7], v[8:9], v[6:7]
	v_fma_f64 v[8:9], -v[2:3], v[6:7], 1.0
	s_delay_alu instid0(VALU_DEP_1) | instskip(SKIP_1) | instid1(VALU_DEP_1)
	v_fma_f64 v[6:7], v[6:7], v[8:9], v[6:7]
	v_div_scale_f64 v[8:9], vcc_lo, v[4:5], v[0:1], v[4:5]
	v_mul_f64 v[10:11], v[8:9], v[6:7]
	s_delay_alu instid0(VALU_DEP_1) | instskip(NEXT) | instid1(VALU_DEP_1)
	v_fma_f64 v[2:3], -v[2:3], v[10:11], v[8:9]
	v_div_fmas_f64 v[2:3], v[2:3], v[6:7], v[10:11]
	s_delay_alu instid0(VALU_DEP_1)
	v_div_fixup_f64 v[0:1], v[2:3], v[0:1], v[4:5]
.LBB8_681:
	s_or_b32 exec_lo, exec_lo, s1
.LBB8_682:
	s_delay_alu instid0(SALU_CYCLE_1) | instskip(SKIP_2) | instid1(VALU_DEP_1)
	s_or_b32 exec_lo, exec_lo, s0
	v_mul_lo_u32 v2, v15, s2
	v_and_b32_e32 v6, 0xff, v14
	v_cmp_gt_i16_e32 vcc_lo, 11, v6
	s_delay_alu instid0(VALU_DEP_3) | instskip(SKIP_1) | instid1(VALU_DEP_1)
	v_ashrrev_i32_e32 v3, 31, v2
	v_add_co_u32 v4, s0, s4, v2
	v_add_co_ci_u32_e64 v5, s0, s5, v3, s0
	s_cbranch_vccnz .LBB8_690
; %bb.683:
	v_cmp_lt_i16_e32 vcc_lo, 25, v6
	s_cbranch_vccz .LBB8_691
; %bb.684:
	v_cmp_lt_i16_e32 vcc_lo, 28, v6
	s_cbranch_vccz .LBB8_692
	;; [unrolled: 3-line block ×4, first 2 shown]
; %bb.687:
	v_cmp_eq_u16_e32 vcc_lo, 46, v6
	s_mov_b32 s19, 0
	s_mov_b32 s0, -1
	s_mov_b32 s1, 0
	s_cbranch_vccz .LBB8_695
; %bb.688:
	v_cvt_f32_f64_e32 v2, v[0:1]
	s_mov_b32 s1, -1
	s_mov_b32 s0, 0
	s_delay_alu instid0(VALU_DEP_1) | instskip(SKIP_1) | instid1(VALU_DEP_2)
	v_bfe_u32 v3, v2, 16, 1
	v_cmp_o_f32_e32 vcc_lo, v2, v2
	v_add3_u32 v3, v2, v3, 0x7fff
	s_delay_alu instid0(VALU_DEP_1) | instskip(NEXT) | instid1(VALU_DEP_1)
	v_lshrrev_b32_e32 v3, 16, v3
	v_cndmask_b32_e32 v2, 0x7fc0, v3, vcc_lo
	global_store_b32 v[4:5], v2, off
	s_branch .LBB8_695
.LBB8_689:
	s_mov_b32 s1, 0
	s_mov_b32 s0, s15
	s_branch .LBB8_806
.LBB8_690:
	s_mov_b32 s19, -1
	s_mov_b32 s1, 0
	s_mov_b32 s0, s15
	s_branch .LBB8_764
.LBB8_691:
	s_mov_b32 s19, -1
	s_mov_b32 s1, 0
	s_mov_b32 s0, s15
	s_branch .LBB8_722
.LBB8_692:
	s_mov_b32 s19, -1
	s_mov_b32 s1, 0
	s_mov_b32 s0, s15
	s_branch .LBB8_705
.LBB8_693:
	s_mov_b32 s19, -1
	s_mov_b32 s1, 0
	s_mov_b32 s0, s15
	s_branch .LBB8_701
.LBB8_694:
	s_mov_b32 s19, -1
	s_mov_b32 s1, 0
	s_mov_b32 s0, s15
.LBB8_695:
	s_and_b32 vcc_lo, exec_lo, s19
	s_cbranch_vccz .LBB8_700
; %bb.696:
	v_cmp_eq_u16_e32 vcc_lo, 44, v6
	s_mov_b32 s0, -1
	s_cbranch_vccz .LBB8_700
; %bb.697:
	v_cvt_f32_f64_e32 v2, v[0:1]
	v_mov_b32_e32 v3, 0xff
	s_mov_b32 s1, exec_lo
	s_delay_alu instid0(VALU_DEP_2) | instskip(NEXT) | instid1(VALU_DEP_1)
	v_bfe_u32 v7, v2, 23, 8
	v_cmpx_ne_u32_e32 0xff, v7
; %bb.698:
	v_and_b32_e32 v3, 0x400000, v2
	v_and_or_b32 v7, 0x3fffff, v2, v7
	v_lshrrev_b32_e32 v2, 23, v2
	s_delay_alu instid0(VALU_DEP_3) | instskip(NEXT) | instid1(VALU_DEP_3)
	v_cmp_ne_u32_e32 vcc_lo, 0, v3
	v_cmp_ne_u32_e64 s0, 0, v7
	s_delay_alu instid0(VALU_DEP_1) | instskip(NEXT) | instid1(SALU_CYCLE_1)
	s_and_b32 s0, vcc_lo, s0
	v_cndmask_b32_e64 v3, 0, 1, s0
	s_delay_alu instid0(VALU_DEP_1)
	v_add_nc_u32_e32 v3, v2, v3
; %bb.699:
	s_or_b32 exec_lo, exec_lo, s1
	s_mov_b32 s1, -1
	s_mov_b32 s0, 0
	global_store_b8 v[4:5], v3, off
.LBB8_700:
	s_mov_b32 s19, 0
.LBB8_701:
	s_delay_alu instid0(SALU_CYCLE_1)
	s_and_b32 vcc_lo, exec_lo, s19
	s_cbranch_vccz .LBB8_704
; %bb.702:
	v_cmp_eq_u16_e32 vcc_lo, 29, v6
	s_mov_b32 s0, -1
	s_cbranch_vccz .LBB8_704
; %bb.703:
	v_trunc_f64_e32 v[2:3], v[0:1]
	s_mov_b32 s1, -1
	s_mov_b32 s0, 0
	s_mov_b32 s19, 0
	s_delay_alu instid0(VALU_DEP_1) | instskip(NEXT) | instid1(VALU_DEP_1)
	v_ldexp_f64 v[7:8], v[2:3], 0xffffffe0
	v_floor_f64_e32 v[7:8], v[7:8]
	s_delay_alu instid0(VALU_DEP_1) | instskip(SKIP_1) | instid1(VALU_DEP_2)
	v_fma_f64 v[2:3], 0xc1f00000, v[7:8], v[2:3]
	v_cvt_u32_f64_e32 v8, v[7:8]
	v_cvt_u32_f64_e32 v7, v[2:3]
	global_store_b64 v[4:5], v[7:8], off
	s_branch .LBB8_705
.LBB8_704:
	s_mov_b32 s19, 0
.LBB8_705:
	s_delay_alu instid0(SALU_CYCLE_1)
	s_and_b32 vcc_lo, exec_lo, s19
	s_cbranch_vccz .LBB8_721
; %bb.706:
	v_cmp_gt_i16_e32 vcc_lo, 27, v6
	s_mov_b32 s1, -1
	s_cbranch_vccnz .LBB8_712
; %bb.707:
	v_cmp_lt_i16_e32 vcc_lo, 27, v6
	s_cbranch_vccz .LBB8_709
; %bb.708:
	v_cvt_u32_f64_e32 v2, v[0:1]
	s_mov_b32 s1, 0
	global_store_b32 v[4:5], v2, off
.LBB8_709:
	s_and_not1_b32 vcc_lo, exec_lo, s1
	s_cbranch_vccnz .LBB8_711
; %bb.710:
	v_cvt_u32_f64_e32 v2, v[0:1]
	global_store_b16 v[4:5], v2, off
.LBB8_711:
	s_mov_b32 s1, 0
.LBB8_712:
	s_delay_alu instid0(SALU_CYCLE_1)
	s_and_not1_b32 vcc_lo, exec_lo, s1
	s_cbranch_vccnz .LBB8_720
; %bb.713:
	v_cvt_f32_f64_e32 v2, v[0:1]
	v_mov_b32_e32 v7, 0x80
	s_mov_b32 s1, exec_lo
	s_delay_alu instid0(VALU_DEP_2) | instskip(NEXT) | instid1(VALU_DEP_1)
	v_and_b32_e32 v3, 0x7fffffff, v2
	v_cmpx_gt_u32_e32 0x43800000, v3
	s_cbranch_execz .LBB8_719
; %bb.714:
	v_cmp_lt_u32_e32 vcc_lo, 0x3bffffff, v3
	s_mov_b32 s19, 0
                                        ; implicit-def: $vgpr3
	s_and_saveexec_b32 s20, vcc_lo
	s_delay_alu instid0(SALU_CYCLE_1)
	s_xor_b32 s20, exec_lo, s20
	s_cbranch_execz .LBB8_821
; %bb.715:
	v_bfe_u32 v3, v2, 20, 1
	s_mov_b32 s19, exec_lo
	s_delay_alu instid0(VALU_DEP_1) | instskip(NEXT) | instid1(VALU_DEP_1)
	v_add3_u32 v3, v2, v3, 0x487ffff
	v_lshrrev_b32_e32 v3, 20, v3
	s_or_saveexec_b32 s20, s20
                                        ; implicit-def: $sgpr21
	s_delay_alu instid0(SALU_CYCLE_1)
	s_xor_b32 exec_lo, exec_lo, s20
	s_cbranch_execnz .LBB8_822
.LBB8_716:
	s_or_b32 exec_lo, exec_lo, s20
	v_mov_b32_e32 v7, s21
	s_and_saveexec_b32 s20, s19
.LBB8_717:
	v_lshrrev_b32_e32 v2, 24, v2
	s_delay_alu instid0(VALU_DEP_1)
	v_and_or_b32 v7, 0x80, v2, v3
.LBB8_718:
	s_or_b32 exec_lo, exec_lo, s20
.LBB8_719:
	s_delay_alu instid0(SALU_CYCLE_1)
	s_or_b32 exec_lo, exec_lo, s1
	global_store_b8 v[4:5], v7, off
.LBB8_720:
	s_mov_b32 s1, -1
.LBB8_721:
	s_mov_b32 s19, 0
.LBB8_722:
	s_delay_alu instid0(SALU_CYCLE_1)
	s_and_b32 vcc_lo, exec_lo, s19
	s_cbranch_vccz .LBB8_763
; %bb.723:
	v_cmp_lt_i16_e32 vcc_lo, 22, v6
	s_mov_b32 s19, -1
	s_cbranch_vccz .LBB8_755
; %bb.724:
	v_cmp_gt_i16_e32 vcc_lo, 24, v6
	s_mov_b32 s1, -1
	s_cbranch_vccnz .LBB8_744
; %bb.725:
	v_cmp_lt_i16_e32 vcc_lo, 24, v6
	s_cbranch_vccz .LBB8_733
; %bb.726:
	v_cvt_f32_f64_e32 v2, v[0:1]
	v_mov_b32_e32 v7, 0x80
	s_mov_b32 s1, exec_lo
	s_delay_alu instid0(VALU_DEP_2) | instskip(NEXT) | instid1(VALU_DEP_1)
	v_and_b32_e32 v3, 0x7fffffff, v2
	v_cmpx_gt_u32_e32 0x47800000, v3
	s_cbranch_execz .LBB8_732
; %bb.727:
	v_cmp_lt_u32_e32 vcc_lo, 0x37ffffff, v3
	s_mov_b32 s19, 0
                                        ; implicit-def: $vgpr3
	s_and_saveexec_b32 s20, vcc_lo
	s_delay_alu instid0(SALU_CYCLE_1)
	s_xor_b32 s20, exec_lo, s20
	s_cbranch_execz .LBB8_824
; %bb.728:
	v_bfe_u32 v3, v2, 21, 1
	s_mov_b32 s19, exec_lo
	s_delay_alu instid0(VALU_DEP_1) | instskip(NEXT) | instid1(VALU_DEP_1)
	v_add3_u32 v3, v2, v3, 0x88fffff
	v_lshrrev_b32_e32 v3, 21, v3
	s_or_saveexec_b32 s20, s20
                                        ; implicit-def: $sgpr21
	s_delay_alu instid0(SALU_CYCLE_1)
	s_xor_b32 exec_lo, exec_lo, s20
	s_cbranch_execnz .LBB8_825
.LBB8_729:
	s_or_b32 exec_lo, exec_lo, s20
	v_mov_b32_e32 v7, s21
	s_and_saveexec_b32 s20, s19
.LBB8_730:
	v_lshrrev_b32_e32 v2, 24, v2
	s_delay_alu instid0(VALU_DEP_1)
	v_and_or_b32 v7, 0x80, v2, v3
.LBB8_731:
	s_or_b32 exec_lo, exec_lo, s20
.LBB8_732:
	s_delay_alu instid0(SALU_CYCLE_1)
	s_or_b32 exec_lo, exec_lo, s1
	s_mov_b32 s1, 0
	global_store_b8 v[4:5], v7, off
.LBB8_733:
	s_and_b32 vcc_lo, exec_lo, s1
	s_cbranch_vccz .LBB8_743
; %bb.734:
	v_cvt_f32_f64_e32 v2, v[0:1]
	s_mov_b32 s1, exec_lo
                                        ; implicit-def: $vgpr3
	s_delay_alu instid0(VALU_DEP_1) | instskip(NEXT) | instid1(VALU_DEP_1)
	v_and_b32_e32 v7, 0x7fffffff, v2
	v_cmpx_gt_u32_e32 0x43f00000, v7
	s_xor_b32 s1, exec_lo, s1
	s_cbranch_execz .LBB8_740
; %bb.735:
	s_mov_b32 s19, exec_lo
                                        ; implicit-def: $vgpr3
	v_cmpx_lt_u32_e32 0x3c7fffff, v7
	s_xor_b32 s19, exec_lo, s19
; %bb.736:
	v_bfe_u32 v3, v2, 20, 1
	s_delay_alu instid0(VALU_DEP_1) | instskip(NEXT) | instid1(VALU_DEP_1)
	v_add3_u32 v3, v2, v3, 0x407ffff
	v_and_b32_e32 v7, 0xff00000, v3
	v_lshrrev_b32_e32 v3, 20, v3
	s_delay_alu instid0(VALU_DEP_2) | instskip(NEXT) | instid1(VALU_DEP_2)
	v_cmp_ne_u32_e32 vcc_lo, 0x7f00000, v7
	v_cndmask_b32_e32 v3, 0x7e, v3, vcc_lo
; %bb.737:
	s_and_not1_saveexec_b32 s19, s19
; %bb.738:
	v_add_f32_e64 v3, 0x46800000, |v2|
; %bb.739:
	s_or_b32 exec_lo, exec_lo, s19
                                        ; implicit-def: $vgpr7
.LBB8_740:
	s_and_not1_saveexec_b32 s1, s1
; %bb.741:
	v_mov_b32_e32 v3, 0x7f
	v_cmp_lt_u32_e32 vcc_lo, 0x7f800000, v7
	s_delay_alu instid0(VALU_DEP_2)
	v_cndmask_b32_e32 v3, 0x7e, v3, vcc_lo
; %bb.742:
	s_or_b32 exec_lo, exec_lo, s1
	v_lshrrev_b32_e32 v2, 24, v2
	s_delay_alu instid0(VALU_DEP_1)
	v_and_or_b32 v2, 0x80, v2, v3
	global_store_b8 v[4:5], v2, off
.LBB8_743:
	s_mov_b32 s1, 0
.LBB8_744:
	s_delay_alu instid0(SALU_CYCLE_1)
	s_and_not1_b32 vcc_lo, exec_lo, s1
	s_cbranch_vccnz .LBB8_754
; %bb.745:
	v_cvt_f32_f64_e32 v2, v[0:1]
	s_mov_b32 s1, exec_lo
                                        ; implicit-def: $vgpr3
	s_delay_alu instid0(VALU_DEP_1) | instskip(NEXT) | instid1(VALU_DEP_1)
	v_and_b32_e32 v7, 0x7fffffff, v2
	v_cmpx_gt_u32_e32 0x47800000, v7
	s_xor_b32 s1, exec_lo, s1
	s_cbranch_execz .LBB8_751
; %bb.746:
	s_mov_b32 s19, exec_lo
                                        ; implicit-def: $vgpr3
	v_cmpx_lt_u32_e32 0x387fffff, v7
	s_xor_b32 s19, exec_lo, s19
; %bb.747:
	v_bfe_u32 v3, v2, 21, 1
	s_delay_alu instid0(VALU_DEP_1) | instskip(NEXT) | instid1(VALU_DEP_1)
	v_add3_u32 v3, v2, v3, 0x80fffff
	v_lshrrev_b32_e32 v3, 21, v3
; %bb.748:
	s_and_not1_saveexec_b32 s19, s19
; %bb.749:
	v_add_f32_e64 v3, 0x43000000, |v2|
; %bb.750:
	s_or_b32 exec_lo, exec_lo, s19
                                        ; implicit-def: $vgpr7
.LBB8_751:
	s_and_not1_saveexec_b32 s1, s1
; %bb.752:
	v_mov_b32_e32 v3, 0x7f
	v_cmp_lt_u32_e32 vcc_lo, 0x7f800000, v7
	s_delay_alu instid0(VALU_DEP_2)
	v_cndmask_b32_e32 v3, 0x7c, v3, vcc_lo
; %bb.753:
	s_or_b32 exec_lo, exec_lo, s1
	v_lshrrev_b32_e32 v2, 24, v2
	s_delay_alu instid0(VALU_DEP_1)
	v_and_or_b32 v2, 0x80, v2, v3
	global_store_b8 v[4:5], v2, off
.LBB8_754:
	s_mov_b32 s19, 0
	s_mov_b32 s1, -1
.LBB8_755:
	s_and_not1_b32 vcc_lo, exec_lo, s19
	s_cbranch_vccnz .LBB8_763
; %bb.756:
	v_cmp_lt_i16_e32 vcc_lo, 14, v6
	s_mov_b32 s19, -1
	s_cbranch_vccz .LBB8_760
; %bb.757:
	v_cmp_eq_u16_e32 vcc_lo, 15, v6
	s_mov_b32 s0, -1
	s_cbranch_vccz .LBB8_759
; %bb.758:
	v_cvt_f32_f64_e32 v2, v[0:1]
	s_mov_b32 s1, -1
	s_mov_b32 s0, 0
	s_delay_alu instid0(VALU_DEP_1) | instskip(SKIP_1) | instid1(VALU_DEP_2)
	v_bfe_u32 v3, v2, 16, 1
	v_cmp_o_f32_e32 vcc_lo, v2, v2
	v_add3_u32 v3, v2, v3, 0x7fff
	s_delay_alu instid0(VALU_DEP_1) | instskip(NEXT) | instid1(VALU_DEP_1)
	v_lshrrev_b32_e32 v3, 16, v3
	v_cndmask_b32_e32 v2, 0x7fc0, v3, vcc_lo
	global_store_b16 v[4:5], v2, off
.LBB8_759:
	s_mov_b32 s19, 0
.LBB8_760:
	s_delay_alu instid0(SALU_CYCLE_1)
	s_and_b32 vcc_lo, exec_lo, s19
	s_cbranch_vccz .LBB8_763
; %bb.761:
	v_cmp_eq_u16_e32 vcc_lo, 11, v6
	s_mov_b32 s0, -1
	s_cbranch_vccz .LBB8_763
; %bb.762:
	v_cmp_neq_f64_e32 vcc_lo, 0, v[0:1]
	s_mov_b32 s1, -1
	s_mov_b32 s0, 0
	v_cndmask_b32_e64 v2, 0, 1, vcc_lo
	global_store_b8 v[4:5], v2, off
.LBB8_763:
	s_mov_b32 s19, 0
.LBB8_764:
	s_delay_alu instid0(SALU_CYCLE_1)
	s_and_b32 vcc_lo, exec_lo, s19
	s_cbranch_vccz .LBB8_803
; %bb.765:
	v_cmp_gt_i16_e32 vcc_lo, 5, v6
	s_mov_b32 s1, -1
	s_cbranch_vccnz .LBB8_786
; %bb.766:
	v_cmp_gt_i16_e32 vcc_lo, 8, v6
	s_cbranch_vccnz .LBB8_776
; %bb.767:
	v_cmp_gt_i16_e32 vcc_lo, 9, v6
	s_cbranch_vccnz .LBB8_773
; %bb.768:
	v_cmp_lt_i16_e32 vcc_lo, 9, v6
	s_cbranch_vccz .LBB8_770
; %bb.769:
	v_mov_b32_e32 v2, 0
	s_mov_b32 s1, 0
	s_delay_alu instid0(VALU_DEP_1)
	v_mov_b32_e32 v3, v2
	global_store_b128 v[4:5], v[0:3], off
.LBB8_770:
	s_and_not1_b32 vcc_lo, exec_lo, s1
	s_cbranch_vccnz .LBB8_772
; %bb.771:
	v_cvt_f32_f64_e32 v2, v[0:1]
	v_mov_b32_e32 v3, 0
	global_store_b64 v[4:5], v[2:3], off
.LBB8_772:
	s_mov_b32 s1, 0
.LBB8_773:
	s_delay_alu instid0(SALU_CYCLE_1)
	s_and_not1_b32 vcc_lo, exec_lo, s1
	s_cbranch_vccnz .LBB8_775
; %bb.774:
	v_cvt_f32_f64_e32 v2, v[0:1]
	s_delay_alu instid0(VALU_DEP_1) | instskip(NEXT) | instid1(VALU_DEP_1)
	v_cvt_f16_f32_e32 v2, v2
	v_and_b32_e32 v2, 0xffff, v2
	global_store_b32 v[4:5], v2, off
.LBB8_775:
	s_mov_b32 s1, 0
.LBB8_776:
	s_delay_alu instid0(SALU_CYCLE_1)
	s_and_not1_b32 vcc_lo, exec_lo, s1
	s_cbranch_vccnz .LBB8_785
; %bb.777:
	v_cmp_gt_i16_e32 vcc_lo, 6, v6
	s_mov_b32 s1, -1
	s_cbranch_vccnz .LBB8_783
; %bb.778:
	v_cmp_lt_i16_e32 vcc_lo, 6, v6
	s_cbranch_vccz .LBB8_780
; %bb.779:
	s_mov_b32 s1, 0
	global_store_b64 v[4:5], v[0:1], off
.LBB8_780:
	s_and_not1_b32 vcc_lo, exec_lo, s1
	s_cbranch_vccnz .LBB8_782
; %bb.781:
	v_cvt_f32_f64_e32 v2, v[0:1]
	global_store_b32 v[4:5], v2, off
.LBB8_782:
	s_mov_b32 s1, 0
.LBB8_783:
	s_delay_alu instid0(SALU_CYCLE_1)
	s_and_not1_b32 vcc_lo, exec_lo, s1
	s_cbranch_vccnz .LBB8_785
; %bb.784:
	v_cvt_f32_f64_e32 v2, v[0:1]
	s_delay_alu instid0(VALU_DEP_1)
	v_cvt_f16_f32_e32 v2, v2
	global_store_b16 v[4:5], v2, off
.LBB8_785:
	s_mov_b32 s1, 0
.LBB8_786:
	s_delay_alu instid0(SALU_CYCLE_1)
	s_and_not1_b32 vcc_lo, exec_lo, s1
	s_cbranch_vccnz .LBB8_802
; %bb.787:
	v_cmp_gt_i16_e32 vcc_lo, 2, v6
	s_mov_b32 s1, -1
	s_cbranch_vccnz .LBB8_797
; %bb.788:
	v_cmp_gt_i16_e32 vcc_lo, 3, v6
	s_cbranch_vccnz .LBB8_794
; %bb.789:
	v_cmp_lt_i16_e32 vcc_lo, 3, v6
	s_cbranch_vccz .LBB8_791
; %bb.790:
	v_trunc_f64_e32 v[2:3], v[0:1]
	s_mov_b32 s1, 0
	s_delay_alu instid0(VALU_DEP_1) | instskip(NEXT) | instid1(VALU_DEP_1)
	v_ldexp_f64 v[7:8], v[2:3], 0xffffffe0
	v_floor_f64_e32 v[7:8], v[7:8]
	s_delay_alu instid0(VALU_DEP_1) | instskip(SKIP_1) | instid1(VALU_DEP_2)
	v_fma_f64 v[2:3], 0xc1f00000, v[7:8], v[2:3]
	v_cvt_i32_f64_e32 v8, v[7:8]
	v_cvt_u32_f64_e32 v7, v[2:3]
	global_store_b64 v[4:5], v[7:8], off
.LBB8_791:
	s_and_not1_b32 vcc_lo, exec_lo, s1
	s_cbranch_vccnz .LBB8_793
; %bb.792:
	v_cvt_i32_f64_e32 v2, v[0:1]
	global_store_b32 v[4:5], v2, off
.LBB8_793:
	s_mov_b32 s1, 0
.LBB8_794:
	s_delay_alu instid0(SALU_CYCLE_1)
	s_and_not1_b32 vcc_lo, exec_lo, s1
	s_cbranch_vccnz .LBB8_796
; %bb.795:
	v_cvt_i32_f64_e32 v2, v[0:1]
	global_store_b16 v[4:5], v2, off
.LBB8_796:
	s_mov_b32 s1, 0
.LBB8_797:
	s_delay_alu instid0(SALU_CYCLE_1)
	s_and_not1_b32 vcc_lo, exec_lo, s1
	s_cbranch_vccnz .LBB8_802
; %bb.798:
	v_cmp_lt_i16_e32 vcc_lo, 0, v6
	s_mov_b32 s1, -1
	s_cbranch_vccz .LBB8_800
; %bb.799:
	v_cvt_i32_f64_e32 v2, v[0:1]
	s_mov_b32 s1, 0
	global_store_b8 v[4:5], v2, off
.LBB8_800:
	s_and_not1_b32 vcc_lo, exec_lo, s1
	s_cbranch_vccnz .LBB8_802
; %bb.801:
	v_trunc_f64_e32 v[0:1], v[0:1]
	s_delay_alu instid0(VALU_DEP_1) | instskip(NEXT) | instid1(VALU_DEP_1)
	v_ldexp_f64 v[2:3], v[0:1], 0xffffffe0
	v_floor_f64_e32 v[2:3], v[2:3]
	s_delay_alu instid0(VALU_DEP_1) | instskip(NEXT) | instid1(VALU_DEP_1)
	v_fma_f64 v[0:1], 0xc1f00000, v[2:3], v[0:1]
	v_cvt_u32_f64_e32 v0, v[0:1]
	global_store_b8 v[4:5], v0, off
.LBB8_802:
	s_mov_b32 s1, -1
.LBB8_803:
	s_delay_alu instid0(SALU_CYCLE_1)
	s_and_not1_b32 vcc_lo, exec_lo, s1
	s_cbranch_vccnz .LBB8_805
; %bb.804:
	v_add_nc_u32_e32 v15, 0x80, v15
	s_mov_b32 s1, -1
	s_branch .LBB8_807
.LBB8_805:
	s_mov_b32 s1, 0
.LBB8_806:
                                        ; implicit-def: $vgpr15
.LBB8_807:
	s_and_not1_b32 s19, s15, exec_lo
	s_and_b32 s0, s0, exec_lo
	s_and_not1_b32 s20, s14, exec_lo
	s_and_b32 s18, s18, exec_lo
	s_or_b32 s19, s19, s0
	s_or_b32 s18, s20, s18
	s_or_not1_b32 s0, s1, exec_lo
.LBB8_808:
	s_or_b32 exec_lo, exec_lo, s17
	s_mov_b32 s1, 0
	s_mov_b32 s20, 0
	;; [unrolled: 1-line block ×3, first 2 shown]
                                        ; implicit-def: $vgpr0_vgpr1
                                        ; implicit-def: $vgpr2_vgpr3
	s_and_saveexec_b32 s17, s0
	s_cbranch_execz .LBB8_893
; %bb.809:
	v_cmp_gt_i32_e32 vcc_lo, s11, v15
	s_mov_b32 s0, 0
	s_mov_b32 s22, s18
	;; [unrolled: 1-line block ×3, first 2 shown]
                                        ; implicit-def: $vgpr0_vgpr1
                                        ; implicit-def: $vgpr2_vgpr3
	s_and_saveexec_b32 s11, vcc_lo
	s_cbranch_execz .LBB8_892
; %bb.810:
	v_mul_lo_u32 v0, v15, s3
	v_cmp_gt_i16_e32 vcc_lo, 11, v16
	s_delay_alu instid0(VALU_DEP_2) | instskip(SKIP_1) | instid1(VALU_DEP_1)
	v_ashrrev_i32_e32 v1, 31, v0
	v_add_co_u32 v0, s0, s6, v0
	v_add_co_ci_u32_e64 v1, s0, s7, v1, s0
	s_cbranch_vccnz .LBB8_817
; %bb.811:
	v_cmp_lt_i16_e32 vcc_lo, 25, v16
	s_cbranch_vccz .LBB8_818
; %bb.812:
	v_cmp_lt_i16_e32 vcc_lo, 28, v16
	s_cbranch_vccz .LBB8_819
	;; [unrolled: 3-line block ×4, first 2 shown]
; %bb.815:
	v_cmp_eq_u16_e32 vcc_lo, 46, v16
	s_cbranch_vccz .LBB8_826
; %bb.816:
	global_load_b32 v2, v[0:1], off
	s_mov_b32 s0, -1
	s_waitcnt vmcnt(0)
	v_lshlrev_b32_e32 v2, 16, v2
	s_delay_alu instid0(VALU_DEP_1)
	v_cvt_f64_f32_e32 v[2:3], v2
	s_branch .LBB8_828
.LBB8_817:
	s_mov_b32 s1, -1
	s_mov_b32 s0, 0
	s_mov_b32 s20, s18
                                        ; implicit-def: $vgpr2_vgpr3
	s_branch .LBB8_891
.LBB8_818:
	s_mov_b32 s1, -1
	s_mov_b32 s0, 0
	s_mov_b32 s20, s18
                                        ; implicit-def: $vgpr2_vgpr3
	s_branch .LBB8_859
.LBB8_819:
	s_mov_b32 s1, -1
	s_mov_b32 s0, 0
	s_mov_b32 s20, s18
                                        ; implicit-def: $vgpr2_vgpr3
	s_branch .LBB8_838
.LBB8_820:
	s_mov_b32 s1, -1
	s_mov_b32 s0, 0
	s_mov_b32 s20, s18
                                        ; implicit-def: $vgpr2_vgpr3
	s_branch .LBB8_833
.LBB8_821:
	s_or_saveexec_b32 s20, s20
                                        ; implicit-def: $sgpr21
	s_delay_alu instid0(SALU_CYCLE_1)
	s_xor_b32 exec_lo, exec_lo, s20
	s_cbranch_execz .LBB8_716
.LBB8_822:
	v_add_f32_e64 v3, 0x46000000, |v2|
	s_and_not1_b32 s19, s19, exec_lo
	s_mov_b32 s21, 0
	s_delay_alu instid0(VALU_DEP_1) | instskip(NEXT) | instid1(VALU_DEP_1)
	v_and_b32_e32 v3, 0xff, v3
	v_cmp_ne_u32_e32 vcc_lo, 0, v3
	s_and_b32 s22, vcc_lo, exec_lo
	s_delay_alu instid0(SALU_CYCLE_1)
	s_or_b32 s19, s19, s22
	s_or_b32 exec_lo, exec_lo, s20
	v_mov_b32_e32 v7, s21
	s_and_saveexec_b32 s20, s19
	s_cbranch_execnz .LBB8_717
	s_branch .LBB8_718
.LBB8_823:
	s_mov_b32 s1, -1
	s_mov_b32 s0, 0
	s_mov_b32 s20, s18
	s_branch .LBB8_827
.LBB8_824:
	s_or_saveexec_b32 s20, s20
                                        ; implicit-def: $sgpr21
	s_delay_alu instid0(SALU_CYCLE_1)
	s_xor_b32 exec_lo, exec_lo, s20
	s_cbranch_execz .LBB8_729
.LBB8_825:
	v_add_f32_e64 v3, 0x42800000, |v2|
	s_and_not1_b32 s19, s19, exec_lo
	s_mov_b32 s21, 0
	s_delay_alu instid0(VALU_DEP_1) | instskip(NEXT) | instid1(VALU_DEP_1)
	v_and_b32_e32 v3, 0xff, v3
	v_cmp_ne_u32_e32 vcc_lo, 0, v3
	s_and_b32 s22, vcc_lo, exec_lo
	s_delay_alu instid0(SALU_CYCLE_1)
	s_or_b32 s19, s19, s22
	s_or_b32 exec_lo, exec_lo, s20
	v_mov_b32_e32 v7, s21
	s_and_saveexec_b32 s20, s19
	s_cbranch_execnz .LBB8_730
	s_branch .LBB8_731
.LBB8_826:
	s_mov_b32 s20, -1
	s_mov_b32 s0, 0
.LBB8_827:
                                        ; implicit-def: $vgpr2_vgpr3
.LBB8_828:
	s_and_b32 vcc_lo, exec_lo, s1
	s_cbranch_vccz .LBB8_832
; %bb.829:
	v_cmp_eq_u16_e32 vcc_lo, 44, v16
	s_cbranch_vccz .LBB8_831
; %bb.830:
	global_load_u8 v4, v[0:1], off
	s_mov_b32 s20, 0
	s_mov_b32 s0, -1
	s_waitcnt vmcnt(0)
	v_cmp_ne_u32_e32 vcc_lo, 0xff, v4
	v_lshlrev_b32_e32 v2, 23, v4
	s_delay_alu instid0(VALU_DEP_1) | instskip(NEXT) | instid1(VALU_DEP_1)
	v_cvt_f64_f32_e32 v[2:3], v2
	v_cndmask_b32_e32 v3, 0x7ff80000, v3, vcc_lo
	s_delay_alu instid0(VALU_DEP_2) | instskip(SKIP_1) | instid1(VALU_DEP_3)
	v_cndmask_b32_e32 v2, 0x20000000, v2, vcc_lo
	v_cmp_ne_u32_e32 vcc_lo, 0, v4
	v_cndmask_b32_e32 v3, 0x38000000, v3, vcc_lo
	s_delay_alu instid0(VALU_DEP_3)
	v_cndmask_b32_e32 v2, 0, v2, vcc_lo
	s_branch .LBB8_832
.LBB8_831:
	s_mov_b32 s20, -1
                                        ; implicit-def: $vgpr2_vgpr3
.LBB8_832:
	s_mov_b32 s1, 0
.LBB8_833:
	s_delay_alu instid0(SALU_CYCLE_1)
	s_and_b32 vcc_lo, exec_lo, s1
	s_cbranch_vccz .LBB8_837
; %bb.834:
	v_cmp_eq_u16_e32 vcc_lo, 29, v16
	s_cbranch_vccz .LBB8_836
; %bb.835:
	global_load_b64 v[2:3], v[0:1], off
	s_mov_b32 s20, 0
	s_mov_b32 s0, -1
	s_mov_b32 s1, 0
	s_waitcnt vmcnt(0)
	v_cvt_f64_u32_e32 v[3:4], v3
	v_cvt_f64_u32_e32 v[5:6], v2
	s_delay_alu instid0(VALU_DEP_2) | instskip(NEXT) | instid1(VALU_DEP_1)
	v_ldexp_f64 v[3:4], v[3:4], 32
	v_add_f64 v[2:3], v[3:4], v[5:6]
	s_branch .LBB8_838
.LBB8_836:
	s_mov_b32 s20, -1
                                        ; implicit-def: $vgpr2_vgpr3
.LBB8_837:
	s_mov_b32 s1, 0
.LBB8_838:
	s_delay_alu instid0(SALU_CYCLE_1)
	s_and_b32 vcc_lo, exec_lo, s1
	s_cbranch_vccz .LBB8_858
; %bb.839:
	v_cmp_gt_i16_e32 vcc_lo, 27, v16
	s_cbranch_vccnz .LBB8_842
; %bb.840:
	v_cmp_lt_i16_e32 vcc_lo, 27, v16
	s_cbranch_vccz .LBB8_843
; %bb.841:
	global_load_b32 v2, v[0:1], off
	s_mov_b32 s0, 0
	s_waitcnt vmcnt(0)
	v_cvt_f64_u32_e32 v[2:3], v2
	s_branch .LBB8_844
.LBB8_842:
	s_mov_b32 s0, -1
                                        ; implicit-def: $vgpr2_vgpr3
	s_branch .LBB8_847
.LBB8_843:
	s_mov_b32 s0, -1
                                        ; implicit-def: $vgpr2_vgpr3
.LBB8_844:
	s_delay_alu instid0(SALU_CYCLE_1)
	s_and_not1_b32 vcc_lo, exec_lo, s0
	s_cbranch_vccnz .LBB8_846
; %bb.845:
	global_load_u16 v2, v[0:1], off
	s_waitcnt vmcnt(0)
	v_cvt_f64_u32_e32 v[2:3], v2
.LBB8_846:
	s_mov_b32 s0, 0
.LBB8_847:
	s_delay_alu instid0(SALU_CYCLE_1)
	s_and_not1_b32 vcc_lo, exec_lo, s0
	s_cbranch_vccnz .LBB8_857
; %bb.848:
	global_load_u8 v4, v[0:1], off
	s_mov_b32 s22, 0
	s_mov_b32 s23, exec_lo
                                        ; implicit-def: $sgpr0_sgpr1
	s_waitcnt vmcnt(0)
	v_cmpx_lt_i16_e32 0x7f, v4
	s_xor_b32 s23, exec_lo, s23
	s_cbranch_execz .LBB8_852
; %bb.849:
	s_mov_b32 s24, -1
	s_mov_b32 s22, exec_lo
                                        ; implicit-def: $sgpr0_sgpr1
	v_cmpx_eq_u16_e32 0x80, v4
; %bb.850:
	s_mov_b32 s1, 0x7ff80000
	s_brev_b32 s0, 4
	s_xor_b32 s24, exec_lo, -1
; %bb.851:
	s_or_b32 exec_lo, exec_lo, s22
	s_delay_alu instid0(SALU_CYCLE_1)
	s_and_b32 s22, s24, exec_lo
.LBB8_852:
	s_or_saveexec_b32 s23, s23
	v_dual_mov_b32 v3, s1 :: v_dual_mov_b32 v2, s0
	s_xor_b32 exec_lo, exec_lo, s23
; %bb.853:
	v_cmp_ne_u16_e32 vcc_lo, 0, v4
	v_mov_b32_e32 v2, 0
	v_mov_b32_e32 v3, 0
	s_and_not1_b32 s0, s22, exec_lo
	s_and_b32 s1, vcc_lo, exec_lo
	s_delay_alu instid0(SALU_CYCLE_1)
	s_or_b32 s22, s0, s1
; %bb.854:
	s_or_b32 exec_lo, exec_lo, s23
	s_and_saveexec_b32 s0, s22
	s_cbranch_execz .LBB8_856
; %bb.855:
	v_and_b32_e32 v2, 0xffff, v4
	v_lshlrev_b32_e32 v4, 24, v4
	s_delay_alu instid0(VALU_DEP_2) | instskip(NEXT) | instid1(VALU_DEP_2)
	v_and_b32_e32 v3, 7, v2
	v_and_b32_e32 v4, 0x80000000, v4
	s_delay_alu instid0(VALU_DEP_2) | instskip(NEXT) | instid1(VALU_DEP_1)
	v_clz_i32_u32_e32 v5, v3
	v_min_u32_e32 v5, 32, v5
	s_delay_alu instid0(VALU_DEP_1) | instskip(SKIP_1) | instid1(VALU_DEP_2)
	v_subrev_nc_u32_e32 v6, 28, v5
	v_sub_nc_u32_e32 v5, 29, v5
	v_lshlrev_b32_e32 v6, v6, v2
	v_bfe_u32 v2, v2, 3, 4
	s_delay_alu instid0(VALU_DEP_2) | instskip(NEXT) | instid1(VALU_DEP_2)
	v_and_b32_e32 v6, 7, v6
	v_cmp_eq_u32_e32 vcc_lo, 0, v2
	s_delay_alu instid0(VALU_DEP_2) | instskip(NEXT) | instid1(VALU_DEP_1)
	v_dual_cndmask_b32 v2, v2, v5 :: v_dual_cndmask_b32 v3, v3, v6
	v_lshl_add_u32 v2, v2, 23, 0x3b800000
	s_delay_alu instid0(VALU_DEP_2) | instskip(NEXT) | instid1(VALU_DEP_1)
	v_lshlrev_b32_e32 v3, 20, v3
	v_or3_b32 v2, v4, v2, v3
	s_delay_alu instid0(VALU_DEP_1)
	v_cvt_f64_f32_e32 v[2:3], v2
.LBB8_856:
	s_or_b32 exec_lo, exec_lo, s0
.LBB8_857:
	s_mov_b32 s0, -1
.LBB8_858:
	s_mov_b32 s1, 0
.LBB8_859:
	s_delay_alu instid0(SALU_CYCLE_1)
	s_and_b32 vcc_lo, exec_lo, s1
	s_cbranch_vccz .LBB8_890
; %bb.860:
	v_cmp_lt_i16_e32 vcc_lo, 22, v16
	s_cbranch_vccz .LBB8_872
; %bb.861:
	v_cmp_gt_i16_e32 vcc_lo, 24, v16
	s_cbranch_vccnz .LBB8_873
; %bb.862:
	v_cmp_lt_i16_e32 vcc_lo, 24, v16
	s_cbranch_vccz .LBB8_874
; %bb.863:
	global_load_u8 v4, v[0:1], off
	s_mov_b32 s22, exec_lo
                                        ; implicit-def: $sgpr0_sgpr1
	s_waitcnt vmcnt(0)
	v_cmpx_lt_i16_e32 0x7f, v4
	s_xor_b32 s22, exec_lo, s22
	s_cbranch_execz .LBB8_867
; %bb.864:
	s_mov_b32 s23, -1
	s_mov_b32 s21, exec_lo
                                        ; implicit-def: $sgpr0_sgpr1
	v_cmpx_eq_u16_e32 0x80, v4
; %bb.865:
	s_mov_b32 s1, 0x7ff80000
	s_brev_b32 s0, 4
	s_xor_b32 s23, exec_lo, -1
; %bb.866:
	s_or_b32 exec_lo, exec_lo, s21
	s_delay_alu instid0(SALU_CYCLE_1)
	s_and_b32 s21, s23, exec_lo
.LBB8_867:
	s_or_saveexec_b32 s22, s22
	v_dual_mov_b32 v3, s1 :: v_dual_mov_b32 v2, s0
	s_xor_b32 exec_lo, exec_lo, s22
; %bb.868:
	v_cmp_ne_u16_e32 vcc_lo, 0, v4
	v_mov_b32_e32 v2, 0
	v_mov_b32_e32 v3, 0
	s_and_not1_b32 s0, s21, exec_lo
	s_and_b32 s1, vcc_lo, exec_lo
	s_delay_alu instid0(SALU_CYCLE_1)
	s_or_b32 s21, s0, s1
; %bb.869:
	s_or_b32 exec_lo, exec_lo, s22
	s_and_saveexec_b32 s0, s21
	s_cbranch_execz .LBB8_871
; %bb.870:
	v_and_b32_e32 v2, 0xffff, v4
	v_lshlrev_b32_e32 v4, 24, v4
	s_delay_alu instid0(VALU_DEP_2) | instskip(NEXT) | instid1(VALU_DEP_2)
	v_and_b32_e32 v3, 3, v2
	v_and_b32_e32 v4, 0x80000000, v4
	s_delay_alu instid0(VALU_DEP_2) | instskip(NEXT) | instid1(VALU_DEP_1)
	v_clz_i32_u32_e32 v5, v3
	v_min_u32_e32 v5, 32, v5
	s_delay_alu instid0(VALU_DEP_1) | instskip(SKIP_1) | instid1(VALU_DEP_2)
	v_subrev_nc_u32_e32 v6, 29, v5
	v_sub_nc_u32_e32 v5, 30, v5
	v_lshlrev_b32_e32 v6, v6, v2
	v_bfe_u32 v2, v2, 2, 5
	s_delay_alu instid0(VALU_DEP_2) | instskip(NEXT) | instid1(VALU_DEP_2)
	v_and_b32_e32 v6, 3, v6
	v_cmp_eq_u32_e32 vcc_lo, 0, v2
	s_delay_alu instid0(VALU_DEP_2) | instskip(NEXT) | instid1(VALU_DEP_1)
	v_dual_cndmask_b32 v2, v2, v5 :: v_dual_cndmask_b32 v3, v3, v6
	v_lshl_add_u32 v2, v2, 23, 0x37800000
	s_delay_alu instid0(VALU_DEP_2) | instskip(NEXT) | instid1(VALU_DEP_1)
	v_lshlrev_b32_e32 v3, 21, v3
	v_or3_b32 v2, v4, v2, v3
	s_delay_alu instid0(VALU_DEP_1)
	v_cvt_f64_f32_e32 v[2:3], v2
.LBB8_871:
	s_or_b32 exec_lo, exec_lo, s0
	s_mov_b32 s0, 0
	s_branch .LBB8_875
.LBB8_872:
	s_mov_b32 s1, -1
                                        ; implicit-def: $vgpr2_vgpr3
	s_branch .LBB8_881
.LBB8_873:
	s_mov_b32 s0, -1
                                        ; implicit-def: $vgpr2_vgpr3
	s_branch .LBB8_878
.LBB8_874:
	s_mov_b32 s0, -1
                                        ; implicit-def: $vgpr2_vgpr3
.LBB8_875:
	s_delay_alu instid0(SALU_CYCLE_1)
	s_and_b32 vcc_lo, exec_lo, s0
	s_cbranch_vccz .LBB8_877
; %bb.876:
	global_load_u8 v2, v[0:1], off
	s_waitcnt vmcnt(0)
	v_lshlrev_b32_e32 v2, 24, v2
	s_delay_alu instid0(VALU_DEP_1) | instskip(NEXT) | instid1(VALU_DEP_1)
	v_and_b32_e32 v3, 0x7f000000, v2
	v_clz_i32_u32_e32 v4, v3
	v_add_nc_u32_e32 v6, 0x1000000, v3
	v_cmp_ne_u32_e32 vcc_lo, 0, v3
	s_delay_alu instid0(VALU_DEP_3) | instskip(NEXT) | instid1(VALU_DEP_1)
	v_min_u32_e32 v4, 32, v4
	v_sub_nc_u32_e64 v4, v4, 4 clamp
	s_delay_alu instid0(VALU_DEP_1) | instskip(SKIP_1) | instid1(VALU_DEP_2)
	v_lshlrev_b32_e32 v5, v4, v3
	v_lshlrev_b32_e32 v4, 23, v4
	v_lshrrev_b32_e32 v5, 4, v5
	s_delay_alu instid0(VALU_DEP_1) | instskip(SKIP_1) | instid1(VALU_DEP_2)
	v_sub_nc_u32_e32 v4, v5, v4
	v_ashrrev_i32_e32 v5, 8, v6
	v_add_nc_u32_e32 v4, 0x3c000000, v4
	s_delay_alu instid0(VALU_DEP_1) | instskip(NEXT) | instid1(VALU_DEP_1)
	v_and_or_b32 v4, 0x7f800000, v5, v4
	v_cndmask_b32_e32 v3, 0, v4, vcc_lo
	s_delay_alu instid0(VALU_DEP_1) | instskip(NEXT) | instid1(VALU_DEP_1)
	v_and_or_b32 v2, 0x80000000, v2, v3
	v_cvt_f64_f32_e32 v[2:3], v2
.LBB8_877:
	s_mov_b32 s0, 0
.LBB8_878:
	s_delay_alu instid0(SALU_CYCLE_1)
	s_and_not1_b32 vcc_lo, exec_lo, s0
	s_cbranch_vccnz .LBB8_880
; %bb.879:
	global_load_u8 v2, v[0:1], off
	s_waitcnt vmcnt(0)
	v_lshlrev_b32_e32 v3, 25, v2
	v_lshlrev_b16 v2, 8, v2
	s_delay_alu instid0(VALU_DEP_2) | instskip(NEXT) | instid1(VALU_DEP_2)
	v_lshrrev_b32_e32 v4, 4, v3
	v_and_or_b32 v5, 0x7f00, v2, 0.5
	v_bfe_i32 v2, v2, 0, 16
	s_delay_alu instid0(VALU_DEP_3) | instskip(NEXT) | instid1(VALU_DEP_1)
	v_or_b32_e32 v4, 0x70000000, v4
	v_dual_add_f32 v5, -0.5, v5 :: v_dual_mul_f32 v4, 0x7800000, v4
	v_cmp_gt_u32_e32 vcc_lo, 0x8000000, v3
	s_delay_alu instid0(VALU_DEP_2) | instskip(NEXT) | instid1(VALU_DEP_1)
	v_cndmask_b32_e32 v3, v4, v5, vcc_lo
	v_and_or_b32 v2, 0x80000000, v2, v3
	s_delay_alu instid0(VALU_DEP_1)
	v_cvt_f64_f32_e32 v[2:3], v2
.LBB8_880:
	s_mov_b32 s1, 0
	s_mov_b32 s0, -1
.LBB8_881:
	s_and_not1_b32 vcc_lo, exec_lo, s1
	s_mov_b32 s21, 0
	s_cbranch_vccnz .LBB8_890
; %bb.882:
	v_cmp_lt_i16_e32 vcc_lo, 14, v16
	s_cbranch_vccz .LBB8_885
; %bb.883:
	v_cmp_eq_u16_e32 vcc_lo, 15, v16
	s_cbranch_vccz .LBB8_886
; %bb.884:
	global_load_u16 v2, v[0:1], off
	s_mov_b32 s20, 0
	s_mov_b32 s0, -1
	s_waitcnt vmcnt(0)
	v_lshlrev_b32_e32 v2, 16, v2
	s_delay_alu instid0(VALU_DEP_1)
	v_cvt_f64_f32_e32 v[2:3], v2
	s_branch .LBB8_887
.LBB8_885:
	s_mov_b32 s1, -1
                                        ; implicit-def: $vgpr2_vgpr3
	s_branch .LBB8_888
.LBB8_886:
	s_mov_b32 s20, -1
                                        ; implicit-def: $vgpr2_vgpr3
.LBB8_887:
	s_mov_b32 s1, 0
.LBB8_888:
	s_delay_alu instid0(SALU_CYCLE_1)
	s_and_b32 vcc_lo, exec_lo, s1
	s_cbranch_vccz .LBB8_890
; %bb.889:
	v_cmp_ne_u16_e32 vcc_lo, 11, v16
	s_and_not1_b32 s1, s20, exec_lo
	s_mov_b32 s21, -1
                                        ; implicit-def: $vgpr2_vgpr3
	s_and_b32 s20, vcc_lo, exec_lo
	s_delay_alu instid0(SALU_CYCLE_1)
	s_or_b32 s20, s1, s20
.LBB8_890:
	s_mov_b32 s1, 0
.LBB8_891:
	s_and_not1_b32 s22, s18, exec_lo
	s_and_b32 s20, s20, exec_lo
	s_and_b32 s23, s0, exec_lo
	;; [unrolled: 1-line block ×4, first 2 shown]
	s_or_b32 s22, s22, s20
.LBB8_892:
	s_or_b32 exec_lo, exec_lo, s11
	s_delay_alu instid0(SALU_CYCLE_1)
	s_and_not1_b32 s11, s18, exec_lo
	s_and_b32 s18, s22, exec_lo
	s_and_b32 s21, s23, exec_lo
	s_and_b32 s20, s1, exec_lo
	s_and_b32 s1, s0, exec_lo
	s_or_b32 s18, s11, s18
.LBB8_893:
	s_or_b32 exec_lo, exec_lo, s17
	s_delay_alu instid0(SALU_CYCLE_1)
	s_and_not1_b32 s0, s15, exec_lo
	s_and_b32 s11, s19, exec_lo
	s_and_b32 s17, s20, exec_lo
	s_or_b32 s15, s0, s11
	s_and_not1_b32 s11, s14, exec_lo
	s_and_b32 s14, s18, exec_lo
	s_and_b32 s0, s21, exec_lo
	;; [unrolled: 1-line block ×3, first 2 shown]
	s_or_b32 s14, s11, s14
.LBB8_894:
	s_or_b32 exec_lo, exec_lo, s16
	s_delay_alu instid0(SALU_CYCLE_1)
	s_and_not1_b32 s10, s10, exec_lo
	s_and_b32 s11, s15, exec_lo
	s_and_b32 s0, s0, exec_lo
	s_or_b32 s10, s10, s11
	s_and_not1_b32 s11, s12, exec_lo
	s_and_b32 s12, s14, exec_lo
	s_and_b32 s15, s17, exec_lo
	;; [unrolled: 1-line block ×3, first 2 shown]
	s_or_b32 s12, s11, s12
.LBB8_895:
	s_or_b32 exec_lo, exec_lo, s13
	s_mov_b32 s1, 0
	s_and_saveexec_b32 s11, s12
	s_cbranch_execnz .LBB8_907
; %bb.896:
	s_or_b32 exec_lo, exec_lo, s11
	s_and_saveexec_b32 s11, s14
	s_delay_alu instid0(SALU_CYCLE_1)
	s_xor_b32 s11, exec_lo, s11
	s_cbranch_execz .LBB8_898
.LBB8_897:
	global_load_u8 v2, v[0:1], off
	s_or_b32 s0, s0, exec_lo
	s_waitcnt vmcnt(0)
	v_cmp_ne_u16_e32 vcc_lo, 0, v2
	v_mov_b32_e32 v2, 0
	v_cndmask_b32_e64 v3, 0, 0x3ff00000, vcc_lo
.LBB8_898:
	s_or_b32 exec_lo, exec_lo, s11
	s_and_saveexec_b32 s11, s15
	s_cbranch_execz .LBB8_946
; %bb.899:
	v_cmp_gt_i16_e32 vcc_lo, 5, v16
	s_cbranch_vccnz .LBB8_904
; %bb.900:
	v_cmp_gt_i16_e32 vcc_lo, 8, v16
	s_cbranch_vccnz .LBB8_905
	;; [unrolled: 3-line block ×3, first 2 shown]
; %bb.902:
	v_cmp_lt_i16_e32 vcc_lo, 9, v16
	s_cbranch_vccz .LBB8_909
; %bb.903:
	global_load_b64 v[2:3], v[0:1], off
	s_mov_b32 s12, 0
	s_branch .LBB8_910
.LBB8_904:
                                        ; implicit-def: $vgpr2_vgpr3
	s_branch .LBB8_927
.LBB8_905:
                                        ; implicit-def: $vgpr2_vgpr3
	s_branch .LBB8_916
.LBB8_906:
	s_mov_b32 s12, -1
                                        ; implicit-def: $vgpr2_vgpr3
	s_branch .LBB8_913
.LBB8_907:
	s_cbranch_execnz .LBB8_967
; %bb.908:
	s_mov_b32 s1, exec_lo
	s_and_not1_b32 s14, s14, exec_lo
                                        ; implicit-def: $vgpr2_vgpr3
	s_or_b32 exec_lo, exec_lo, s11
	s_and_saveexec_b32 s11, s14
	s_delay_alu instid0(SALU_CYCLE_1)
	s_xor_b32 s11, exec_lo, s11
	s_cbranch_execnz .LBB8_897
	s_branch .LBB8_898
.LBB8_909:
	s_mov_b32 s12, -1
                                        ; implicit-def: $vgpr2_vgpr3
.LBB8_910:
	s_delay_alu instid0(SALU_CYCLE_1)
	s_and_not1_b32 vcc_lo, exec_lo, s12
	s_cbranch_vccnz .LBB8_912
; %bb.911:
	global_load_b32 v2, v[0:1], off
	s_waitcnt vmcnt(0)
	v_cvt_f64_f32_e32 v[2:3], v2
.LBB8_912:
	s_mov_b32 s12, 0
.LBB8_913:
	s_delay_alu instid0(SALU_CYCLE_1)
	s_and_not1_b32 vcc_lo, exec_lo, s12
	s_cbranch_vccnz .LBB8_915
; %bb.914:
	global_load_b32 v2, v[0:1], off
	s_waitcnt vmcnt(0)
	v_cvt_f32_f16_e32 v2, v2
	s_delay_alu instid0(VALU_DEP_1)
	v_cvt_f64_f32_e32 v[2:3], v2
.LBB8_915:
	s_cbranch_execnz .LBB8_926
.LBB8_916:
	v_cmp_gt_i16_e32 vcc_lo, 6, v16
	s_cbranch_vccnz .LBB8_919
; %bb.917:
	v_cmp_lt_i16_e32 vcc_lo, 6, v16
	s_cbranch_vccz .LBB8_920
; %bb.918:
	global_load_b64 v[2:3], v[0:1], off
	s_mov_b32 s12, 0
	s_branch .LBB8_921
.LBB8_919:
	s_mov_b32 s12, -1
                                        ; implicit-def: $vgpr2_vgpr3
	s_branch .LBB8_924
.LBB8_920:
	s_mov_b32 s12, -1
                                        ; implicit-def: $vgpr2_vgpr3
.LBB8_921:
	s_delay_alu instid0(SALU_CYCLE_1)
	s_and_not1_b32 vcc_lo, exec_lo, s12
	s_cbranch_vccnz .LBB8_923
; %bb.922:
	global_load_b32 v2, v[0:1], off
	s_waitcnt vmcnt(0)
	v_cvt_f64_f32_e32 v[2:3], v2
.LBB8_923:
	s_mov_b32 s12, 0
.LBB8_924:
	s_delay_alu instid0(SALU_CYCLE_1)
	s_and_not1_b32 vcc_lo, exec_lo, s12
	s_cbranch_vccnz .LBB8_926
; %bb.925:
	global_load_u16 v2, v[0:1], off
	s_waitcnt vmcnt(0)
	v_cvt_f32_f16_e32 v2, v2
	s_delay_alu instid0(VALU_DEP_1)
	v_cvt_f64_f32_e32 v[2:3], v2
.LBB8_926:
	s_cbranch_execnz .LBB8_945
.LBB8_927:
	v_cmp_gt_i16_e32 vcc_lo, 2, v16
	s_cbranch_vccnz .LBB8_931
; %bb.928:
	v_cmp_gt_i16_e32 vcc_lo, 3, v16
	s_cbranch_vccnz .LBB8_932
; %bb.929:
	v_cmp_lt_i16_e32 vcc_lo, 3, v16
	s_cbranch_vccz .LBB8_933
; %bb.930:
	global_load_b64 v[2:3], v[0:1], off
	s_mov_b32 s12, 0
	s_waitcnt vmcnt(0)
	v_cvt_f64_i32_e32 v[3:4], v3
	v_cvt_f64_u32_e32 v[5:6], v2
	s_delay_alu instid0(VALU_DEP_2) | instskip(NEXT) | instid1(VALU_DEP_1)
	v_ldexp_f64 v[3:4], v[3:4], 32
	v_add_f64 v[2:3], v[3:4], v[5:6]
	s_branch .LBB8_934
.LBB8_931:
                                        ; implicit-def: $vgpr2_vgpr3
	s_branch .LBB8_940
.LBB8_932:
	s_mov_b32 s12, -1
                                        ; implicit-def: $vgpr2_vgpr3
	s_branch .LBB8_937
.LBB8_933:
	s_mov_b32 s12, -1
                                        ; implicit-def: $vgpr2_vgpr3
.LBB8_934:
	s_delay_alu instid0(SALU_CYCLE_1)
	s_and_not1_b32 vcc_lo, exec_lo, s12
	s_cbranch_vccnz .LBB8_936
; %bb.935:
	global_load_b32 v2, v[0:1], off
	s_waitcnt vmcnt(0)
	v_cvt_f64_i32_e32 v[2:3], v2
.LBB8_936:
	s_mov_b32 s12, 0
.LBB8_937:
	s_delay_alu instid0(SALU_CYCLE_1)
	s_and_not1_b32 vcc_lo, exec_lo, s12
	s_cbranch_vccnz .LBB8_939
; %bb.938:
	global_load_i16 v2, v[0:1], off
	s_waitcnt vmcnt(0)
	v_cvt_f64_i32_e32 v[2:3], v2
.LBB8_939:
	s_cbranch_execnz .LBB8_945
.LBB8_940:
	v_cmp_lt_i16_e32 vcc_lo, 0, v16
	s_mov_b32 s12, 0
	s_cbranch_vccz .LBB8_942
; %bb.941:
	global_load_i8 v2, v[0:1], off
	s_waitcnt vmcnt(0)
	v_cvt_f64_i32_e32 v[2:3], v2
	s_branch .LBB8_943
.LBB8_942:
	s_mov_b32 s12, -1
                                        ; implicit-def: $vgpr2_vgpr3
.LBB8_943:
	s_delay_alu instid0(SALU_CYCLE_1)
	s_and_not1_b32 vcc_lo, exec_lo, s12
	s_cbranch_vccnz .LBB8_945
; %bb.944:
	global_load_u8 v0, v[0:1], off
	s_waitcnt vmcnt(0)
	v_cvt_f64_u32_e32 v[2:3], v0
.LBB8_945:
	s_or_b32 s0, s0, exec_lo
.LBB8_946:
	s_or_b32 exec_lo, exec_lo, s11
	s_mov_b32 s13, 0
	s_mov_b32 s12, 0
                                        ; implicit-def: $vgpr6
                                        ; implicit-def: $vgpr4_vgpr5
                                        ; implicit-def: $vgpr0_vgpr1
	s_and_saveexec_b32 s11, s0
	s_cbranch_execz .LBB8_1038
; %bb.947:
	s_waitcnt vmcnt(0)
	s_delay_alu instid0(VALU_DEP_1) | instskip(NEXT) | instid1(VALU_DEP_1)
	v_cmp_ge_f64_e64 s0, 0x40200000, |v[2:3]|
                                        ; implicit-def: $vgpr0_vgpr1
	s_and_saveexec_b32 s12, s0
	s_delay_alu instid0(SALU_CYCLE_1)
	s_xor_b32 s0, exec_lo, s12
	s_cbranch_execz .LBB8_953
; %bb.948:
	v_fma_f64 v[0:1], |v[2:3]|, 0.5, -2.0
	s_mov_b32 s12, 0xc38a0576
	s_mov_b32 s13, 0xbc7857d0
	;; [unrolled: 1-line block ×4, first 2 shown]
	s_delay_alu instid0(VALU_DEP_1) | instid1(SALU_CYCLE_1)
	v_fma_f64 v[4:5], v[0:1], s[14:15], s[12:13]
	s_mov_b32 s15, 0xbc499f2a
	s_mov_b32 s12, 0xe593bfac
	;; [unrolled: 1-line block ×3, first 2 shown]
	s_delay_alu instid0(VALU_DEP_1) | instskip(NEXT) | instid1(VALU_DEP_1)
	v_fma_f64 v[6:7], v[0:1], v[4:5], s[14:15]
	v_add_f64 v[6:7], v[6:7], s[12:13]
	s_mov_b32 s12, 0x7e0d1573
	s_mov_b32 s13, 0xbcd3eaaa
	s_delay_alu instid0(VALU_DEP_1) | instskip(NEXT) | instid1(VALU_DEP_1)
	v_fma_f64 v[4:5], v[0:1], v[6:7], -v[4:5]
	v_add_f64 v[4:5], v[4:5], s[12:13]
	s_mov_b32 s12, 0x615290c
	s_mov_b32 s13, 0x3d011d7f
	s_delay_alu instid0(VALU_DEP_1) | instskip(NEXT) | instid1(VALU_DEP_1)
	v_fma_f64 v[6:7], v[0:1], v[4:5], -v[6:7]
	;; [unrolled: 5-line block ×26, first 2 shown]
	v_add_f64 v[0:1], v[0:1], s[12:13]
	s_mov_b32 s12, exec_lo
	s_delay_alu instid0(VALU_DEP_1)
	v_add_f64 v[4:5], v[0:1], -v[6:7]
                                        ; implicit-def: $vgpr0_vgpr1
	v_cmpx_ngt_f64_e32 0, v[2:3]
	s_xor_b32 s12, exec_lo, s12
	s_cbranch_execz .LBB8_950
; %bb.949:
	s_mov_b32 s14, 0x652b82fe
	s_mov_b32 s15, 0x3ff71547
	;; [unrolled: 1-line block ×3, first 2 shown]
	v_mul_f64 v[0:1], |v[2:3]|, s[14:15]
	s_mov_b32 s14, 0xfefa39ef
	s_mov_b32 s15, 0xbfe62e42
	s_mov_b32 s17, 0x3e5ade15
	s_delay_alu instid0(VALU_DEP_3) | instskip(SKIP_1) | instid1(VALU_DEP_3)
	v_mul_f64 v[4:5], v[4:5], 0.5
	v_cmp_nlt_f64_e64 vcc_lo, 0x40900000, |v[2:3]|
	v_rndne_f64_e32 v[0:1], v[0:1]
	s_delay_alu instid0(VALU_DEP_1) | instskip(SKIP_4) | instid1(VALU_DEP_3)
	v_fma_f64 v[6:7], v[0:1], s[14:15], |v[2:3]|
	s_mov_b32 s14, 0x3b39803f
	s_mov_b32 s15, 0xbc7abc9e
	v_cvt_i32_f64_e32 v10, v[0:1]
	v_mul_f64 v[2:3], |v[2:3]|, v[4:5]
                                        ; implicit-def: $vgpr4_vgpr5
	v_fma_f64 v[6:7], v[0:1], s[14:15], v[6:7]
	s_mov_b32 s14, 0xfca7ab0c
	s_mov_b32 s15, 0x3e928af3
	s_delay_alu instid0(VALU_DEP_1) | instid1(SALU_CYCLE_1)
	v_fma_f64 v[8:9], v[6:7], s[16:17], s[14:15]
	s_mov_b32 s14, 0x623fde64
	s_mov_b32 s15, 0x3ec71dee
	s_delay_alu instid0(VALU_DEP_1) | instid1(SALU_CYCLE_1)
	;; [unrolled: 4-line block ×9, first 2 shown]
	v_fma_f64 v[8:9], v[6:7], v[8:9], s[14:15]
	s_delay_alu instid0(VALU_DEP_1) | instskip(NEXT) | instid1(VALU_DEP_1)
	v_fma_f64 v[8:9], v[6:7], v[8:9], 1.0
	v_fma_f64 v[0:1], v[6:7], v[8:9], 1.0
	s_delay_alu instid0(VALU_DEP_1) | instskip(NEXT) | instid1(VALU_DEP_1)
	v_ldexp_f64 v[0:1], v[0:1], v10
	v_cndmask_b32_e32 v1, 0x7ff00000, v1, vcc_lo
	s_delay_alu instid0(VALU_DEP_2) | instskip(NEXT) | instid1(VALU_DEP_1)
	v_cndmask_b32_e32 v0, 0, v0, vcc_lo
	v_mul_f64 v[0:1], v[0:1], v[2:3]
                                        ; implicit-def: $vgpr2_vgpr3
.LBB8_950:
	s_and_not1_saveexec_b32 s12, s12
	s_cbranch_execz .LBB8_952
; %bb.951:
	s_mov_b32 s14, 0x652b82fe
	s_mov_b32 s15, 0x3ff71547
	;; [unrolled: 1-line block ×3, first 2 shown]
	v_mul_f64 v[0:1], |v[2:3]|, s[14:15]
	s_mov_b32 s14, 0xfefa39ef
	s_mov_b32 s15, 0xbfe62e42
	;; [unrolled: 1-line block ×3, first 2 shown]
	s_delay_alu instid0(VALU_DEP_3) | instskip(SKIP_1) | instid1(VALU_DEP_3)
	v_mul_f64 v[4:5], v[4:5], -0.5
	v_cmp_nlt_f64_e64 vcc_lo, 0x40900000, |v[2:3]|
	v_rndne_f64_e32 v[0:1], v[0:1]
	s_delay_alu instid0(VALU_DEP_1) | instskip(SKIP_4) | instid1(VALU_DEP_3)
	v_fma_f64 v[6:7], v[0:1], s[14:15], |v[2:3]|
	s_mov_b32 s14, 0x3b39803f
	s_mov_b32 s15, 0xbc7abc9e
	v_cvt_i32_f64_e32 v10, v[0:1]
	v_mul_f64 v[2:3], |v[2:3]|, v[4:5]
	v_fma_f64 v[6:7], v[0:1], s[14:15], v[6:7]
	s_mov_b32 s14, 0xfca7ab0c
	s_mov_b32 s15, 0x3e928af3
	s_delay_alu instid0(VALU_DEP_1) | instid1(SALU_CYCLE_1)
	v_fma_f64 v[8:9], v[6:7], s[16:17], s[14:15]
	s_mov_b32 s14, 0x623fde64
	s_mov_b32 s15, 0x3ec71dee
	s_delay_alu instid0(VALU_DEP_1) | instid1(SALU_CYCLE_1)
	;; [unrolled: 4-line block ×9, first 2 shown]
	v_fma_f64 v[8:9], v[6:7], v[8:9], s[14:15]
	s_delay_alu instid0(VALU_DEP_1) | instskip(NEXT) | instid1(VALU_DEP_1)
	v_fma_f64 v[8:9], v[6:7], v[8:9], 1.0
	v_fma_f64 v[0:1], v[6:7], v[8:9], 1.0
	s_delay_alu instid0(VALU_DEP_1) | instskip(NEXT) | instid1(VALU_DEP_1)
	v_ldexp_f64 v[0:1], v[0:1], v10
	v_cndmask_b32_e32 v1, 0x7ff00000, v1, vcc_lo
	s_delay_alu instid0(VALU_DEP_2) | instskip(NEXT) | instid1(VALU_DEP_1)
	v_cndmask_b32_e32 v0, 0, v0, vcc_lo
	v_mul_f64 v[0:1], v[0:1], v[2:3]
.LBB8_952:
	s_or_b32 exec_lo, exec_lo, s12
                                        ; implicit-def: $vgpr2_vgpr3
.LBB8_953:
	s_and_not1_saveexec_b32 s0, s0
	s_cbranch_execz .LBB8_959
; %bb.954:
	v_dual_mov_b32 v0, v2 :: v_dual_and_b32 v1, 0x7fffffff, v3
	s_mov_b32 s12, 0xea87b950
	s_mov_b32 s13, 0x3c545b8a
	;; [unrolled: 1-line block ×4, first 2 shown]
	v_div_scale_f64 v[4:5], null, v[0:1], v[0:1], 0x40400000
	v_div_scale_f64 v[0:1], vcc_lo, 0x40400000, v[0:1], 0x40400000
	s_mov_b32 s16, 0x2e9e5443
	s_mov_b32 s17, 0xbe90dbfd
	s_delay_alu instid0(VALU_DEP_2) | instskip(SKIP_2) | instid1(VALU_DEP_1)
	v_rcp_f64_e32 v[6:7], v[4:5]
	s_waitcnt_depctr 0xfff
	v_fma_f64 v[8:9], -v[4:5], v[6:7], 1.0
	v_fma_f64 v[6:7], v[6:7], v[8:9], v[6:7]
	s_delay_alu instid0(VALU_DEP_1) | instskip(NEXT) | instid1(VALU_DEP_1)
	v_fma_f64 v[8:9], -v[4:5], v[6:7], 1.0
	v_fma_f64 v[6:7], v[6:7], v[8:9], v[6:7]
	s_delay_alu instid0(VALU_DEP_1) | instskip(NEXT) | instid1(VALU_DEP_1)
	v_mul_f64 v[8:9], v[0:1], v[6:7]
	v_fma_f64 v[0:1], -v[4:5], v[8:9], v[0:1]
	s_delay_alu instid0(VALU_DEP_1) | instskip(NEXT) | instid1(VALU_DEP_1)
	v_div_fmas_f64 v[0:1], v[0:1], v[6:7], v[8:9]
	v_div_fixup_f64 v[0:1], v[0:1], |v[2:3]|, 0x40400000
	s_delay_alu instid0(VALU_DEP_1) | instskip(NEXT) | instid1(VALU_DEP_1)
	v_add_f64 v[0:1], v[0:1], -2.0
	v_fma_f64 v[4:5], v[0:1], s[14:15], s[12:13]
	s_mov_b32 s15, 0xbc61556d
	s_mov_b32 s12, 0xb2532277
	;; [unrolled: 1-line block ×3, first 2 shown]
	s_delay_alu instid0(VALU_DEP_1) | instskip(SKIP_2) | instid1(VALU_DEP_1)
	v_fma_f64 v[6:7], v[0:1], v[4:5], s[14:15]
	s_mov_b32 s14, 0x9ad53528
	s_mov_b32 s15, 0xbe30790b
	v_add_f64 v[6:7], v[6:7], s[12:13]
	s_mov_b32 s12, 0x9c773320
	s_mov_b32 s13, 0xbc82806c
	s_delay_alu instid0(VALU_DEP_1) | instskip(NEXT) | instid1(VALU_DEP_1)
	v_fma_f64 v[4:5], v[0:1], v[6:7], -v[4:5]
	v_add_f64 v[4:5], v[4:5], s[12:13]
	s_mov_b32 s12, 0xfceb588a
	s_mov_b32 s13, 0x3cb55915
	s_delay_alu instid0(VALU_DEP_1) | instskip(NEXT) | instid1(VALU_DEP_1)
	v_fma_f64 v[6:7], v[0:1], v[4:5], -v[6:7]
	;; [unrolled: 5-line block ×15, first 2 shown]
	v_add_f64 v[4:5], v[4:5], s[12:13]
	s_mov_b32 s12, 0x652b82fe
	s_mov_b32 s13, 0x3ff71547
	s_delay_alu instid0(SALU_CYCLE_1) | instskip(SKIP_2) | instid1(VALU_DEP_2)
	v_mul_f64 v[8:9], |v[2:3]|, s[12:13]
	s_mov_b32 s12, 0xfefa39ef
	s_mov_b32 s13, 0xbfe62e42
	v_fma_f64 v[6:7], v[0:1], v[4:5], -v[6:7]
	s_delay_alu instid0(VALU_DEP_2) | instskip(NEXT) | instid1(VALU_DEP_2)
	v_rndne_f64_e32 v[8:9], v[8:9]
	v_add_f64 v[6:7], v[6:7], s[14:15]
	s_mov_b32 s14, 0x94bb46c1
	s_mov_b32 s15, 0xbe5c4153
	s_delay_alu instid0(VALU_DEP_2) | instskip(SKIP_2) | instid1(VALU_DEP_2)
	v_fma_f64 v[10:11], v[8:9], s[12:13], |v[2:3]|
	s_mov_b32 s12, 0x3b39803f
	s_mov_b32 s13, 0xbc7abc9e
	v_fma_f64 v[4:5], v[0:1], v[6:7], -v[4:5]
	s_delay_alu instid0(VALU_DEP_2) | instskip(SKIP_3) | instid1(VALU_DEP_3)
	v_fma_f64 v[10:11], v[8:9], s[12:13], v[10:11]
	s_mov_b32 s12, 0xfca7ab0c
	s_mov_b32 s13, 0x3e928af3
	v_cvt_i32_f64_e32 v8, v[8:9]
	v_add_f64 v[4:5], v[4:5], s[14:15]
	s_mov_b32 s14, 0x6a5dcb37
	s_mov_b32 s15, 0x3e5ade15
	s_delay_alu instid0(VALU_DEP_3) | instid1(SALU_CYCLE_1)
	v_fma_f64 v[12:13], v[10:11], s[14:15], s[12:13]
	s_mov_b32 s12, 0x623fde64
	s_mov_b32 s13, 0x3ec71dee
	;; [unrolled: 1-line block ×4, first 2 shown]
	s_delay_alu instid0(VALU_DEP_2) | instskip(NEXT) | instid1(VALU_DEP_2)
	v_fma_f64 v[6:7], v[0:1], v[4:5], -v[6:7]
	v_fma_f64 v[12:13], v[10:11], v[12:13], s[12:13]
	s_mov_b32 s12, 0x7c89e6b0
	s_mov_b32 s13, 0x3efa0199
	s_delay_alu instid0(VALU_DEP_2) | instskip(NEXT) | instid1(VALU_DEP_2)
	v_add_f64 v[6:7], v[6:7], s[16:17]
	v_fma_f64 v[12:13], v[10:11], v[12:13], s[12:13]
	s_mov_b32 s12, 0x14761f6e
	s_mov_b32 s13, 0x3f2a01a0
	s_delay_alu instid0(VALU_DEP_2) | instskip(NEXT) | instid1(VALU_DEP_2)
	v_fma_f64 v[4:5], v[0:1], v[6:7], -v[4:5]
	v_fma_f64 v[12:13], v[10:11], v[12:13], s[12:13]
	s_mov_b32 s12, 0x1852b7b0
	s_mov_b32 s13, 0x3f56c16c
	s_delay_alu instid0(VALU_DEP_2) | instskip(SKIP_2) | instid1(VALU_DEP_2)
	v_add_f64 v[4:5], v[4:5], s[14:15]
	s_mov_b32 s14, 0x804aa9a6
	s_mov_b32 s15, 0xbf1cfd7f
	v_fma_f64 v[12:13], v[10:11], v[12:13], s[12:13]
	s_mov_b32 s12, 0x11122322
	s_mov_b32 s13, 0x3f811111
	s_delay_alu instid0(VALU_DEP_2) | instskip(NEXT) | instid1(VALU_DEP_2)
	v_fma_f64 v[6:7], v[0:1], v[4:5], -v[6:7]
	v_fma_f64 v[12:13], v[10:11], v[12:13], s[12:13]
	s_mov_b32 s12, 0x555502a1
	s_mov_b32 s13, 0x3fa55555
	s_delay_alu instid0(VALU_DEP_2) | instskip(SKIP_2) | instid1(VALU_DEP_2)
	v_add_f64 v[6:7], v[6:7], s[14:15]
	s_mov_b32 s14, 0x53fcdb4c
	s_mov_b32 s15, 0xbf83fda0
	v_fma_f64 v[12:13], v[10:11], v[12:13], s[12:13]
	s_mov_b32 s12, 0x55555511
	s_mov_b32 s13, 0x3fc55555
	s_delay_alu instid0(VALU_DEP_2) | instskip(NEXT) | instid1(VALU_DEP_2)
	v_fma_f64 v[4:5], v[0:1], v[6:7], -v[4:5]
	v_fma_f64 v[12:13], v[10:11], v[12:13], s[12:13]
	s_mov_b32 s12, 11
	s_mov_b32 s13, 0x3fe00000
	s_delay_alu instid0(VALU_DEP_2) | instskip(SKIP_2) | instid1(VALU_DEP_1)
	v_add_f64 v[4:5], v[4:5], s[14:15]
	s_mov_b32 s14, 0xb55b1514
	s_mov_b32 s15, 0x3fe8ea18
	v_fma_f64 v[0:1], v[0:1], v[4:5], -v[6:7]
	s_delay_alu instid0(VALU_DEP_3) | instskip(SKIP_1) | instid1(VALU_DEP_2)
	v_fma_f64 v[4:5], v[10:11], v[12:13], s[12:13]
	s_mov_b32 s12, exec_lo
	v_add_f64 v[0:1], v[0:1], s[14:15]
	s_delay_alu instid0(VALU_DEP_2) | instskip(NEXT) | instid1(VALU_DEP_2)
	v_fma_f64 v[4:5], v[10:11], v[4:5], 1.0
	v_add_f64 v[0:1], v[0:1], -v[6:7]
	s_delay_alu instid0(VALU_DEP_2) | instskip(NEXT) | instid1(VALU_DEP_2)
	v_fma_f64 v[6:7], v[10:11], v[4:5], 1.0
	v_mul_f64 v[4:5], v[0:1], 0.5
                                        ; implicit-def: $vgpr0_vgpr1
	v_cmpx_ngt_f64_e32 0, v[2:3]
	s_xor_b32 s12, exec_lo, s12
	s_cbranch_execz .LBB8_956
; %bb.955:
	v_cmp_gt_f64_e64 s13, 0x10000000, |v[2:3]|
	s_delay_alu instid0(VALU_DEP_4) | instskip(SKIP_1) | instid1(VALU_DEP_3)
	v_ldexp_f64 v[6:7], v[6:7], v8
	v_cmp_nlt_f64_e64 vcc_lo, 0x40900000, |v[2:3]|
	v_cndmask_b32_e64 v0, 0, 1, s13
	v_cndmask_b32_e64 v8, 0, 0xffffff80, s13
	s_delay_alu instid0(VALU_DEP_2) | instskip(NEXT) | instid1(VALU_DEP_1)
	v_dual_cndmask_b32 v7, 0x7ff00000, v7 :: v_dual_lshlrev_b32 v0, 8, v0
	v_ldexp_f64 v[0:1], |v[2:3]|, v0
	s_delay_alu instid0(VALU_DEP_1) | instskip(SKIP_3) | instid1(VALU_DEP_1)
	v_rsq_f64_e32 v[9:10], v[0:1]
	s_waitcnt_depctr 0xfff
	v_mul_f64 v[11:12], v[0:1], v[9:10]
	v_mul_f64 v[9:10], v[9:10], 0.5
	v_fma_f64 v[16:17], -v[9:10], v[11:12], 0.5
	s_delay_alu instid0(VALU_DEP_1) | instskip(SKIP_1) | instid1(VALU_DEP_2)
	v_fma_f64 v[11:12], v[11:12], v[16:17], v[11:12]
	v_fma_f64 v[9:10], v[9:10], v[16:17], v[9:10]
	v_fma_f64 v[16:17], -v[11:12], v[11:12], v[0:1]
	s_delay_alu instid0(VALU_DEP_1) | instskip(NEXT) | instid1(VALU_DEP_1)
	v_fma_f64 v[11:12], v[16:17], v[9:10], v[11:12]
	v_fma_f64 v[16:17], -v[11:12], v[11:12], v[0:1]
	s_delay_alu instid0(VALU_DEP_1) | instskip(NEXT) | instid1(VALU_DEP_1)
	v_fma_f64 v[2:3], v[16:17], v[9:10], v[11:12]
	v_ldexp_f64 v[2:3], v[2:3], v8
	v_cndmask_b32_e32 v6, 0, v6, vcc_lo
	v_cmp_class_f64_e64 vcc_lo, v[0:1], 0x260
	s_delay_alu instid0(VALU_DEP_3) | instskip(NEXT) | instid1(VALU_DEP_3)
	v_cndmask_b32_e32 v1, v3, v1, vcc_lo
	v_mul_f64 v[4:5], v[6:7], v[4:5]
	v_cndmask_b32_e32 v0, v2, v0, vcc_lo
	s_delay_alu instid0(VALU_DEP_1) | instskip(NEXT) | instid1(VALU_DEP_1)
	v_div_scale_f64 v[2:3], null, v[0:1], v[0:1], v[4:5]
	v_rcp_f64_e32 v[6:7], v[2:3]
	s_waitcnt_depctr 0xfff
	v_fma_f64 v[8:9], -v[2:3], v[6:7], 1.0
	s_delay_alu instid0(VALU_DEP_1) | instskip(NEXT) | instid1(VALU_DEP_1)
	v_fma_f64 v[6:7], v[6:7], v[8:9], v[6:7]
	v_fma_f64 v[8:9], -v[2:3], v[6:7], 1.0
	s_delay_alu instid0(VALU_DEP_1) | instskip(SKIP_1) | instid1(VALU_DEP_1)
	v_fma_f64 v[6:7], v[6:7], v[8:9], v[6:7]
	v_div_scale_f64 v[8:9], vcc_lo, v[4:5], v[0:1], v[4:5]
	v_mul_f64 v[10:11], v[8:9], v[6:7]
	s_delay_alu instid0(VALU_DEP_1) | instskip(NEXT) | instid1(VALU_DEP_1)
	v_fma_f64 v[2:3], -v[2:3], v[10:11], v[8:9]
                                        ; implicit-def: $vgpr8
	v_div_fmas_f64 v[2:3], v[2:3], v[6:7], v[10:11]
                                        ; implicit-def: $vgpr6_vgpr7
	s_delay_alu instid0(VALU_DEP_1)
	v_div_fixup_f64 v[0:1], v[2:3], v[0:1], v[4:5]
                                        ; implicit-def: $vgpr2_vgpr3
                                        ; implicit-def: $vgpr4_vgpr5
.LBB8_956:
	s_and_not1_saveexec_b32 s12, s12
	s_cbranch_execz .LBB8_958
; %bb.957:
	v_cmp_gt_f64_e64 s13, 0x10000000, |v[2:3]|
	s_delay_alu instid0(VALU_DEP_4) | instskip(SKIP_1) | instid1(VALU_DEP_3)
	v_ldexp_f64 v[6:7], -v[6:7], v8
	v_cmp_nlt_f64_e64 vcc_lo, 0x40900000, |v[2:3]|
	v_cndmask_b32_e64 v0, 0, 1, s13
	v_cndmask_b32_e64 v8, 0, 0xffffff80, s13
	s_delay_alu instid0(VALU_DEP_2) | instskip(NEXT) | instid1(VALU_DEP_1)
	v_dual_cndmask_b32 v7, 0xfff00000, v7 :: v_dual_lshlrev_b32 v0, 8, v0
	v_ldexp_f64 v[0:1], |v[2:3]|, v0
	s_delay_alu instid0(VALU_DEP_1) | instskip(SKIP_3) | instid1(VALU_DEP_1)
	v_rsq_f64_e32 v[9:10], v[0:1]
	s_waitcnt_depctr 0xfff
	v_mul_f64 v[11:12], v[0:1], v[9:10]
	v_mul_f64 v[9:10], v[9:10], 0.5
	v_fma_f64 v[16:17], -v[9:10], v[11:12], 0.5
	s_delay_alu instid0(VALU_DEP_1) | instskip(SKIP_1) | instid1(VALU_DEP_2)
	v_fma_f64 v[11:12], v[11:12], v[16:17], v[11:12]
	v_fma_f64 v[9:10], v[9:10], v[16:17], v[9:10]
	v_fma_f64 v[16:17], -v[11:12], v[11:12], v[0:1]
	s_delay_alu instid0(VALU_DEP_1) | instskip(NEXT) | instid1(VALU_DEP_1)
	v_fma_f64 v[11:12], v[16:17], v[9:10], v[11:12]
	v_fma_f64 v[16:17], -v[11:12], v[11:12], v[0:1]
	s_delay_alu instid0(VALU_DEP_1) | instskip(NEXT) | instid1(VALU_DEP_1)
	v_fma_f64 v[2:3], v[16:17], v[9:10], v[11:12]
	v_ldexp_f64 v[2:3], v[2:3], v8
	v_cndmask_b32_e32 v6, 0, v6, vcc_lo
	v_cmp_class_f64_e64 vcc_lo, v[0:1], 0x260
	s_delay_alu instid0(VALU_DEP_3) | instskip(NEXT) | instid1(VALU_DEP_3)
	v_cndmask_b32_e32 v1, v3, v1, vcc_lo
	v_mul_f64 v[4:5], v[6:7], v[4:5]
	v_cndmask_b32_e32 v0, v2, v0, vcc_lo
	s_delay_alu instid0(VALU_DEP_1) | instskip(NEXT) | instid1(VALU_DEP_1)
	v_div_scale_f64 v[2:3], null, v[0:1], v[0:1], v[4:5]
	v_rcp_f64_e32 v[6:7], v[2:3]
	s_waitcnt_depctr 0xfff
	v_fma_f64 v[8:9], -v[2:3], v[6:7], 1.0
	s_delay_alu instid0(VALU_DEP_1) | instskip(NEXT) | instid1(VALU_DEP_1)
	v_fma_f64 v[6:7], v[6:7], v[8:9], v[6:7]
	v_fma_f64 v[8:9], -v[2:3], v[6:7], 1.0
	s_delay_alu instid0(VALU_DEP_1) | instskip(SKIP_1) | instid1(VALU_DEP_1)
	v_fma_f64 v[6:7], v[6:7], v[8:9], v[6:7]
	v_div_scale_f64 v[8:9], vcc_lo, v[4:5], v[0:1], v[4:5]
	v_mul_f64 v[10:11], v[8:9], v[6:7]
	s_delay_alu instid0(VALU_DEP_1) | instskip(NEXT) | instid1(VALU_DEP_1)
	v_fma_f64 v[2:3], -v[2:3], v[10:11], v[8:9]
	v_div_fmas_f64 v[2:3], v[2:3], v[6:7], v[10:11]
	s_delay_alu instid0(VALU_DEP_1)
	v_div_fixup_f64 v[0:1], v[2:3], v[0:1], v[4:5]
.LBB8_958:
	s_or_b32 exec_lo, exec_lo, s12
.LBB8_959:
	s_delay_alu instid0(SALU_CYCLE_1) | instskip(SKIP_2) | instid1(VALU_DEP_1)
	s_or_b32 exec_lo, exec_lo, s0
	v_mul_lo_u32 v2, v15, s2
	v_and_b32_e32 v6, 0xff, v14
	v_cmp_gt_i16_e32 vcc_lo, 11, v6
	s_delay_alu instid0(VALU_DEP_3) | instskip(SKIP_1) | instid1(VALU_DEP_1)
	v_ashrrev_i32_e32 v3, 31, v2
	v_add_co_u32 v4, s0, s4, v2
	v_add_co_ci_u32_e64 v5, s0, s5, v3, s0
	s_cbranch_vccnz .LBB8_966
; %bb.960:
	v_cmp_lt_i16_e32 vcc_lo, 25, v6
	s_mov_b32 s12, -1
	s_mov_b32 s0, s10
	s_cbranch_vccz .LBB8_996
; %bb.961:
	v_cmp_lt_i16_e32 vcc_lo, 28, v6
	s_mov_b32 s0, s10
	s_cbranch_vccz .LBB8_980
; %bb.962:
	v_cmp_lt_i16_e32 vcc_lo, 43, v6
	;; [unrolled: 4-line block ×3, first 2 shown]
	s_mov_b32 s0, s10
	s_cbranch_vccz .LBB8_970
; %bb.964:
	v_cmp_eq_u16_e32 vcc_lo, 46, v6
	s_mov_b32 s0, -1
	s_cbranch_vccz .LBB8_969
; %bb.965:
	v_cvt_f32_f64_e32 v2, v[0:1]
	s_mov_b32 s0, 0
	s_mov_b32 s12, 0
	s_delay_alu instid0(VALU_DEP_1) | instskip(SKIP_1) | instid1(VALU_DEP_2)
	v_bfe_u32 v3, v2, 16, 1
	v_cmp_o_f32_e32 vcc_lo, v2, v2
	v_add3_u32 v3, v2, v3, 0x7fff
	s_delay_alu instid0(VALU_DEP_1) | instskip(NEXT) | instid1(VALU_DEP_1)
	v_lshrrev_b32_e32 v3, 16, v3
	v_cndmask_b32_e32 v2, 0x7fc0, v3, vcc_lo
	global_store_b32 v[4:5], v2, off
	s_branch .LBB8_970
.LBB8_966:
	s_mov_b32 s13, 0
	s_mov_b32 s12, -1
	s_mov_b32 s0, s10
	s_branch .LBB8_1037
.LBB8_967:
	s_trap 2
	s_sendmsg_rtn_b32 s0, sendmsg(MSG_RTN_GET_DOORBELL)
	s_mov_b32 ttmp2, m0
	s_waitcnt lgkmcnt(0)
	s_and_b32 s0, s0, 0x3ff
	s_delay_alu instid0(SALU_CYCLE_1) | instskip(NEXT) | instid1(SALU_CYCLE_1)
	s_bitset1_b32 s0, 10
	s_mov_b32 m0, s0
	s_sendmsg sendmsg(MSG_INTERRUPT)
	s_mov_b32 m0, ttmp2
.LBB8_968:                              ; =>This Inner Loop Header: Depth=1
	s_sethalt 5
	s_branch .LBB8_968
.LBB8_969:
	s_mov_b32 s12, 0
.LBB8_970:
	s_delay_alu instid0(SALU_CYCLE_1)
	s_and_b32 vcc_lo, exec_lo, s12
	s_cbranch_vccz .LBB8_975
; %bb.971:
	v_cmp_eq_u16_e32 vcc_lo, 44, v6
	s_mov_b32 s0, -1
	s_cbranch_vccz .LBB8_975
; %bb.972:
	v_cvt_f32_f64_e32 v2, v[0:1]
	v_mov_b32_e32 v3, 0xff
	s_mov_b32 s12, exec_lo
	s_delay_alu instid0(VALU_DEP_2) | instskip(NEXT) | instid1(VALU_DEP_1)
	v_bfe_u32 v7, v2, 23, 8
	v_cmpx_ne_u32_e32 0xff, v7
; %bb.973:
	v_and_b32_e32 v3, 0x400000, v2
	v_and_or_b32 v7, 0x3fffff, v2, v7
	v_lshrrev_b32_e32 v2, 23, v2
	s_delay_alu instid0(VALU_DEP_3) | instskip(NEXT) | instid1(VALU_DEP_3)
	v_cmp_ne_u32_e32 vcc_lo, 0, v3
	v_cmp_ne_u32_e64 s0, 0, v7
	s_delay_alu instid0(VALU_DEP_1) | instskip(NEXT) | instid1(SALU_CYCLE_1)
	s_and_b32 s0, vcc_lo, s0
	v_cndmask_b32_e64 v3, 0, 1, s0
	s_delay_alu instid0(VALU_DEP_1)
	v_add_nc_u32_e32 v3, v2, v3
; %bb.974:
	s_or_b32 exec_lo, exec_lo, s12
	s_mov_b32 s0, 0
	global_store_b8 v[4:5], v3, off
.LBB8_975:
	s_mov_b32 s12, 0
.LBB8_976:
	s_delay_alu instid0(SALU_CYCLE_1)
	s_and_b32 vcc_lo, exec_lo, s12
	s_cbranch_vccz .LBB8_979
; %bb.977:
	v_cmp_eq_u16_e32 vcc_lo, 29, v6
	s_mov_b32 s0, -1
	s_cbranch_vccz .LBB8_979
; %bb.978:
	v_trunc_f64_e32 v[2:3], v[0:1]
	s_mov_b32 s0, 0
	s_mov_b32 s12, 0
	s_delay_alu instid0(VALU_DEP_1) | instskip(NEXT) | instid1(VALU_DEP_1)
	v_ldexp_f64 v[7:8], v[2:3], 0xffffffe0
	v_floor_f64_e32 v[7:8], v[7:8]
	s_delay_alu instid0(VALU_DEP_1) | instskip(SKIP_1) | instid1(VALU_DEP_2)
	v_fma_f64 v[2:3], 0xc1f00000, v[7:8], v[2:3]
	v_cvt_u32_f64_e32 v8, v[7:8]
	v_cvt_u32_f64_e32 v7, v[2:3]
	global_store_b64 v[4:5], v[7:8], off
	s_branch .LBB8_980
.LBB8_979:
	s_mov_b32 s12, 0
.LBB8_980:
	s_delay_alu instid0(SALU_CYCLE_1)
	s_and_b32 vcc_lo, exec_lo, s12
	s_cbranch_vccz .LBB8_995
; %bb.981:
	v_cmp_gt_i16_e32 vcc_lo, 27, v6
	s_mov_b32 s12, -1
	s_cbranch_vccnz .LBB8_987
; %bb.982:
	v_cvt_u32_f64_e32 v2, v[0:1]
	v_cmp_lt_i16_e32 vcc_lo, 27, v6
	s_cbranch_vccz .LBB8_984
; %bb.983:
	s_mov_b32 s12, 0
	global_store_b32 v[4:5], v2, off
.LBB8_984:
	s_and_not1_b32 vcc_lo, exec_lo, s12
	s_cbranch_vccnz .LBB8_986
; %bb.985:
	global_store_b16 v[4:5], v2, off
.LBB8_986:
	s_mov_b32 s12, 0
.LBB8_987:
	s_delay_alu instid0(SALU_CYCLE_1)
	s_and_not1_b32 vcc_lo, exec_lo, s12
	s_cbranch_vccnz .LBB8_995
; %bb.988:
	v_cvt_f32_f64_e32 v2, v[0:1]
	v_mov_b32_e32 v7, 0x80
	s_mov_b32 s12, exec_lo
	s_delay_alu instid0(VALU_DEP_2) | instskip(NEXT) | instid1(VALU_DEP_1)
	v_and_b32_e32 v3, 0x7fffffff, v2
	v_cmpx_gt_u32_e32 0x43800000, v3
	s_cbranch_execz .LBB8_994
; %bb.989:
	v_cmp_lt_u32_e32 vcc_lo, 0x3bffffff, v3
	s_mov_b32 s13, 0
                                        ; implicit-def: $vgpr3
	s_and_saveexec_b32 s14, vcc_lo
	s_delay_alu instid0(SALU_CYCLE_1)
	s_xor_b32 s14, exec_lo, s14
	s_cbranch_execz .LBB8_1241
; %bb.990:
	v_bfe_u32 v3, v2, 20, 1
	s_mov_b32 s13, exec_lo
	s_delay_alu instid0(VALU_DEP_1) | instskip(NEXT) | instid1(VALU_DEP_1)
	v_add3_u32 v3, v2, v3, 0x487ffff
	v_lshrrev_b32_e32 v3, 20, v3
	s_or_saveexec_b32 s14, s14
                                        ; implicit-def: $sgpr15
	s_delay_alu instid0(SALU_CYCLE_1)
	s_xor_b32 exec_lo, exec_lo, s14
	s_cbranch_execnz .LBB8_1242
.LBB8_991:
	s_or_b32 exec_lo, exec_lo, s14
	v_mov_b32_e32 v7, s15
	s_and_saveexec_b32 s14, s13
.LBB8_992:
	v_lshrrev_b32_e32 v2, 24, v2
	s_delay_alu instid0(VALU_DEP_1)
	v_and_or_b32 v7, 0x80, v2, v3
.LBB8_993:
	s_or_b32 exec_lo, exec_lo, s14
.LBB8_994:
	s_delay_alu instid0(SALU_CYCLE_1)
	s_or_b32 exec_lo, exec_lo, s12
	global_store_b8 v[4:5], v7, off
.LBB8_995:
	s_mov_b32 s12, 0
.LBB8_996:
	s_delay_alu instid0(SALU_CYCLE_1)
	s_and_b32 vcc_lo, exec_lo, s12
	s_mov_b32 s12, 0
	s_cbranch_vccz .LBB8_1036
; %bb.997:
	v_cmp_lt_i16_e32 vcc_lo, 22, v6
	s_mov_b32 s13, -1
	s_cbranch_vccz .LBB8_1029
; %bb.998:
	v_cmp_gt_i16_e32 vcc_lo, 24, v6
	s_cbranch_vccnz .LBB8_1018
; %bb.999:
	v_cmp_lt_i16_e32 vcc_lo, 24, v6
	s_cbranch_vccz .LBB8_1007
; %bb.1000:
	v_cvt_f32_f64_e32 v2, v[0:1]
	v_mov_b32_e32 v7, 0x80
	s_mov_b32 s13, exec_lo
	s_delay_alu instid0(VALU_DEP_2) | instskip(NEXT) | instid1(VALU_DEP_1)
	v_and_b32_e32 v3, 0x7fffffff, v2
	v_cmpx_gt_u32_e32 0x47800000, v3
	s_cbranch_execz .LBB8_1006
; %bb.1001:
	v_cmp_lt_u32_e32 vcc_lo, 0x37ffffff, v3
	s_mov_b32 s14, 0
                                        ; implicit-def: $vgpr3
	s_and_saveexec_b32 s15, vcc_lo
	s_delay_alu instid0(SALU_CYCLE_1)
	s_xor_b32 s15, exec_lo, s15
	s_cbranch_execz .LBB8_1285
; %bb.1002:
	v_bfe_u32 v3, v2, 21, 1
	s_mov_b32 s14, exec_lo
	s_delay_alu instid0(VALU_DEP_1) | instskip(NEXT) | instid1(VALU_DEP_1)
	v_add3_u32 v3, v2, v3, 0x88fffff
	v_lshrrev_b32_e32 v3, 21, v3
	s_or_saveexec_b32 s15, s15
                                        ; implicit-def: $sgpr16
	s_delay_alu instid0(SALU_CYCLE_1)
	s_xor_b32 exec_lo, exec_lo, s15
	s_cbranch_execnz .LBB8_1286
.LBB8_1003:
	s_or_b32 exec_lo, exec_lo, s15
	v_mov_b32_e32 v7, s16
	s_and_saveexec_b32 s15, s14
.LBB8_1004:
	v_lshrrev_b32_e32 v2, 24, v2
	s_delay_alu instid0(VALU_DEP_1)
	v_and_or_b32 v7, 0x80, v2, v3
.LBB8_1005:
	s_or_b32 exec_lo, exec_lo, s15
.LBB8_1006:
	s_delay_alu instid0(SALU_CYCLE_1)
	s_or_b32 exec_lo, exec_lo, s13
	s_mov_b32 s13, 0
	global_store_b8 v[4:5], v7, off
.LBB8_1007:
	s_and_b32 vcc_lo, exec_lo, s13
	s_cbranch_vccz .LBB8_1017
; %bb.1008:
	v_cvt_f32_f64_e32 v2, v[0:1]
	s_mov_b32 s13, exec_lo
                                        ; implicit-def: $vgpr3
	s_delay_alu instid0(VALU_DEP_1) | instskip(NEXT) | instid1(VALU_DEP_1)
	v_and_b32_e32 v7, 0x7fffffff, v2
	v_cmpx_gt_u32_e32 0x43f00000, v7
	s_xor_b32 s13, exec_lo, s13
	s_cbranch_execz .LBB8_1014
; %bb.1009:
	s_mov_b32 s14, exec_lo
                                        ; implicit-def: $vgpr3
	v_cmpx_lt_u32_e32 0x3c7fffff, v7
	s_xor_b32 s14, exec_lo, s14
; %bb.1010:
	v_bfe_u32 v3, v2, 20, 1
	s_delay_alu instid0(VALU_DEP_1) | instskip(NEXT) | instid1(VALU_DEP_1)
	v_add3_u32 v3, v2, v3, 0x407ffff
	v_and_b32_e32 v7, 0xff00000, v3
	v_lshrrev_b32_e32 v3, 20, v3
	s_delay_alu instid0(VALU_DEP_2) | instskip(NEXT) | instid1(VALU_DEP_2)
	v_cmp_ne_u32_e32 vcc_lo, 0x7f00000, v7
	v_cndmask_b32_e32 v3, 0x7e, v3, vcc_lo
; %bb.1011:
	s_and_not1_saveexec_b32 s14, s14
; %bb.1012:
	v_add_f32_e64 v3, 0x46800000, |v2|
; %bb.1013:
	s_or_b32 exec_lo, exec_lo, s14
                                        ; implicit-def: $vgpr7
.LBB8_1014:
	s_and_not1_saveexec_b32 s13, s13
; %bb.1015:
	v_mov_b32_e32 v3, 0x7f
	v_cmp_lt_u32_e32 vcc_lo, 0x7f800000, v7
	s_delay_alu instid0(VALU_DEP_2)
	v_cndmask_b32_e32 v3, 0x7e, v3, vcc_lo
; %bb.1016:
	s_or_b32 exec_lo, exec_lo, s13
	v_lshrrev_b32_e32 v2, 24, v2
	s_delay_alu instid0(VALU_DEP_1)
	v_and_or_b32 v2, 0x80, v2, v3
	global_store_b8 v[4:5], v2, off
.LBB8_1017:
	s_mov_b32 s13, 0
.LBB8_1018:
	s_delay_alu instid0(SALU_CYCLE_1)
	s_and_not1_b32 vcc_lo, exec_lo, s13
	s_cbranch_vccnz .LBB8_1028
; %bb.1019:
	v_cvt_f32_f64_e32 v2, v[0:1]
	s_mov_b32 s13, exec_lo
                                        ; implicit-def: $vgpr3
	s_delay_alu instid0(VALU_DEP_1) | instskip(NEXT) | instid1(VALU_DEP_1)
	v_and_b32_e32 v7, 0x7fffffff, v2
	v_cmpx_gt_u32_e32 0x47800000, v7
	s_xor_b32 s13, exec_lo, s13
	s_cbranch_execz .LBB8_1025
; %bb.1020:
	s_mov_b32 s14, exec_lo
                                        ; implicit-def: $vgpr3
	v_cmpx_lt_u32_e32 0x387fffff, v7
	s_xor_b32 s14, exec_lo, s14
; %bb.1021:
	v_bfe_u32 v3, v2, 21, 1
	s_delay_alu instid0(VALU_DEP_1) | instskip(NEXT) | instid1(VALU_DEP_1)
	v_add3_u32 v3, v2, v3, 0x80fffff
	v_lshrrev_b32_e32 v3, 21, v3
; %bb.1022:
	s_and_not1_saveexec_b32 s14, s14
; %bb.1023:
	v_add_f32_e64 v3, 0x43000000, |v2|
; %bb.1024:
	s_or_b32 exec_lo, exec_lo, s14
                                        ; implicit-def: $vgpr7
.LBB8_1025:
	s_and_not1_saveexec_b32 s13, s13
; %bb.1026:
	v_mov_b32_e32 v3, 0x7f
	v_cmp_lt_u32_e32 vcc_lo, 0x7f800000, v7
	s_delay_alu instid0(VALU_DEP_2)
	v_cndmask_b32_e32 v3, 0x7c, v3, vcc_lo
; %bb.1027:
	s_or_b32 exec_lo, exec_lo, s13
	v_lshrrev_b32_e32 v2, 24, v2
	s_delay_alu instid0(VALU_DEP_1)
	v_and_or_b32 v2, 0x80, v2, v3
	global_store_b8 v[4:5], v2, off
.LBB8_1028:
	s_mov_b32 s13, 0
.LBB8_1029:
	s_delay_alu instid0(SALU_CYCLE_1)
	s_and_not1_b32 vcc_lo, exec_lo, s13
	s_mov_b32 s13, 0
	s_cbranch_vccnz .LBB8_1037
; %bb.1030:
	v_cmp_lt_i16_e32 vcc_lo, 14, v6
	s_mov_b32 s13, -1
	s_cbranch_vccz .LBB8_1034
; %bb.1031:
	v_cmp_eq_u16_e32 vcc_lo, 15, v6
	s_mov_b32 s0, -1
	s_cbranch_vccz .LBB8_1033
; %bb.1032:
	v_cvt_f32_f64_e32 v2, v[0:1]
	s_mov_b32 s0, 0
	s_delay_alu instid0(VALU_DEP_1) | instskip(SKIP_1) | instid1(VALU_DEP_2)
	v_bfe_u32 v3, v2, 16, 1
	v_cmp_o_f32_e32 vcc_lo, v2, v2
	v_add3_u32 v3, v2, v3, 0x7fff
	s_delay_alu instid0(VALU_DEP_1) | instskip(NEXT) | instid1(VALU_DEP_1)
	v_lshrrev_b32_e32 v3, 16, v3
	v_cndmask_b32_e32 v2, 0x7fc0, v3, vcc_lo
	global_store_b16 v[4:5], v2, off
.LBB8_1033:
	s_mov_b32 s13, 0
.LBB8_1034:
	s_delay_alu instid0(SALU_CYCLE_1)
	s_and_b32 vcc_lo, exec_lo, s13
	s_mov_b32 s13, 0
	s_cbranch_vccz .LBB8_1037
; %bb.1035:
	v_cmp_ne_u16_e32 vcc_lo, 11, v6
	s_and_not1_b32 s0, s0, exec_lo
	s_mov_b32 s13, -1
	s_and_b32 s14, vcc_lo, exec_lo
	s_delay_alu instid0(SALU_CYCLE_1)
	s_or_b32 s0, s0, s14
	s_branch .LBB8_1037
.LBB8_1036:
	s_mov_b32 s13, 0
.LBB8_1037:
	s_and_not1_b32 s10, s10, exec_lo
	s_and_b32 s0, s0, exec_lo
	s_and_b32 s12, s12, exec_lo
	;; [unrolled: 1-line block ×3, first 2 shown]
	s_or_b32 s10, s10, s0
.LBB8_1038:
	s_or_b32 exec_lo, exec_lo, s11
	s_and_saveexec_b32 s0, s10
	s_cbranch_execnz .LBB8_1100
; %bb.1039:
	s_or_b32 exec_lo, exec_lo, s0
	s_and_saveexec_b32 s0, s13
	s_delay_alu instid0(SALU_CYCLE_1)
	s_xor_b32 s0, exec_lo, s0
	s_cbranch_execz .LBB8_1041
.LBB8_1040:
	v_cmp_neq_f64_e32 vcc_lo, 0, v[0:1]
	s_waitcnt vmcnt(0)
	v_cndmask_b32_e64 v2, 0, 1, vcc_lo
	global_store_b8 v[4:5], v2, off
.LBB8_1041:
	s_or_b32 exec_lo, exec_lo, s0
	s_and_saveexec_b32 s0, s12
	s_delay_alu instid0(SALU_CYCLE_1)
	s_xor_b32 s0, exec_lo, s0
	s_cbranch_execz .LBB8_1079
; %bb.1042:
	v_cmp_gt_i16_e32 vcc_lo, 5, v6
	s_mov_b32 s10, -1
	s_cbranch_vccnz .LBB8_1063
; %bb.1043:
	v_cmp_gt_i16_e32 vcc_lo, 8, v6
	s_cbranch_vccnz .LBB8_1053
; %bb.1044:
	v_cmp_gt_i16_e32 vcc_lo, 9, v6
	s_cbranch_vccnz .LBB8_1050
; %bb.1045:
	v_cmp_lt_i16_e32 vcc_lo, 9, v6
	s_cbranch_vccz .LBB8_1047
; %bb.1046:
	s_waitcnt vmcnt(0)
	v_mov_b32_e32 v2, 0
	s_mov_b32 s10, 0
	s_delay_alu instid0(VALU_DEP_1)
	v_mov_b32_e32 v3, v2
	global_store_b128 v[4:5], v[0:3], off
.LBB8_1047:
	s_and_not1_b32 vcc_lo, exec_lo, s10
	s_cbranch_vccnz .LBB8_1049
; %bb.1048:
	s_waitcnt vmcnt(0)
	v_cvt_f32_f64_e32 v2, v[0:1]
	v_mov_b32_e32 v3, 0
	global_store_b64 v[4:5], v[2:3], off
.LBB8_1049:
	s_mov_b32 s10, 0
.LBB8_1050:
	s_delay_alu instid0(SALU_CYCLE_1)
	s_and_not1_b32 vcc_lo, exec_lo, s10
	s_cbranch_vccnz .LBB8_1052
; %bb.1051:
	s_waitcnt vmcnt(0)
	v_cvt_f32_f64_e32 v2, v[0:1]
	s_delay_alu instid0(VALU_DEP_1) | instskip(NEXT) | instid1(VALU_DEP_1)
	v_cvt_f16_f32_e32 v2, v2
	v_and_b32_e32 v2, 0xffff, v2
	global_store_b32 v[4:5], v2, off
.LBB8_1052:
	s_mov_b32 s10, 0
.LBB8_1053:
	s_delay_alu instid0(SALU_CYCLE_1)
	s_and_not1_b32 vcc_lo, exec_lo, s10
	s_cbranch_vccnz .LBB8_1062
; %bb.1054:
	v_cmp_gt_i16_e32 vcc_lo, 6, v6
	s_mov_b32 s10, -1
	s_cbranch_vccnz .LBB8_1060
; %bb.1055:
	v_cmp_lt_i16_e32 vcc_lo, 6, v6
	s_cbranch_vccz .LBB8_1057
; %bb.1056:
	s_mov_b32 s10, 0
	global_store_b64 v[4:5], v[0:1], off
.LBB8_1057:
	s_and_not1_b32 vcc_lo, exec_lo, s10
	s_cbranch_vccnz .LBB8_1059
; %bb.1058:
	s_waitcnt vmcnt(0)
	v_cvt_f32_f64_e32 v2, v[0:1]
	global_store_b32 v[4:5], v2, off
.LBB8_1059:
	s_mov_b32 s10, 0
.LBB8_1060:
	s_delay_alu instid0(SALU_CYCLE_1)
	s_and_not1_b32 vcc_lo, exec_lo, s10
	s_cbranch_vccnz .LBB8_1062
; %bb.1061:
	s_waitcnt vmcnt(0)
	v_cvt_f32_f64_e32 v2, v[0:1]
	s_delay_alu instid0(VALU_DEP_1)
	v_cvt_f16_f32_e32 v2, v2
	global_store_b16 v[4:5], v2, off
.LBB8_1062:
	s_mov_b32 s10, 0
.LBB8_1063:
	s_delay_alu instid0(SALU_CYCLE_1)
	s_and_not1_b32 vcc_lo, exec_lo, s10
	s_cbranch_vccnz .LBB8_1079
; %bb.1064:
	v_cmp_gt_i16_e32 vcc_lo, 2, v6
	s_mov_b32 s10, -1
	s_cbranch_vccnz .LBB8_1074
; %bb.1065:
	v_cmp_gt_i16_e32 vcc_lo, 3, v6
	s_cbranch_vccnz .LBB8_1071
; %bb.1066:
	v_cmp_lt_i16_e32 vcc_lo, 3, v6
	s_cbranch_vccz .LBB8_1068
; %bb.1067:
	s_waitcnt vmcnt(0)
	v_trunc_f64_e32 v[2:3], v[0:1]
	s_mov_b32 s10, 0
	s_delay_alu instid0(VALU_DEP_1) | instskip(NEXT) | instid1(VALU_DEP_1)
	v_ldexp_f64 v[7:8], v[2:3], 0xffffffe0
	v_floor_f64_e32 v[7:8], v[7:8]
	s_delay_alu instid0(VALU_DEP_1) | instskip(SKIP_1) | instid1(VALU_DEP_2)
	v_fma_f64 v[2:3], 0xc1f00000, v[7:8], v[2:3]
	v_cvt_i32_f64_e32 v8, v[7:8]
	v_cvt_u32_f64_e32 v7, v[2:3]
	global_store_b64 v[4:5], v[7:8], off
.LBB8_1068:
	s_and_not1_b32 vcc_lo, exec_lo, s10
	s_cbranch_vccnz .LBB8_1070
; %bb.1069:
	s_waitcnt vmcnt(0)
	v_cvt_i32_f64_e32 v2, v[0:1]
	global_store_b32 v[4:5], v2, off
.LBB8_1070:
	s_mov_b32 s10, 0
.LBB8_1071:
	s_delay_alu instid0(SALU_CYCLE_1)
	s_and_not1_b32 vcc_lo, exec_lo, s10
	s_cbranch_vccnz .LBB8_1073
; %bb.1072:
	s_waitcnt vmcnt(0)
	v_cvt_i32_f64_e32 v2, v[0:1]
	global_store_b16 v[4:5], v2, off
.LBB8_1073:
	s_mov_b32 s10, 0
.LBB8_1074:
	s_delay_alu instid0(SALU_CYCLE_1)
	s_and_not1_b32 vcc_lo, exec_lo, s10
	s_cbranch_vccnz .LBB8_1079
; %bb.1075:
	v_cmp_lt_i16_e32 vcc_lo, 0, v6
	s_mov_b32 s10, -1
	s_cbranch_vccz .LBB8_1077
; %bb.1076:
	s_waitcnt vmcnt(0)
	v_cvt_i32_f64_e32 v2, v[0:1]
	s_mov_b32 s10, 0
	global_store_b8 v[4:5], v2, off
.LBB8_1077:
	s_and_not1_b32 vcc_lo, exec_lo, s10
	s_cbranch_vccnz .LBB8_1079
; %bb.1078:
	v_trunc_f64_e32 v[0:1], v[0:1]
	s_waitcnt vmcnt(0)
	s_delay_alu instid0(VALU_DEP_1) | instskip(NEXT) | instid1(VALU_DEP_1)
	v_ldexp_f64 v[2:3], v[0:1], 0xffffffe0
	v_floor_f64_e32 v[2:3], v[2:3]
	s_delay_alu instid0(VALU_DEP_1) | instskip(NEXT) | instid1(VALU_DEP_1)
	v_fma_f64 v[0:1], 0xc1f00000, v[2:3], v[0:1]
	v_cvt_u32_f64_e32 v0, v[0:1]
	global_store_b8 v[4:5], v0, off
.LBB8_1079:
	s_or_b32 exec_lo, exec_lo, s0
	s_delay_alu instid0(SALU_CYCLE_1)
	s_and_b32 s10, s1, exec_lo
                                        ; implicit-def: $vgpr15
                                        ; implicit-def: $vgpr16
                                        ; implicit-def: $vgpr14
.LBB8_1080:
	s_or_saveexec_b32 s9, s9
	s_mov_b32 s0, 0
                                        ; implicit-def: $vgpr17
                                        ; implicit-def: $vgpr0_vgpr1
                                        ; implicit-def: $vgpr12_vgpr13
	s_xor_b32 exec_lo, exec_lo, s9
	s_cbranch_execz .LBB8_1738
; %bb.1081:
	v_mul_lo_u32 v8, s3, v15
	v_cmp_gt_i16_e32 vcc_lo, 11, v16
	s_delay_alu instid0(VALU_DEP_2) | instskip(SKIP_1) | instid1(VALU_DEP_1)
	v_ashrrev_i32_e32 v1, 31, v8
	v_add_co_u32 v0, s0, s6, v8
	v_add_co_ci_u32_e64 v1, s0, s7, v1, s0
	s_cbranch_vccnz .LBB8_1088
; %bb.1082:
	v_cmp_lt_i16_e32 vcc_lo, 25, v16
	s_mov_b32 s11, 0
	s_cbranch_vccz .LBB8_1094
; %bb.1083:
	v_cmp_lt_i16_e32 vcc_lo, 28, v16
	s_cbranch_vccz .LBB8_1096
; %bb.1084:
	v_cmp_lt_i16_e32 vcc_lo, 43, v16
	;; [unrolled: 3-line block ×3, first 2 shown]
	s_cbranch_vccz .LBB8_1102
; %bb.1086:
	v_cmp_eq_u16_e32 vcc_lo, 46, v16
	s_mov_b32 s1, 0
	s_cbranch_vccz .LBB8_1142
; %bb.1087:
	global_load_b32 v2, v[0:1], off
	s_mov_b32 s0, -1
	s_waitcnt vmcnt(0)
	v_lshlrev_b32_e32 v2, 16, v2
	s_delay_alu instid0(VALU_DEP_1)
	v_cvt_f64_f32_e32 v[2:3], v2
	s_branch .LBB8_1144
.LBB8_1088:
	s_mov_b32 s0, 0
	s_mov_b32 s8, s10
                                        ; implicit-def: $vgpr2_vgpr3
	s_cbranch_execz .LBB8_1207
; %bb.1089:
	v_cmp_gt_i16_e32 vcc_lo, 5, v16
	s_cbranch_vccnz .LBB8_1095
; %bb.1090:
	v_cmp_gt_i16_e32 vcc_lo, 8, v16
	s_cbranch_vccnz .LBB8_1097
	;; [unrolled: 3-line block ×3, first 2 shown]
; %bb.1092:
	v_cmp_lt_i16_e32 vcc_lo, 9, v16
	s_cbranch_vccz .LBB8_1103
; %bb.1093:
	global_load_b64 v[2:3], v[0:1], off
	s_mov_b32 s0, 0
	s_branch .LBB8_1104
.LBB8_1094:
	s_mov_b32 s0, 0
                                        ; implicit-def: $vgpr2_vgpr3
	s_cbranch_execnz .LBB8_1174
	s_branch .LBB8_1203
.LBB8_1095:
                                        ; implicit-def: $vgpr2_vgpr3
	s_branch .LBB8_1121
.LBB8_1096:
	s_mov_b32 s1, -1
	s_mov_b32 s0, 0
                                        ; implicit-def: $vgpr2_vgpr3
	s_branch .LBB8_1153
.LBB8_1097:
                                        ; implicit-def: $vgpr2_vgpr3
	s_branch .LBB8_1110
.LBB8_1098:
	s_mov_b32 s0, 0
                                        ; implicit-def: $vgpr2_vgpr3
	s_cbranch_execnz .LBB8_1149
	s_branch .LBB8_1152
.LBB8_1099:
	s_mov_b32 s0, -1
                                        ; implicit-def: $vgpr2_vgpr3
	s_branch .LBB8_1107
.LBB8_1100:
	s_cbranch_execnz .LBB8_1140
; %bb.1101:
	s_or_b32 s1, s1, exec_lo
	s_and_not1_b32 s13, s13, exec_lo
	s_or_b32 exec_lo, exec_lo, s0
	s_and_saveexec_b32 s0, s13
	s_delay_alu instid0(SALU_CYCLE_1)
	s_xor_b32 s0, exec_lo, s0
	s_cbranch_execnz .LBB8_1040
	s_branch .LBB8_1041
.LBB8_1102:
	s_mov_b32 s1, -1
	s_branch .LBB8_1143
.LBB8_1103:
	s_mov_b32 s0, -1
                                        ; implicit-def: $vgpr2_vgpr3
.LBB8_1104:
	s_delay_alu instid0(SALU_CYCLE_1)
	s_and_not1_b32 vcc_lo, exec_lo, s0
	s_cbranch_vccnz .LBB8_1106
; %bb.1105:
	global_load_b32 v2, v[0:1], off
	s_waitcnt vmcnt(0)
	v_cvt_f64_f32_e32 v[2:3], v2
.LBB8_1106:
	s_mov_b32 s0, 0
.LBB8_1107:
	s_delay_alu instid0(SALU_CYCLE_1)
	s_and_not1_b32 vcc_lo, exec_lo, s0
	s_cbranch_vccnz .LBB8_1109
; %bb.1108:
	global_load_b32 v2, v[0:1], off
	s_waitcnt vmcnt(0)
	v_cvt_f32_f16_e32 v2, v2
	s_delay_alu instid0(VALU_DEP_1)
	v_cvt_f64_f32_e32 v[2:3], v2
.LBB8_1109:
	s_cbranch_execnz .LBB8_1120
.LBB8_1110:
	v_cmp_gt_i16_e32 vcc_lo, 6, v16
	s_cbranch_vccnz .LBB8_1113
; %bb.1111:
	v_cmp_lt_i16_e32 vcc_lo, 6, v16
	s_cbranch_vccz .LBB8_1114
; %bb.1112:
	global_load_b64 v[2:3], v[0:1], off
	s_mov_b32 s0, 0
	s_branch .LBB8_1115
.LBB8_1113:
	s_mov_b32 s0, -1
                                        ; implicit-def: $vgpr2_vgpr3
	s_branch .LBB8_1118
.LBB8_1114:
	s_mov_b32 s0, -1
                                        ; implicit-def: $vgpr2_vgpr3
.LBB8_1115:
	s_delay_alu instid0(SALU_CYCLE_1)
	s_and_not1_b32 vcc_lo, exec_lo, s0
	s_cbranch_vccnz .LBB8_1117
; %bb.1116:
	global_load_b32 v2, v[0:1], off
	s_waitcnt vmcnt(0)
	v_cvt_f64_f32_e32 v[2:3], v2
.LBB8_1117:
	s_mov_b32 s0, 0
.LBB8_1118:
	s_delay_alu instid0(SALU_CYCLE_1)
	s_and_not1_b32 vcc_lo, exec_lo, s0
	s_cbranch_vccnz .LBB8_1120
; %bb.1119:
	global_load_u16 v2, v[0:1], off
	s_waitcnt vmcnt(0)
	v_cvt_f32_f16_e32 v2, v2
	s_delay_alu instid0(VALU_DEP_1)
	v_cvt_f64_f32_e32 v[2:3], v2
.LBB8_1120:
	s_cbranch_execnz .LBB8_1139
.LBB8_1121:
	v_cmp_gt_i16_e32 vcc_lo, 2, v16
	s_cbranch_vccnz .LBB8_1125
; %bb.1122:
	v_cmp_gt_i16_e32 vcc_lo, 3, v16
	s_cbranch_vccnz .LBB8_1126
; %bb.1123:
	v_cmp_lt_i16_e32 vcc_lo, 3, v16
	s_cbranch_vccz .LBB8_1127
; %bb.1124:
	global_load_b64 v[2:3], v[0:1], off
	s_mov_b32 s0, 0
	s_waitcnt vmcnt(0)
	v_cvt_f64_i32_e32 v[3:4], v3
	v_cvt_f64_u32_e32 v[5:6], v2
	s_delay_alu instid0(VALU_DEP_2) | instskip(NEXT) | instid1(VALU_DEP_1)
	v_ldexp_f64 v[3:4], v[3:4], 32
	v_add_f64 v[2:3], v[3:4], v[5:6]
	s_branch .LBB8_1128
.LBB8_1125:
                                        ; implicit-def: $vgpr2_vgpr3
	s_branch .LBB8_1134
.LBB8_1126:
	s_mov_b32 s0, -1
                                        ; implicit-def: $vgpr2_vgpr3
	s_branch .LBB8_1131
.LBB8_1127:
	s_mov_b32 s0, -1
                                        ; implicit-def: $vgpr2_vgpr3
.LBB8_1128:
	s_delay_alu instid0(SALU_CYCLE_1)
	s_and_not1_b32 vcc_lo, exec_lo, s0
	s_cbranch_vccnz .LBB8_1130
; %bb.1129:
	global_load_b32 v2, v[0:1], off
	s_waitcnt vmcnt(0)
	v_cvt_f64_i32_e32 v[2:3], v2
.LBB8_1130:
	s_mov_b32 s0, 0
.LBB8_1131:
	s_delay_alu instid0(SALU_CYCLE_1)
	s_and_not1_b32 vcc_lo, exec_lo, s0
	s_cbranch_vccnz .LBB8_1133
; %bb.1132:
	global_load_i16 v2, v[0:1], off
	s_waitcnt vmcnt(0)
	v_cvt_f64_i32_e32 v[2:3], v2
.LBB8_1133:
	s_cbranch_execnz .LBB8_1139
.LBB8_1134:
	v_cmp_lt_i16_e32 vcc_lo, 0, v16
	s_mov_b32 s0, 0
	s_cbranch_vccz .LBB8_1136
; %bb.1135:
	global_load_i8 v2, v[0:1], off
	s_waitcnt vmcnt(0)
	v_cvt_f64_i32_e32 v[2:3], v2
	s_branch .LBB8_1137
.LBB8_1136:
	s_mov_b32 s0, -1
                                        ; implicit-def: $vgpr2_vgpr3
.LBB8_1137:
	s_delay_alu instid0(SALU_CYCLE_1)
	s_and_not1_b32 vcc_lo, exec_lo, s0
	s_cbranch_vccnz .LBB8_1139
; %bb.1138:
	global_load_u8 v0, v[0:1], off
	s_waitcnt vmcnt(0)
	v_cvt_f64_u32_e32 v[2:3], v0
.LBB8_1139:
	s_branch .LBB8_1208
.LBB8_1140:
	s_trap 2
	s_sendmsg_rtn_b32 s0, sendmsg(MSG_RTN_GET_DOORBELL)
	s_mov_b32 ttmp2, m0
	s_waitcnt lgkmcnt(0)
	s_and_b32 s0, s0, 0x3ff
	s_delay_alu instid0(SALU_CYCLE_1) | instskip(NEXT) | instid1(SALU_CYCLE_1)
	s_bitset1_b32 s0, 10
	s_mov_b32 m0, s0
	s_sendmsg sendmsg(MSG_INTERRUPT)
	s_mov_b32 m0, ttmp2
.LBB8_1141:                             ; =>This Inner Loop Header: Depth=1
	s_sethalt 5
	s_branch .LBB8_1141
.LBB8_1142:
	s_mov_b32 s8, -1
.LBB8_1143:
	s_mov_b32 s0, 0
                                        ; implicit-def: $vgpr2_vgpr3
.LBB8_1144:
	s_and_b32 vcc_lo, exec_lo, s1
	s_cbranch_vccz .LBB8_1147
; %bb.1145:
	v_cmp_eq_u16_e32 vcc_lo, 44, v16
	s_cbranch_vccz .LBB8_1148
; %bb.1146:
	global_load_u8 v4, v[0:1], off
	s_mov_b32 s8, 0
	s_mov_b32 s0, -1
	s_waitcnt vmcnt(0)
	v_cmp_ne_u32_e32 vcc_lo, 0xff, v4
	v_lshlrev_b32_e32 v2, 23, v4
	s_delay_alu instid0(VALU_DEP_1) | instskip(NEXT) | instid1(VALU_DEP_1)
	v_cvt_f64_f32_e32 v[2:3], v2
	v_cndmask_b32_e32 v3, 0x7ff80000, v3, vcc_lo
	s_delay_alu instid0(VALU_DEP_2) | instskip(SKIP_1) | instid1(VALU_DEP_3)
	v_cndmask_b32_e32 v2, 0x20000000, v2, vcc_lo
	v_cmp_ne_u32_e32 vcc_lo, 0, v4
	v_cndmask_b32_e32 v3, 0x38000000, v3, vcc_lo
	s_delay_alu instid0(VALU_DEP_3)
	v_cndmask_b32_e32 v2, 0, v2, vcc_lo
.LBB8_1147:
	s_branch .LBB8_1152
.LBB8_1148:
	s_mov_b32 s8, -1
                                        ; implicit-def: $vgpr2_vgpr3
	s_branch .LBB8_1152
.LBB8_1149:
	v_cmp_eq_u16_e32 vcc_lo, 29, v16
	s_cbranch_vccz .LBB8_1151
; %bb.1150:
	global_load_b64 v[2:3], v[0:1], off
	s_mov_b32 s8, 0
	s_mov_b32 s0, -1
	s_mov_b32 s1, 0
	s_waitcnt vmcnt(0)
	v_cvt_f64_u32_e32 v[3:4], v3
	v_cvt_f64_u32_e32 v[5:6], v2
	s_delay_alu instid0(VALU_DEP_2) | instskip(NEXT) | instid1(VALU_DEP_1)
	v_ldexp_f64 v[3:4], v[3:4], 32
	v_add_f64 v[2:3], v[3:4], v[5:6]
	s_branch .LBB8_1153
.LBB8_1151:
	s_mov_b32 s8, -1
                                        ; implicit-def: $vgpr2_vgpr3
.LBB8_1152:
	s_mov_b32 s1, 0
.LBB8_1153:
	s_delay_alu instid0(SALU_CYCLE_1)
	s_and_b32 vcc_lo, exec_lo, s1
	s_cbranch_vccz .LBB8_1173
; %bb.1154:
	v_cmp_gt_i16_e32 vcc_lo, 27, v16
	s_cbranch_vccnz .LBB8_1157
; %bb.1155:
	v_cmp_lt_i16_e32 vcc_lo, 27, v16
	s_cbranch_vccz .LBB8_1158
; %bb.1156:
	global_load_b32 v2, v[0:1], off
	s_mov_b32 s0, 0
	s_waitcnt vmcnt(0)
	v_cvt_f64_u32_e32 v[2:3], v2
	s_branch .LBB8_1159
.LBB8_1157:
	s_mov_b32 s0, -1
                                        ; implicit-def: $vgpr2_vgpr3
	s_branch .LBB8_1162
.LBB8_1158:
	s_mov_b32 s0, -1
                                        ; implicit-def: $vgpr2_vgpr3
.LBB8_1159:
	s_delay_alu instid0(SALU_CYCLE_1)
	s_and_not1_b32 vcc_lo, exec_lo, s0
	s_cbranch_vccnz .LBB8_1161
; %bb.1160:
	global_load_u16 v2, v[0:1], off
	s_waitcnt vmcnt(0)
	v_cvt_f64_u32_e32 v[2:3], v2
.LBB8_1161:
	s_mov_b32 s0, 0
.LBB8_1162:
	s_delay_alu instid0(SALU_CYCLE_1)
	s_and_not1_b32 vcc_lo, exec_lo, s0
	s_cbranch_vccnz .LBB8_1172
; %bb.1163:
	global_load_u8 v4, v[0:1], off
	s_mov_b32 s12, 0
	s_mov_b32 s13, exec_lo
                                        ; implicit-def: $sgpr0_sgpr1
	s_waitcnt vmcnt(0)
	v_cmpx_lt_i16_e32 0x7f, v4
	s_xor_b32 s13, exec_lo, s13
	s_cbranch_execz .LBB8_1167
; %bb.1164:
	s_mov_b32 s14, -1
	s_mov_b32 s12, exec_lo
                                        ; implicit-def: $sgpr0_sgpr1
	v_cmpx_eq_u16_e32 0x80, v4
; %bb.1165:
	s_mov_b32 s1, 0x7ff80000
	s_brev_b32 s0, 4
	s_xor_b32 s14, exec_lo, -1
; %bb.1166:
	s_or_b32 exec_lo, exec_lo, s12
	s_delay_alu instid0(SALU_CYCLE_1)
	s_and_b32 s12, s14, exec_lo
.LBB8_1167:
	s_or_saveexec_b32 s13, s13
	v_dual_mov_b32 v3, s1 :: v_dual_mov_b32 v2, s0
	s_xor_b32 exec_lo, exec_lo, s13
; %bb.1168:
	v_cmp_ne_u16_e32 vcc_lo, 0, v4
	v_mov_b32_e32 v2, 0
	v_mov_b32_e32 v3, 0
	s_and_not1_b32 s0, s12, exec_lo
	s_and_b32 s1, vcc_lo, exec_lo
	s_delay_alu instid0(SALU_CYCLE_1)
	s_or_b32 s12, s0, s1
; %bb.1169:
	s_or_b32 exec_lo, exec_lo, s13
	s_and_saveexec_b32 s0, s12
	s_cbranch_execz .LBB8_1171
; %bb.1170:
	v_and_b32_e32 v2, 0xffff, v4
	v_lshlrev_b32_e32 v4, 24, v4
	s_delay_alu instid0(VALU_DEP_2) | instskip(NEXT) | instid1(VALU_DEP_2)
	v_and_b32_e32 v3, 7, v2
	v_and_b32_e32 v4, 0x80000000, v4
	s_delay_alu instid0(VALU_DEP_2) | instskip(NEXT) | instid1(VALU_DEP_1)
	v_clz_i32_u32_e32 v5, v3
	v_min_u32_e32 v5, 32, v5
	s_delay_alu instid0(VALU_DEP_1) | instskip(SKIP_1) | instid1(VALU_DEP_2)
	v_subrev_nc_u32_e32 v6, 28, v5
	v_sub_nc_u32_e32 v5, 29, v5
	v_lshlrev_b32_e32 v6, v6, v2
	v_bfe_u32 v2, v2, 3, 4
	s_delay_alu instid0(VALU_DEP_2) | instskip(NEXT) | instid1(VALU_DEP_2)
	v_and_b32_e32 v6, 7, v6
	v_cmp_eq_u32_e32 vcc_lo, 0, v2
	s_delay_alu instid0(VALU_DEP_2) | instskip(NEXT) | instid1(VALU_DEP_1)
	v_dual_cndmask_b32 v2, v2, v5 :: v_dual_cndmask_b32 v3, v3, v6
	v_lshl_add_u32 v2, v2, 23, 0x3b800000
	s_delay_alu instid0(VALU_DEP_2) | instskip(NEXT) | instid1(VALU_DEP_1)
	v_lshlrev_b32_e32 v3, 20, v3
	v_or3_b32 v2, v4, v2, v3
	s_delay_alu instid0(VALU_DEP_1)
	v_cvt_f64_f32_e32 v[2:3], v2
.LBB8_1171:
	s_or_b32 exec_lo, exec_lo, s0
.LBB8_1172:
	s_mov_b32 s0, -1
.LBB8_1173:
	s_branch .LBB8_1203
.LBB8_1174:
	v_cmp_lt_i16_e32 vcc_lo, 22, v16
	s_cbranch_vccz .LBB8_1186
; %bb.1175:
	v_cmp_gt_i16_e32 vcc_lo, 24, v16
	s_cbranch_vccnz .LBB8_1187
; %bb.1176:
	v_cmp_lt_i16_e32 vcc_lo, 24, v16
	s_cbranch_vccz .LBB8_1188
; %bb.1177:
	global_load_u8 v4, v[0:1], off
	s_mov_b32 s12, exec_lo
                                        ; implicit-def: $sgpr0_sgpr1
	s_waitcnt vmcnt(0)
	v_cmpx_lt_i16_e32 0x7f, v4
	s_xor_b32 s12, exec_lo, s12
	s_cbranch_execz .LBB8_1181
; %bb.1178:
	s_mov_b32 s13, -1
	s_mov_b32 s11, exec_lo
                                        ; implicit-def: $sgpr0_sgpr1
	v_cmpx_eq_u16_e32 0x80, v4
; %bb.1179:
	s_mov_b32 s1, 0x7ff80000
	s_brev_b32 s0, 4
	s_xor_b32 s13, exec_lo, -1
; %bb.1180:
	s_or_b32 exec_lo, exec_lo, s11
	s_delay_alu instid0(SALU_CYCLE_1)
	s_and_b32 s11, s13, exec_lo
.LBB8_1181:
	s_or_saveexec_b32 s12, s12
	v_dual_mov_b32 v3, s1 :: v_dual_mov_b32 v2, s0
	s_xor_b32 exec_lo, exec_lo, s12
; %bb.1182:
	v_cmp_ne_u16_e32 vcc_lo, 0, v4
	v_mov_b32_e32 v2, 0
	v_mov_b32_e32 v3, 0
	s_and_not1_b32 s0, s11, exec_lo
	s_and_b32 s1, vcc_lo, exec_lo
	s_delay_alu instid0(SALU_CYCLE_1)
	s_or_b32 s11, s0, s1
; %bb.1183:
	s_or_b32 exec_lo, exec_lo, s12
	s_and_saveexec_b32 s0, s11
	s_cbranch_execz .LBB8_1185
; %bb.1184:
	v_and_b32_e32 v2, 0xffff, v4
	v_lshlrev_b32_e32 v4, 24, v4
	s_delay_alu instid0(VALU_DEP_2) | instskip(NEXT) | instid1(VALU_DEP_2)
	v_and_b32_e32 v3, 3, v2
	v_and_b32_e32 v4, 0x80000000, v4
	s_delay_alu instid0(VALU_DEP_2) | instskip(NEXT) | instid1(VALU_DEP_1)
	v_clz_i32_u32_e32 v5, v3
	v_min_u32_e32 v5, 32, v5
	s_delay_alu instid0(VALU_DEP_1) | instskip(SKIP_1) | instid1(VALU_DEP_2)
	v_subrev_nc_u32_e32 v6, 29, v5
	v_sub_nc_u32_e32 v5, 30, v5
	v_lshlrev_b32_e32 v6, v6, v2
	v_bfe_u32 v2, v2, 2, 5
	s_delay_alu instid0(VALU_DEP_2) | instskip(NEXT) | instid1(VALU_DEP_2)
	v_and_b32_e32 v6, 3, v6
	v_cmp_eq_u32_e32 vcc_lo, 0, v2
	s_delay_alu instid0(VALU_DEP_2) | instskip(NEXT) | instid1(VALU_DEP_1)
	v_dual_cndmask_b32 v2, v2, v5 :: v_dual_cndmask_b32 v3, v3, v6
	v_lshl_add_u32 v2, v2, 23, 0x37800000
	s_delay_alu instid0(VALU_DEP_2) | instskip(NEXT) | instid1(VALU_DEP_1)
	v_lshlrev_b32_e32 v3, 21, v3
	v_or3_b32 v2, v4, v2, v3
	s_delay_alu instid0(VALU_DEP_1)
	v_cvt_f64_f32_e32 v[2:3], v2
.LBB8_1185:
	s_or_b32 exec_lo, exec_lo, s0
	s_mov_b32 s0, 0
	s_branch .LBB8_1189
.LBB8_1186:
                                        ; implicit-def: $vgpr2_vgpr3
	s_mov_b32 s11, 0
	s_branch .LBB8_1195
.LBB8_1187:
	s_mov_b32 s0, -1
                                        ; implicit-def: $vgpr2_vgpr3
	s_branch .LBB8_1192
.LBB8_1188:
	s_mov_b32 s0, -1
                                        ; implicit-def: $vgpr2_vgpr3
.LBB8_1189:
	s_delay_alu instid0(SALU_CYCLE_1)
	s_and_b32 vcc_lo, exec_lo, s0
	s_cbranch_vccz .LBB8_1191
; %bb.1190:
	global_load_u8 v2, v[0:1], off
	s_waitcnt vmcnt(0)
	v_lshlrev_b32_e32 v2, 24, v2
	s_delay_alu instid0(VALU_DEP_1) | instskip(NEXT) | instid1(VALU_DEP_1)
	v_and_b32_e32 v3, 0x7f000000, v2
	v_clz_i32_u32_e32 v4, v3
	v_add_nc_u32_e32 v6, 0x1000000, v3
	v_cmp_ne_u32_e32 vcc_lo, 0, v3
	s_delay_alu instid0(VALU_DEP_3) | instskip(NEXT) | instid1(VALU_DEP_1)
	v_min_u32_e32 v4, 32, v4
	v_sub_nc_u32_e64 v4, v4, 4 clamp
	s_delay_alu instid0(VALU_DEP_1) | instskip(SKIP_1) | instid1(VALU_DEP_2)
	v_lshlrev_b32_e32 v5, v4, v3
	v_lshlrev_b32_e32 v4, 23, v4
	v_lshrrev_b32_e32 v5, 4, v5
	s_delay_alu instid0(VALU_DEP_1) | instskip(SKIP_1) | instid1(VALU_DEP_2)
	v_sub_nc_u32_e32 v4, v5, v4
	v_ashrrev_i32_e32 v5, 8, v6
	v_add_nc_u32_e32 v4, 0x3c000000, v4
	s_delay_alu instid0(VALU_DEP_1) | instskip(NEXT) | instid1(VALU_DEP_1)
	v_and_or_b32 v4, 0x7f800000, v5, v4
	v_cndmask_b32_e32 v3, 0, v4, vcc_lo
	s_delay_alu instid0(VALU_DEP_1) | instskip(NEXT) | instid1(VALU_DEP_1)
	v_and_or_b32 v2, 0x80000000, v2, v3
	v_cvt_f64_f32_e32 v[2:3], v2
.LBB8_1191:
	s_mov_b32 s0, 0
.LBB8_1192:
	s_delay_alu instid0(SALU_CYCLE_1)
	s_and_not1_b32 vcc_lo, exec_lo, s0
	s_cbranch_vccnz .LBB8_1194
; %bb.1193:
	global_load_u8 v2, v[0:1], off
	s_waitcnt vmcnt(0)
	v_lshlrev_b32_e32 v3, 25, v2
	v_lshlrev_b16 v2, 8, v2
	s_delay_alu instid0(VALU_DEP_2) | instskip(NEXT) | instid1(VALU_DEP_2)
	v_lshrrev_b32_e32 v4, 4, v3
	v_and_or_b32 v5, 0x7f00, v2, 0.5
	v_bfe_i32 v2, v2, 0, 16
	s_delay_alu instid0(VALU_DEP_3) | instskip(NEXT) | instid1(VALU_DEP_1)
	v_or_b32_e32 v4, 0x70000000, v4
	v_dual_add_f32 v5, -0.5, v5 :: v_dual_mul_f32 v4, 0x7800000, v4
	v_cmp_gt_u32_e32 vcc_lo, 0x8000000, v3
	s_delay_alu instid0(VALU_DEP_2) | instskip(NEXT) | instid1(VALU_DEP_1)
	v_cndmask_b32_e32 v3, v4, v5, vcc_lo
	v_and_or_b32 v2, 0x80000000, v2, v3
	s_delay_alu instid0(VALU_DEP_1)
	v_cvt_f64_f32_e32 v[2:3], v2
.LBB8_1194:
	s_mov_b32 s0, -1
	s_mov_b32 s11, 0
	s_cbranch_execnz .LBB8_1203
.LBB8_1195:
	v_cmp_lt_i16_e32 vcc_lo, 14, v16
	s_cbranch_vccz .LBB8_1198
; %bb.1196:
	v_cmp_eq_u16_e32 vcc_lo, 15, v16
	s_cbranch_vccz .LBB8_1199
; %bb.1197:
	global_load_u16 v2, v[0:1], off
	s_mov_b32 s8, 0
	s_mov_b32 s0, -1
	s_waitcnt vmcnt(0)
	v_lshlrev_b32_e32 v2, 16, v2
	s_delay_alu instid0(VALU_DEP_1)
	v_cvt_f64_f32_e32 v[2:3], v2
	s_branch .LBB8_1200
.LBB8_1198:
	s_mov_b32 s1, -1
                                        ; implicit-def: $vgpr2_vgpr3
	s_branch .LBB8_1201
.LBB8_1199:
	s_mov_b32 s8, -1
                                        ; implicit-def: $vgpr2_vgpr3
.LBB8_1200:
	s_mov_b32 s1, 0
.LBB8_1201:
	s_delay_alu instid0(SALU_CYCLE_1)
	s_and_b32 vcc_lo, exec_lo, s1
	s_cbranch_vccz .LBB8_1203
; %bb.1202:
	v_cmp_ne_u16_e64 s8, 11, v16
	s_mov_b32 s11, -1
                                        ; implicit-def: $vgpr2_vgpr3
.LBB8_1203:
	s_delay_alu instid0(VALU_DEP_1)
	s_and_b32 vcc_lo, exec_lo, s8
	s_mov_b32 s8, s10
	s_cbranch_vccnz .LBB8_1239
; %bb.1204:
	s_and_not1_b32 vcc_lo, exec_lo, s11
	s_cbranch_vccnz .LBB8_1206
.LBB8_1205:
	global_load_u8 v2, v[0:1], off
	s_mov_b32 s0, -1
	s_waitcnt vmcnt(0)
	v_cmp_ne_u16_e32 vcc_lo, 0, v2
	v_mov_b32_e32 v2, 0
	v_cndmask_b32_e64 v3, 0, 0x3ff00000, vcc_lo
.LBB8_1206:
.LBB8_1207:
	s_and_not1_b32 vcc_lo, exec_lo, s0
	s_cbranch_vccnz .LBB8_1736
.LBB8_1208:
	s_waitcnt vmcnt(0)
	s_delay_alu instid0(VALU_DEP_1) | instskip(NEXT) | instid1(VALU_DEP_1)
	v_cmp_ge_f64_e64 s0, 0x40200000, |v[2:3]|
                                        ; implicit-def: $vgpr0_vgpr1
	s_and_saveexec_b32 s1, s0
	s_delay_alu instid0(SALU_CYCLE_1)
	s_xor_b32 s0, exec_lo, s1
	s_cbranch_execz .LBB8_1214
; %bb.1209:
	v_fma_f64 v[0:1], |v[2:3]|, 0.5, -2.0
	s_mov_b32 s12, 0xc38a0576
	s_mov_b32 s13, 0xbc7857d0
	s_mov_b32 s15, 0x3c499f2a
	s_mov_b32 s14, 0xc3c4014
	s_mov_b32 s1, exec_lo
	s_delay_alu instid0(VALU_DEP_1) | instskip(SKIP_3) | instid1(VALU_DEP_1)
	v_fma_f64 v[4:5], v[0:1], s[14:15], s[12:13]
	s_mov_b32 s15, 0xbc499f2a
	s_mov_b32 s12, 0xe593bfac
	;; [unrolled: 1-line block ×3, first 2 shown]
	v_fma_f64 v[6:7], v[0:1], v[4:5], s[14:15]
	s_delay_alu instid0(VALU_DEP_1) | instskip(SKIP_2) | instid1(VALU_DEP_1)
	v_add_f64 v[6:7], v[6:7], s[12:13]
	s_mov_b32 s12, 0x7e0d1573
	s_mov_b32 s13, 0xbcd3eaaa
	v_fma_f64 v[4:5], v[0:1], v[6:7], -v[4:5]
	s_delay_alu instid0(VALU_DEP_1) | instskip(SKIP_2) | instid1(VALU_DEP_1)
	v_add_f64 v[4:5], v[4:5], s[12:13]
	s_mov_b32 s12, 0x615290c
	s_mov_b32 s13, 0x3d011d7f
	v_fma_f64 v[6:7], v[0:1], v[4:5], -v[6:7]
	;; [unrolled: 5-line block ×26, first 2 shown]
	s_delay_alu instid0(VALU_DEP_1) | instskip(NEXT) | instid1(VALU_DEP_1)
	v_add_f64 v[0:1], v[0:1], s[12:13]
	v_add_f64 v[4:5], v[0:1], -v[6:7]
                                        ; implicit-def: $vgpr0_vgpr1
	v_cmpx_ngt_f64_e32 0, v[2:3]
	s_xor_b32 s1, exec_lo, s1
	s_cbranch_execz .LBB8_1211
; %bb.1210:
	s_mov_b32 s12, 0x652b82fe
	s_mov_b32 s13, 0x3ff71547
	;; [unrolled: 1-line block ×3, first 2 shown]
	v_mul_f64 v[0:1], |v[2:3]|, s[12:13]
	s_mov_b32 s12, 0xfefa39ef
	s_mov_b32 s13, 0xbfe62e42
	;; [unrolled: 1-line block ×3, first 2 shown]
	s_delay_alu instid0(VALU_DEP_3) | instskip(SKIP_1) | instid1(VALU_DEP_3)
	v_mul_f64 v[4:5], v[4:5], 0.5
	v_cmp_nlt_f64_e64 vcc_lo, 0x40900000, |v[2:3]|
	v_rndne_f64_e32 v[0:1], v[0:1]
	s_delay_alu instid0(VALU_DEP_1) | instskip(SKIP_4) | instid1(VALU_DEP_3)
	v_fma_f64 v[6:7], v[0:1], s[12:13], |v[2:3]|
	s_mov_b32 s12, 0x3b39803f
	s_mov_b32 s13, 0xbc7abc9e
	v_cvt_i32_f64_e32 v11, v[0:1]
	v_mul_f64 v[2:3], |v[2:3]|, v[4:5]
                                        ; implicit-def: $vgpr4_vgpr5
	v_fma_f64 v[6:7], v[0:1], s[12:13], v[6:7]
	s_mov_b32 s12, 0xfca7ab0c
	s_mov_b32 s13, 0x3e928af3
	s_delay_alu instid0(VALU_DEP_1) | instid1(SALU_CYCLE_1)
	v_fma_f64 v[9:10], v[6:7], s[14:15], s[12:13]
	s_mov_b32 s12, 0x623fde64
	s_mov_b32 s13, 0x3ec71dee
	s_delay_alu instid0(VALU_DEP_1) | instid1(SALU_CYCLE_1)
	;; [unrolled: 4-line block ×9, first 2 shown]
	v_fma_f64 v[9:10], v[6:7], v[9:10], s[12:13]
	s_delay_alu instid0(VALU_DEP_1) | instskip(NEXT) | instid1(VALU_DEP_1)
	v_fma_f64 v[9:10], v[6:7], v[9:10], 1.0
	v_fma_f64 v[0:1], v[6:7], v[9:10], 1.0
	s_delay_alu instid0(VALU_DEP_1) | instskip(NEXT) | instid1(VALU_DEP_1)
	v_ldexp_f64 v[0:1], v[0:1], v11
	v_cndmask_b32_e32 v1, 0x7ff00000, v1, vcc_lo
	s_delay_alu instid0(VALU_DEP_2) | instskip(NEXT) | instid1(VALU_DEP_1)
	v_cndmask_b32_e32 v0, 0, v0, vcc_lo
	v_mul_f64 v[0:1], v[0:1], v[2:3]
                                        ; implicit-def: $vgpr2_vgpr3
.LBB8_1211:
	s_and_not1_saveexec_b32 s1, s1
	s_cbranch_execz .LBB8_1213
; %bb.1212:
	s_mov_b32 s12, 0x652b82fe
	s_mov_b32 s13, 0x3ff71547
	;; [unrolled: 1-line block ×3, first 2 shown]
	v_mul_f64 v[0:1], |v[2:3]|, s[12:13]
	s_mov_b32 s12, 0xfefa39ef
	s_mov_b32 s13, 0xbfe62e42
	;; [unrolled: 1-line block ×3, first 2 shown]
	s_delay_alu instid0(VALU_DEP_3) | instskip(SKIP_1) | instid1(VALU_DEP_3)
	v_mul_f64 v[4:5], v[4:5], -0.5
	v_cmp_nlt_f64_e64 vcc_lo, 0x40900000, |v[2:3]|
	v_rndne_f64_e32 v[0:1], v[0:1]
	s_delay_alu instid0(VALU_DEP_1) | instskip(SKIP_4) | instid1(VALU_DEP_3)
	v_fma_f64 v[6:7], v[0:1], s[12:13], |v[2:3]|
	s_mov_b32 s12, 0x3b39803f
	s_mov_b32 s13, 0xbc7abc9e
	v_cvt_i32_f64_e32 v11, v[0:1]
	v_mul_f64 v[2:3], |v[2:3]|, v[4:5]
	v_fma_f64 v[6:7], v[0:1], s[12:13], v[6:7]
	s_mov_b32 s12, 0xfca7ab0c
	s_mov_b32 s13, 0x3e928af3
	s_delay_alu instid0(VALU_DEP_1) | instid1(SALU_CYCLE_1)
	v_fma_f64 v[9:10], v[6:7], s[14:15], s[12:13]
	s_mov_b32 s12, 0x623fde64
	s_mov_b32 s13, 0x3ec71dee
	s_delay_alu instid0(VALU_DEP_1) | instid1(SALU_CYCLE_1)
	;; [unrolled: 4-line block ×9, first 2 shown]
	v_fma_f64 v[9:10], v[6:7], v[9:10], s[12:13]
	s_delay_alu instid0(VALU_DEP_1) | instskip(NEXT) | instid1(VALU_DEP_1)
	v_fma_f64 v[9:10], v[6:7], v[9:10], 1.0
	v_fma_f64 v[0:1], v[6:7], v[9:10], 1.0
	s_delay_alu instid0(VALU_DEP_1) | instskip(NEXT) | instid1(VALU_DEP_1)
	v_ldexp_f64 v[0:1], v[0:1], v11
	v_cndmask_b32_e32 v1, 0x7ff00000, v1, vcc_lo
	s_delay_alu instid0(VALU_DEP_2) | instskip(NEXT) | instid1(VALU_DEP_1)
	v_cndmask_b32_e32 v0, 0, v0, vcc_lo
	v_mul_f64 v[0:1], v[0:1], v[2:3]
.LBB8_1213:
	s_or_b32 exec_lo, exec_lo, s1
                                        ; implicit-def: $vgpr2_vgpr3
.LBB8_1214:
	s_and_not1_saveexec_b32 s0, s0
	s_cbranch_execz .LBB8_1220
; %bb.1215:
	v_dual_mov_b32 v0, v2 :: v_dual_and_b32 v1, 0x7fffffff, v3
	s_mov_b32 s12, 0xea87b950
	s_mov_b32 s13, 0x3c545b8a
	;; [unrolled: 1-line block ×4, first 2 shown]
	v_div_scale_f64 v[4:5], null, v[0:1], v[0:1], 0x40400000
	v_div_scale_f64 v[0:1], vcc_lo, 0x40400000, v[0:1], 0x40400000
	s_mov_b32 s16, 0x2e9e5443
	s_mov_b32 s17, 0xbe90dbfd
	s_mov_b32 s1, exec_lo
	s_delay_alu instid0(VALU_DEP_2) | instskip(SKIP_2) | instid1(VALU_DEP_1)
	v_rcp_f64_e32 v[6:7], v[4:5]
	s_waitcnt_depctr 0xfff
	v_fma_f64 v[9:10], -v[4:5], v[6:7], 1.0
	v_fma_f64 v[6:7], v[6:7], v[9:10], v[6:7]
	s_delay_alu instid0(VALU_DEP_1) | instskip(NEXT) | instid1(VALU_DEP_1)
	v_fma_f64 v[9:10], -v[4:5], v[6:7], 1.0
	v_fma_f64 v[6:7], v[6:7], v[9:10], v[6:7]
	s_delay_alu instid0(VALU_DEP_1) | instskip(NEXT) | instid1(VALU_DEP_1)
	v_mul_f64 v[9:10], v[0:1], v[6:7]
	v_fma_f64 v[0:1], -v[4:5], v[9:10], v[0:1]
	s_delay_alu instid0(VALU_DEP_1) | instskip(NEXT) | instid1(VALU_DEP_1)
	v_div_fmas_f64 v[0:1], v[0:1], v[6:7], v[9:10]
	v_div_fixup_f64 v[0:1], v[0:1], |v[2:3]|, 0x40400000
	s_delay_alu instid0(VALU_DEP_1) | instskip(NEXT) | instid1(VALU_DEP_1)
	v_add_f64 v[0:1], v[0:1], -2.0
	v_fma_f64 v[4:5], v[0:1], s[14:15], s[12:13]
	s_mov_b32 s15, 0xbc61556d
	s_mov_b32 s12, 0xb2532277
	;; [unrolled: 1-line block ×3, first 2 shown]
	s_delay_alu instid0(VALU_DEP_1) | instskip(SKIP_2) | instid1(VALU_DEP_1)
	v_fma_f64 v[6:7], v[0:1], v[4:5], s[14:15]
	s_mov_b32 s14, 0x9ad53528
	s_mov_b32 s15, 0xbe30790b
	v_add_f64 v[6:7], v[6:7], s[12:13]
	s_mov_b32 s12, 0x9c773320
	s_mov_b32 s13, 0xbc82806c
	s_delay_alu instid0(VALU_DEP_1) | instskip(NEXT) | instid1(VALU_DEP_1)
	v_fma_f64 v[4:5], v[0:1], v[6:7], -v[4:5]
	v_add_f64 v[4:5], v[4:5], s[12:13]
	s_mov_b32 s12, 0xfceb588a
	s_mov_b32 s13, 0x3cb55915
	s_delay_alu instid0(VALU_DEP_1) | instskip(NEXT) | instid1(VALU_DEP_1)
	v_fma_f64 v[6:7], v[0:1], v[4:5], -v[6:7]
	;; [unrolled: 5-line block ×15, first 2 shown]
	v_add_f64 v[4:5], v[4:5], s[12:13]
	s_mov_b32 s12, 0x652b82fe
	s_mov_b32 s13, 0x3ff71547
	s_delay_alu instid0(SALU_CYCLE_1) | instskip(SKIP_2) | instid1(VALU_DEP_2)
	v_mul_f64 v[9:10], |v[2:3]|, s[12:13]
	s_mov_b32 s12, 0xfefa39ef
	s_mov_b32 s13, 0xbfe62e42
	v_fma_f64 v[6:7], v[0:1], v[4:5], -v[6:7]
	s_delay_alu instid0(VALU_DEP_2) | instskip(NEXT) | instid1(VALU_DEP_2)
	v_rndne_f64_e32 v[9:10], v[9:10]
	v_add_f64 v[6:7], v[6:7], s[14:15]
	s_mov_b32 s14, 0x94bb46c1
	s_mov_b32 s15, 0xbe5c4153
	s_delay_alu instid0(VALU_DEP_2) | instskip(SKIP_2) | instid1(VALU_DEP_2)
	v_fma_f64 v[11:12], v[9:10], s[12:13], |v[2:3]|
	s_mov_b32 s12, 0x3b39803f
	s_mov_b32 s13, 0xbc7abc9e
	v_fma_f64 v[4:5], v[0:1], v[6:7], -v[4:5]
	s_delay_alu instid0(VALU_DEP_2) | instskip(SKIP_3) | instid1(VALU_DEP_3)
	v_fma_f64 v[11:12], v[9:10], s[12:13], v[11:12]
	s_mov_b32 s12, 0xfca7ab0c
	s_mov_b32 s13, 0x3e928af3
	v_cvt_i32_f64_e32 v9, v[9:10]
	v_add_f64 v[4:5], v[4:5], s[14:15]
	s_mov_b32 s14, 0x6a5dcb37
	s_mov_b32 s15, 0x3e5ade15
	s_delay_alu instid0(VALU_DEP_3) | instid1(SALU_CYCLE_1)
	v_fma_f64 v[17:18], v[11:12], s[14:15], s[12:13]
	s_mov_b32 s12, 0x623fde64
	s_mov_b32 s13, 0x3ec71dee
	;; [unrolled: 1-line block ×4, first 2 shown]
	s_delay_alu instid0(VALU_DEP_2) | instskip(NEXT) | instid1(VALU_DEP_2)
	v_fma_f64 v[6:7], v[0:1], v[4:5], -v[6:7]
	v_fma_f64 v[17:18], v[11:12], v[17:18], s[12:13]
	s_mov_b32 s12, 0x7c89e6b0
	s_mov_b32 s13, 0x3efa0199
	s_delay_alu instid0(VALU_DEP_2) | instskip(NEXT) | instid1(VALU_DEP_2)
	v_add_f64 v[6:7], v[6:7], s[16:17]
	v_fma_f64 v[17:18], v[11:12], v[17:18], s[12:13]
	s_mov_b32 s12, 0x14761f6e
	s_mov_b32 s13, 0x3f2a01a0
	s_delay_alu instid0(VALU_DEP_2) | instskip(NEXT) | instid1(VALU_DEP_2)
	v_fma_f64 v[4:5], v[0:1], v[6:7], -v[4:5]
	v_fma_f64 v[17:18], v[11:12], v[17:18], s[12:13]
	s_mov_b32 s12, 0x1852b7b0
	s_mov_b32 s13, 0x3f56c16c
	s_delay_alu instid0(VALU_DEP_2) | instskip(SKIP_2) | instid1(VALU_DEP_2)
	v_add_f64 v[4:5], v[4:5], s[14:15]
	s_mov_b32 s14, 0x804aa9a6
	s_mov_b32 s15, 0xbf1cfd7f
	v_fma_f64 v[17:18], v[11:12], v[17:18], s[12:13]
	s_mov_b32 s12, 0x11122322
	s_mov_b32 s13, 0x3f811111
	s_delay_alu instid0(VALU_DEP_2) | instskip(NEXT) | instid1(VALU_DEP_2)
	v_fma_f64 v[6:7], v[0:1], v[4:5], -v[6:7]
	v_fma_f64 v[17:18], v[11:12], v[17:18], s[12:13]
	s_mov_b32 s12, 0x555502a1
	s_mov_b32 s13, 0x3fa55555
	s_delay_alu instid0(VALU_DEP_2) | instskip(SKIP_2) | instid1(VALU_DEP_2)
	v_add_f64 v[6:7], v[6:7], s[14:15]
	s_mov_b32 s14, 0x53fcdb4c
	s_mov_b32 s15, 0xbf83fda0
	v_fma_f64 v[17:18], v[11:12], v[17:18], s[12:13]
	s_mov_b32 s12, 0x55555511
	s_mov_b32 s13, 0x3fc55555
	s_delay_alu instid0(VALU_DEP_2) | instskip(NEXT) | instid1(VALU_DEP_2)
	v_fma_f64 v[4:5], v[0:1], v[6:7], -v[4:5]
	v_fma_f64 v[17:18], v[11:12], v[17:18], s[12:13]
	s_mov_b32 s12, 11
	s_mov_b32 s13, 0x3fe00000
	s_delay_alu instid0(VALU_DEP_2) | instskip(SKIP_2) | instid1(VALU_DEP_1)
	v_add_f64 v[4:5], v[4:5], s[14:15]
	s_mov_b32 s14, 0xb55b1514
	s_mov_b32 s15, 0x3fe8ea18
	v_fma_f64 v[0:1], v[0:1], v[4:5], -v[6:7]
	s_delay_alu instid0(VALU_DEP_3) | instskip(NEXT) | instid1(VALU_DEP_2)
	v_fma_f64 v[4:5], v[11:12], v[17:18], s[12:13]
	v_add_f64 v[0:1], v[0:1], s[14:15]
	s_delay_alu instid0(VALU_DEP_2) | instskip(NEXT) | instid1(VALU_DEP_2)
	v_fma_f64 v[4:5], v[11:12], v[4:5], 1.0
	v_add_f64 v[0:1], v[0:1], -v[6:7]
	s_delay_alu instid0(VALU_DEP_2) | instskip(NEXT) | instid1(VALU_DEP_2)
	v_fma_f64 v[6:7], v[11:12], v[4:5], 1.0
	v_mul_f64 v[4:5], v[0:1], 0.5
                                        ; implicit-def: $vgpr0_vgpr1
	v_cmpx_ngt_f64_e32 0, v[2:3]
	s_xor_b32 s1, exec_lo, s1
	s_cbranch_execz .LBB8_1217
; %bb.1216:
	v_cmp_gt_f64_e64 s11, 0x10000000, |v[2:3]|
	s_delay_alu instid0(VALU_DEP_4) | instskip(SKIP_1) | instid1(VALU_DEP_3)
	v_ldexp_f64 v[6:7], v[6:7], v9
	v_cmp_nlt_f64_e64 vcc_lo, 0x40900000, |v[2:3]|
	v_cndmask_b32_e64 v0, 0, 1, s11
	v_cndmask_b32_e64 v9, 0, 0xffffff80, s11
	s_delay_alu instid0(VALU_DEP_2) | instskip(NEXT) | instid1(VALU_DEP_1)
	v_dual_cndmask_b32 v7, 0x7ff00000, v7 :: v_dual_lshlrev_b32 v0, 8, v0
	v_ldexp_f64 v[0:1], |v[2:3]|, v0
	s_delay_alu instid0(VALU_DEP_1) | instskip(SKIP_3) | instid1(VALU_DEP_1)
	v_rsq_f64_e32 v[10:11], v[0:1]
	s_waitcnt_depctr 0xfff
	v_mul_f64 v[12:13], v[0:1], v[10:11]
	v_mul_f64 v[10:11], v[10:11], 0.5
	v_fma_f64 v[17:18], -v[10:11], v[12:13], 0.5
	s_delay_alu instid0(VALU_DEP_1) | instskip(SKIP_1) | instid1(VALU_DEP_2)
	v_fma_f64 v[12:13], v[12:13], v[17:18], v[12:13]
	v_fma_f64 v[10:11], v[10:11], v[17:18], v[10:11]
	v_fma_f64 v[17:18], -v[12:13], v[12:13], v[0:1]
	s_delay_alu instid0(VALU_DEP_1) | instskip(NEXT) | instid1(VALU_DEP_1)
	v_fma_f64 v[12:13], v[17:18], v[10:11], v[12:13]
	v_fma_f64 v[17:18], -v[12:13], v[12:13], v[0:1]
	s_delay_alu instid0(VALU_DEP_1) | instskip(NEXT) | instid1(VALU_DEP_1)
	v_fma_f64 v[2:3], v[17:18], v[10:11], v[12:13]
	v_ldexp_f64 v[2:3], v[2:3], v9
	v_cndmask_b32_e32 v6, 0, v6, vcc_lo
	v_cmp_class_f64_e64 vcc_lo, v[0:1], 0x260
	s_delay_alu instid0(VALU_DEP_3) | instskip(NEXT) | instid1(VALU_DEP_3)
	v_cndmask_b32_e32 v1, v3, v1, vcc_lo
	v_mul_f64 v[4:5], v[6:7], v[4:5]
	v_cndmask_b32_e32 v0, v2, v0, vcc_lo
	s_delay_alu instid0(VALU_DEP_1) | instskip(NEXT) | instid1(VALU_DEP_1)
	v_div_scale_f64 v[2:3], null, v[0:1], v[0:1], v[4:5]
	v_rcp_f64_e32 v[6:7], v[2:3]
	s_waitcnt_depctr 0xfff
	v_fma_f64 v[9:10], -v[2:3], v[6:7], 1.0
	s_delay_alu instid0(VALU_DEP_1) | instskip(NEXT) | instid1(VALU_DEP_1)
	v_fma_f64 v[6:7], v[6:7], v[9:10], v[6:7]
	v_fma_f64 v[9:10], -v[2:3], v[6:7], 1.0
	s_delay_alu instid0(VALU_DEP_1) | instskip(SKIP_1) | instid1(VALU_DEP_1)
	v_fma_f64 v[6:7], v[6:7], v[9:10], v[6:7]
	v_div_scale_f64 v[9:10], vcc_lo, v[4:5], v[0:1], v[4:5]
	v_mul_f64 v[11:12], v[9:10], v[6:7]
	s_delay_alu instid0(VALU_DEP_1) | instskip(NEXT) | instid1(VALU_DEP_1)
	v_fma_f64 v[2:3], -v[2:3], v[11:12], v[9:10]
                                        ; implicit-def: $vgpr9
	v_div_fmas_f64 v[2:3], v[2:3], v[6:7], v[11:12]
                                        ; implicit-def: $vgpr6_vgpr7
	s_delay_alu instid0(VALU_DEP_1)
	v_div_fixup_f64 v[0:1], v[2:3], v[0:1], v[4:5]
                                        ; implicit-def: $vgpr2_vgpr3
                                        ; implicit-def: $vgpr4_vgpr5
.LBB8_1217:
	s_and_not1_saveexec_b32 s1, s1
	s_cbranch_execz .LBB8_1219
; %bb.1218:
	v_cmp_gt_f64_e64 s11, 0x10000000, |v[2:3]|
	s_delay_alu instid0(VALU_DEP_4) | instskip(SKIP_1) | instid1(VALU_DEP_3)
	v_ldexp_f64 v[6:7], -v[6:7], v9
	v_cmp_nlt_f64_e64 vcc_lo, 0x40900000, |v[2:3]|
	v_cndmask_b32_e64 v0, 0, 1, s11
	v_cndmask_b32_e64 v9, 0, 0xffffff80, s11
	s_delay_alu instid0(VALU_DEP_2) | instskip(NEXT) | instid1(VALU_DEP_1)
	v_dual_cndmask_b32 v7, 0xfff00000, v7 :: v_dual_lshlrev_b32 v0, 8, v0
	v_ldexp_f64 v[0:1], |v[2:3]|, v0
	s_delay_alu instid0(VALU_DEP_1) | instskip(SKIP_3) | instid1(VALU_DEP_1)
	v_rsq_f64_e32 v[10:11], v[0:1]
	s_waitcnt_depctr 0xfff
	v_mul_f64 v[12:13], v[0:1], v[10:11]
	v_mul_f64 v[10:11], v[10:11], 0.5
	v_fma_f64 v[17:18], -v[10:11], v[12:13], 0.5
	s_delay_alu instid0(VALU_DEP_1) | instskip(SKIP_1) | instid1(VALU_DEP_2)
	v_fma_f64 v[12:13], v[12:13], v[17:18], v[12:13]
	v_fma_f64 v[10:11], v[10:11], v[17:18], v[10:11]
	v_fma_f64 v[17:18], -v[12:13], v[12:13], v[0:1]
	s_delay_alu instid0(VALU_DEP_1) | instskip(NEXT) | instid1(VALU_DEP_1)
	v_fma_f64 v[12:13], v[17:18], v[10:11], v[12:13]
	v_fma_f64 v[17:18], -v[12:13], v[12:13], v[0:1]
	s_delay_alu instid0(VALU_DEP_1) | instskip(NEXT) | instid1(VALU_DEP_1)
	v_fma_f64 v[2:3], v[17:18], v[10:11], v[12:13]
	v_ldexp_f64 v[2:3], v[2:3], v9
	v_cndmask_b32_e32 v6, 0, v6, vcc_lo
	v_cmp_class_f64_e64 vcc_lo, v[0:1], 0x260
	s_delay_alu instid0(VALU_DEP_3) | instskip(NEXT) | instid1(VALU_DEP_3)
	v_cndmask_b32_e32 v1, v3, v1, vcc_lo
	v_mul_f64 v[4:5], v[6:7], v[4:5]
	v_cndmask_b32_e32 v0, v2, v0, vcc_lo
	s_delay_alu instid0(VALU_DEP_1) | instskip(NEXT) | instid1(VALU_DEP_1)
	v_div_scale_f64 v[2:3], null, v[0:1], v[0:1], v[4:5]
	v_rcp_f64_e32 v[6:7], v[2:3]
	s_waitcnt_depctr 0xfff
	v_fma_f64 v[9:10], -v[2:3], v[6:7], 1.0
	s_delay_alu instid0(VALU_DEP_1) | instskip(NEXT) | instid1(VALU_DEP_1)
	v_fma_f64 v[6:7], v[6:7], v[9:10], v[6:7]
	v_fma_f64 v[9:10], -v[2:3], v[6:7], 1.0
	s_delay_alu instid0(VALU_DEP_1) | instskip(SKIP_1) | instid1(VALU_DEP_1)
	v_fma_f64 v[6:7], v[6:7], v[9:10], v[6:7]
	v_div_scale_f64 v[9:10], vcc_lo, v[4:5], v[0:1], v[4:5]
	v_mul_f64 v[11:12], v[9:10], v[6:7]
	s_delay_alu instid0(VALU_DEP_1) | instskip(NEXT) | instid1(VALU_DEP_1)
	v_fma_f64 v[2:3], -v[2:3], v[11:12], v[9:10]
	v_div_fmas_f64 v[2:3], v[2:3], v[6:7], v[11:12]
	s_delay_alu instid0(VALU_DEP_1)
	v_div_fixup_f64 v[0:1], v[2:3], v[0:1], v[4:5]
.LBB8_1219:
	s_or_b32 exec_lo, exec_lo, s1
.LBB8_1220:
	s_delay_alu instid0(SALU_CYCLE_1) | instskip(SKIP_3) | instid1(VALU_DEP_1)
	s_or_b32 exec_lo, exec_lo, s0
	s_lshl_b32 s3, s3, 7
	v_cmp_gt_i16_e32 vcc_lo, 11, v16
	v_add_nc_u32_e32 v10, s3, v8
	v_ashrrev_i32_e32 v2, 31, v10
	v_add_co_u32 v4, s0, s6, v10
	s_delay_alu instid0(VALU_DEP_1)
	v_add_co_ci_u32_e64 v5, s0, s7, v2, s0
	s_cbranch_vccnz .LBB8_1227
; %bb.1221:
	v_cmp_lt_i16_e32 vcc_lo, 25, v16
	s_mov_b32 s12, 0
	s_cbranch_vccz .LBB8_1233
; %bb.1222:
	v_cmp_lt_i16_e32 vcc_lo, 28, v16
	s_cbranch_vccz .LBB8_1235
; %bb.1223:
	v_cmp_lt_i16_e32 vcc_lo, 43, v16
	;; [unrolled: 3-line block ×3, first 2 shown]
	s_cbranch_vccz .LBB8_1243
; %bb.1225:
	v_cmp_eq_u16_e32 vcc_lo, 46, v16
	s_mov_b32 s1, 0
	s_cbranch_vccz .LBB8_1287
; %bb.1226:
	global_load_b32 v2, v[4:5], off
	s_mov_b32 s11, 0
	s_mov_b32 s0, -1
	s_waitcnt vmcnt(0)
	v_lshlrev_b32_e32 v2, 16, v2
	s_delay_alu instid0(VALU_DEP_1)
	v_cvt_f64_f32_e32 v[2:3], v2
	s_branch .LBB8_1289
.LBB8_1227:
	s_mov_b32 s0, 0
                                        ; implicit-def: $vgpr2_vgpr3
	s_cbranch_execz .LBB8_1354
; %bb.1228:
	v_cmp_gt_i16_e32 vcc_lo, 5, v16
	s_cbranch_vccnz .LBB8_1234
; %bb.1229:
	v_cmp_gt_i16_e32 vcc_lo, 8, v16
	s_cbranch_vccnz .LBB8_1236
	;; [unrolled: 3-line block ×3, first 2 shown]
; %bb.1231:
	v_cmp_lt_i16_e32 vcc_lo, 9, v16
	s_cbranch_vccz .LBB8_1244
; %bb.1232:
	global_load_b64 v[2:3], v[4:5], off
	s_mov_b32 s0, 0
	s_branch .LBB8_1245
.LBB8_1233:
	s_mov_b32 s0, 0
	s_mov_b32 s11, 0
                                        ; implicit-def: $vgpr2_vgpr3
	s_cbranch_execnz .LBB8_1320
	s_branch .LBB8_1350
.LBB8_1234:
                                        ; implicit-def: $vgpr2_vgpr3
	s_branch .LBB8_1263
.LBB8_1235:
	s_mov_b32 s1, -1
	s_mov_b32 s0, 0
	s_mov_b32 s11, 0
                                        ; implicit-def: $vgpr2_vgpr3
	s_branch .LBB8_1299
.LBB8_1236:
	s_mov_b32 s0, -1
                                        ; implicit-def: $vgpr2_vgpr3
	s_branch .LBB8_1251
.LBB8_1237:
	s_mov_b32 s1, -1
	s_mov_b32 s0, 0
	s_mov_b32 s11, 0
                                        ; implicit-def: $vgpr2_vgpr3
	s_branch .LBB8_1294
.LBB8_1238:
	s_mov_b32 s0, -1
                                        ; implicit-def: $vgpr2_vgpr3
	s_branch .LBB8_1248
.LBB8_1239:
	s_cbranch_execnz .LBB8_1283
; %bb.1240:
	s_or_b32 s8, s10, exec_lo
                                        ; implicit-def: $vgpr2_vgpr3
	s_cbranch_execz .LBB8_1205
	s_branch .LBB8_1206
.LBB8_1241:
	s_or_saveexec_b32 s14, s14
                                        ; implicit-def: $sgpr15
	s_delay_alu instid0(SALU_CYCLE_1)
	s_xor_b32 exec_lo, exec_lo, s14
	s_cbranch_execz .LBB8_991
.LBB8_1242:
	v_add_f32_e64 v3, 0x46000000, |v2|
	s_and_not1_b32 s13, s13, exec_lo
	s_mov_b32 s15, 0
	s_delay_alu instid0(VALU_DEP_1) | instskip(NEXT) | instid1(VALU_DEP_1)
	v_and_b32_e32 v3, 0xff, v3
	v_cmp_ne_u32_e32 vcc_lo, 0, v3
	s_and_b32 s16, vcc_lo, exec_lo
	s_delay_alu instid0(SALU_CYCLE_1)
	s_or_b32 s13, s13, s16
	s_or_b32 exec_lo, exec_lo, s14
	v_mov_b32_e32 v7, s15
	s_and_saveexec_b32 s14, s13
	s_cbranch_execnz .LBB8_992
	s_branch .LBB8_993
.LBB8_1243:
	s_mov_b32 s1, -1
	s_mov_b32 s0, 0
	s_mov_b32 s11, 0
	s_branch .LBB8_1288
.LBB8_1244:
	s_mov_b32 s0, -1
                                        ; implicit-def: $vgpr2_vgpr3
.LBB8_1245:
	s_delay_alu instid0(SALU_CYCLE_1)
	s_and_not1_b32 vcc_lo, exec_lo, s0
	s_cbranch_vccnz .LBB8_1247
; %bb.1246:
	global_load_b32 v2, v[4:5], off
	s_waitcnt vmcnt(0)
	v_cvt_f64_f32_e32 v[2:3], v2
.LBB8_1247:
	s_mov_b32 s0, 0
.LBB8_1248:
	s_delay_alu instid0(SALU_CYCLE_1)
	s_and_not1_b32 vcc_lo, exec_lo, s0
	s_cbranch_vccnz .LBB8_1250
; %bb.1249:
	global_load_b32 v2, v[4:5], off
	s_waitcnt vmcnt(0)
	v_cvt_f32_f16_e32 v2, v2
	s_delay_alu instid0(VALU_DEP_1)
	v_cvt_f64_f32_e32 v[2:3], v2
.LBB8_1250:
	s_mov_b32 s0, 0
.LBB8_1251:
	s_delay_alu instid0(SALU_CYCLE_1)
	s_and_not1_b32 vcc_lo, exec_lo, s0
	s_cbranch_vccnz .LBB8_1262
; %bb.1252:
	v_cmp_gt_i16_e32 vcc_lo, 6, v16
	s_cbranch_vccnz .LBB8_1255
; %bb.1253:
	v_cmp_lt_i16_e32 vcc_lo, 6, v16
	s_cbranch_vccz .LBB8_1256
; %bb.1254:
	global_load_b64 v[2:3], v[4:5], off
	s_mov_b32 s0, 0
	s_branch .LBB8_1257
.LBB8_1255:
	s_mov_b32 s0, -1
                                        ; implicit-def: $vgpr2_vgpr3
	s_branch .LBB8_1260
.LBB8_1256:
	s_mov_b32 s0, -1
                                        ; implicit-def: $vgpr2_vgpr3
.LBB8_1257:
	s_delay_alu instid0(SALU_CYCLE_1)
	s_and_not1_b32 vcc_lo, exec_lo, s0
	s_cbranch_vccnz .LBB8_1259
; %bb.1258:
	global_load_b32 v2, v[4:5], off
	s_waitcnt vmcnt(0)
	v_cvt_f64_f32_e32 v[2:3], v2
.LBB8_1259:
	s_mov_b32 s0, 0
.LBB8_1260:
	s_delay_alu instid0(SALU_CYCLE_1)
	s_and_not1_b32 vcc_lo, exec_lo, s0
	s_cbranch_vccnz .LBB8_1262
; %bb.1261:
	global_load_u16 v2, v[4:5], off
	s_waitcnt vmcnt(0)
	v_cvt_f32_f16_e32 v2, v2
	s_delay_alu instid0(VALU_DEP_1)
	v_cvt_f64_f32_e32 v[2:3], v2
.LBB8_1262:
	s_cbranch_execnz .LBB8_1282
.LBB8_1263:
	v_cmp_gt_i16_e32 vcc_lo, 2, v16
	s_cbranch_vccnz .LBB8_1267
; %bb.1264:
	v_cmp_gt_i16_e32 vcc_lo, 3, v16
	s_cbranch_vccnz .LBB8_1268
; %bb.1265:
	v_cmp_lt_i16_e32 vcc_lo, 3, v16
	s_cbranch_vccz .LBB8_1269
; %bb.1266:
	global_load_b64 v[2:3], v[4:5], off
	s_mov_b32 s0, 0
	s_waitcnt vmcnt(0)
	v_cvt_f64_i32_e32 v[6:7], v3
	v_cvt_f64_u32_e32 v[2:3], v2
	s_delay_alu instid0(VALU_DEP_2) | instskip(NEXT) | instid1(VALU_DEP_1)
	v_ldexp_f64 v[6:7], v[6:7], 32
	v_add_f64 v[2:3], v[6:7], v[2:3]
	s_branch .LBB8_1270
.LBB8_1267:
	s_mov_b32 s0, -1
                                        ; implicit-def: $vgpr2_vgpr3
	s_branch .LBB8_1276
.LBB8_1268:
	s_mov_b32 s0, -1
                                        ; implicit-def: $vgpr2_vgpr3
	s_branch .LBB8_1273
.LBB8_1269:
	s_mov_b32 s0, -1
                                        ; implicit-def: $vgpr2_vgpr3
.LBB8_1270:
	s_delay_alu instid0(SALU_CYCLE_1)
	s_and_not1_b32 vcc_lo, exec_lo, s0
	s_cbranch_vccnz .LBB8_1272
; %bb.1271:
	global_load_b32 v2, v[4:5], off
	s_waitcnt vmcnt(0)
	v_cvt_f64_i32_e32 v[2:3], v2
.LBB8_1272:
	s_mov_b32 s0, 0
.LBB8_1273:
	s_delay_alu instid0(SALU_CYCLE_1)
	s_and_not1_b32 vcc_lo, exec_lo, s0
	s_cbranch_vccnz .LBB8_1275
; %bb.1274:
	global_load_i16 v2, v[4:5], off
	s_waitcnt vmcnt(0)
	v_cvt_f64_i32_e32 v[2:3], v2
.LBB8_1275:
	s_mov_b32 s0, 0
.LBB8_1276:
	s_delay_alu instid0(SALU_CYCLE_1)
	s_and_not1_b32 vcc_lo, exec_lo, s0
	s_cbranch_vccnz .LBB8_1282
; %bb.1277:
	v_cmp_lt_i16_e32 vcc_lo, 0, v16
	s_mov_b32 s0, 0
	s_cbranch_vccz .LBB8_1279
; %bb.1278:
	global_load_i8 v2, v[4:5], off
	s_waitcnt vmcnt(0)
	v_cvt_f64_i32_e32 v[2:3], v2
	s_branch .LBB8_1280
.LBB8_1279:
	s_mov_b32 s0, -1
                                        ; implicit-def: $vgpr2_vgpr3
.LBB8_1280:
	s_delay_alu instid0(SALU_CYCLE_1)
	s_and_not1_b32 vcc_lo, exec_lo, s0
	s_cbranch_vccnz .LBB8_1282
; %bb.1281:
	global_load_u8 v2, v[4:5], off
	s_waitcnt vmcnt(0)
	v_cvt_f64_u32_e32 v[2:3], v2
.LBB8_1282:
	s_branch .LBB8_1355
.LBB8_1283:
	s_trap 2
	s_sendmsg_rtn_b32 s0, sendmsg(MSG_RTN_GET_DOORBELL)
	s_mov_b32 ttmp2, m0
	s_waitcnt lgkmcnt(0)
	s_and_b32 s0, s0, 0x3ff
	s_delay_alu instid0(SALU_CYCLE_1) | instskip(NEXT) | instid1(SALU_CYCLE_1)
	s_bitset1_b32 s0, 10
	s_mov_b32 m0, s0
	s_sendmsg sendmsg(MSG_INTERRUPT)
	s_mov_b32 m0, ttmp2
.LBB8_1284:                             ; =>This Inner Loop Header: Depth=1
	s_sethalt 5
	s_branch .LBB8_1284
.LBB8_1285:
	s_or_saveexec_b32 s15, s15
                                        ; implicit-def: $sgpr16
	s_delay_alu instid0(SALU_CYCLE_1)
	s_xor_b32 exec_lo, exec_lo, s15
	s_cbranch_execz .LBB8_1003
.LBB8_1286:
	v_add_f32_e64 v3, 0x42800000, |v2|
	s_and_not1_b32 s14, s14, exec_lo
	s_mov_b32 s16, 0
	s_delay_alu instid0(VALU_DEP_1) | instskip(NEXT) | instid1(VALU_DEP_1)
	v_and_b32_e32 v3, 0xff, v3
	v_cmp_ne_u32_e32 vcc_lo, 0, v3
	s_and_b32 s17, vcc_lo, exec_lo
	s_delay_alu instid0(SALU_CYCLE_1)
	s_or_b32 s14, s14, s17
	s_or_b32 exec_lo, exec_lo, s15
	v_mov_b32_e32 v7, s16
	s_and_saveexec_b32 s15, s14
	s_cbranch_execnz .LBB8_1004
	s_branch .LBB8_1005
.LBB8_1287:
	s_mov_b32 s11, -1
	s_mov_b32 s0, 0
.LBB8_1288:
                                        ; implicit-def: $vgpr2_vgpr3
.LBB8_1289:
	s_and_b32 vcc_lo, exec_lo, s1
	s_cbranch_vccz .LBB8_1293
; %bb.1290:
	v_cmp_eq_u16_e32 vcc_lo, 44, v16
	s_cbranch_vccz .LBB8_1292
; %bb.1291:
	global_load_u8 v6, v[4:5], off
	s_mov_b32 s11, 0
	s_mov_b32 s0, -1
	s_waitcnt vmcnt(0)
	v_cmp_ne_u32_e32 vcc_lo, 0xff, v6
	v_lshlrev_b32_e32 v2, 23, v6
	s_delay_alu instid0(VALU_DEP_1) | instskip(NEXT) | instid1(VALU_DEP_1)
	v_cvt_f64_f32_e32 v[2:3], v2
	v_cndmask_b32_e32 v3, 0x7ff80000, v3, vcc_lo
	s_delay_alu instid0(VALU_DEP_2) | instskip(SKIP_1) | instid1(VALU_DEP_3)
	v_cndmask_b32_e32 v2, 0x20000000, v2, vcc_lo
	v_cmp_ne_u32_e32 vcc_lo, 0, v6
	v_cndmask_b32_e32 v3, 0x38000000, v3, vcc_lo
	s_delay_alu instid0(VALU_DEP_3)
	v_cndmask_b32_e32 v2, 0, v2, vcc_lo
	s_branch .LBB8_1293
.LBB8_1292:
	s_mov_b32 s11, -1
                                        ; implicit-def: $vgpr2_vgpr3
.LBB8_1293:
	s_mov_b32 s1, 0
.LBB8_1294:
	s_delay_alu instid0(SALU_CYCLE_1)
	s_and_b32 vcc_lo, exec_lo, s1
	s_cbranch_vccz .LBB8_1298
; %bb.1295:
	v_cmp_eq_u16_e32 vcc_lo, 29, v16
	s_cbranch_vccz .LBB8_1297
; %bb.1296:
	global_load_b64 v[2:3], v[4:5], off
	s_mov_b32 s11, 0
	s_mov_b32 s0, -1
	s_mov_b32 s1, 0
	s_waitcnt vmcnt(0)
	v_cvt_f64_u32_e32 v[6:7], v3
	v_cvt_f64_u32_e32 v[2:3], v2
	s_delay_alu instid0(VALU_DEP_2) | instskip(NEXT) | instid1(VALU_DEP_1)
	v_ldexp_f64 v[6:7], v[6:7], 32
	v_add_f64 v[2:3], v[6:7], v[2:3]
	s_branch .LBB8_1299
.LBB8_1297:
	s_mov_b32 s11, -1
                                        ; implicit-def: $vgpr2_vgpr3
.LBB8_1298:
	s_mov_b32 s1, 0
.LBB8_1299:
	s_delay_alu instid0(SALU_CYCLE_1)
	s_and_b32 vcc_lo, exec_lo, s1
	s_cbranch_vccz .LBB8_1319
; %bb.1300:
	v_cmp_gt_i16_e32 vcc_lo, 27, v16
	s_cbranch_vccnz .LBB8_1303
; %bb.1301:
	v_cmp_lt_i16_e32 vcc_lo, 27, v16
	s_cbranch_vccz .LBB8_1304
; %bb.1302:
	global_load_b32 v2, v[4:5], off
	s_mov_b32 s0, 0
	s_waitcnt vmcnt(0)
	v_cvt_f64_u32_e32 v[2:3], v2
	s_branch .LBB8_1305
.LBB8_1303:
	s_mov_b32 s0, -1
                                        ; implicit-def: $vgpr2_vgpr3
	s_branch .LBB8_1308
.LBB8_1304:
	s_mov_b32 s0, -1
                                        ; implicit-def: $vgpr2_vgpr3
.LBB8_1305:
	s_delay_alu instid0(SALU_CYCLE_1)
	s_and_not1_b32 vcc_lo, exec_lo, s0
	s_cbranch_vccnz .LBB8_1307
; %bb.1306:
	global_load_u16 v2, v[4:5], off
	s_waitcnt vmcnt(0)
	v_cvt_f64_u32_e32 v[2:3], v2
.LBB8_1307:
	s_mov_b32 s0, 0
.LBB8_1308:
	s_delay_alu instid0(SALU_CYCLE_1)
	s_and_not1_b32 vcc_lo, exec_lo, s0
	s_cbranch_vccnz .LBB8_1318
; %bb.1309:
	global_load_u8 v6, v[4:5], off
	s_mov_b32 s13, 0
	s_mov_b32 s14, exec_lo
                                        ; implicit-def: $sgpr0_sgpr1
	s_waitcnt vmcnt(0)
	v_cmpx_lt_i16_e32 0x7f, v6
	s_xor_b32 s14, exec_lo, s14
	s_cbranch_execz .LBB8_1313
; %bb.1310:
	s_mov_b32 s15, -1
	s_mov_b32 s13, exec_lo
                                        ; implicit-def: $sgpr0_sgpr1
	v_cmpx_eq_u16_e32 0x80, v6
; %bb.1311:
	s_mov_b32 s1, 0x7ff80000
	s_brev_b32 s0, 4
	s_xor_b32 s15, exec_lo, -1
; %bb.1312:
	s_or_b32 exec_lo, exec_lo, s13
	s_delay_alu instid0(SALU_CYCLE_1)
	s_and_b32 s13, s15, exec_lo
.LBB8_1313:
	s_or_saveexec_b32 s14, s14
	v_dual_mov_b32 v3, s1 :: v_dual_mov_b32 v2, s0
	s_xor_b32 exec_lo, exec_lo, s14
; %bb.1314:
	v_cmp_ne_u16_e32 vcc_lo, 0, v6
	v_mov_b32_e32 v2, 0
	v_mov_b32_e32 v3, 0
	s_and_not1_b32 s0, s13, exec_lo
	s_and_b32 s1, vcc_lo, exec_lo
	s_delay_alu instid0(SALU_CYCLE_1)
	s_or_b32 s13, s0, s1
; %bb.1315:
	s_or_b32 exec_lo, exec_lo, s14
	s_and_saveexec_b32 s0, s13
	s_cbranch_execz .LBB8_1317
; %bb.1316:
	v_and_b32_e32 v2, 0xffff, v6
	v_lshlrev_b32_e32 v6, 24, v6
	s_delay_alu instid0(VALU_DEP_2) | instskip(NEXT) | instid1(VALU_DEP_2)
	v_and_b32_e32 v3, 7, v2
	v_and_b32_e32 v6, 0x80000000, v6
	s_delay_alu instid0(VALU_DEP_2) | instskip(NEXT) | instid1(VALU_DEP_1)
	v_clz_i32_u32_e32 v7, v3
	v_min_u32_e32 v7, 32, v7
	s_delay_alu instid0(VALU_DEP_1) | instskip(SKIP_1) | instid1(VALU_DEP_2)
	v_subrev_nc_u32_e32 v8, 28, v7
	v_sub_nc_u32_e32 v7, 29, v7
	v_lshlrev_b32_e32 v8, v8, v2
	v_bfe_u32 v2, v2, 3, 4
	s_delay_alu instid0(VALU_DEP_2) | instskip(NEXT) | instid1(VALU_DEP_2)
	v_and_b32_e32 v8, 7, v8
	v_cmp_eq_u32_e32 vcc_lo, 0, v2
	s_delay_alu instid0(VALU_DEP_2) | instskip(NEXT) | instid1(VALU_DEP_1)
	v_dual_cndmask_b32 v2, v2, v7 :: v_dual_cndmask_b32 v3, v3, v8
	v_lshl_add_u32 v2, v2, 23, 0x3b800000
	s_delay_alu instid0(VALU_DEP_2) | instskip(NEXT) | instid1(VALU_DEP_1)
	v_lshlrev_b32_e32 v3, 20, v3
	v_or3_b32 v2, v6, v2, v3
	s_delay_alu instid0(VALU_DEP_1)
	v_cvt_f64_f32_e32 v[2:3], v2
.LBB8_1317:
	s_or_b32 exec_lo, exec_lo, s0
.LBB8_1318:
	s_mov_b32 s0, -1
.LBB8_1319:
	s_branch .LBB8_1350
.LBB8_1320:
	v_cmp_lt_i16_e32 vcc_lo, 22, v16
	s_cbranch_vccz .LBB8_1332
; %bb.1321:
	v_cmp_gt_i16_e32 vcc_lo, 24, v16
	s_cbranch_vccnz .LBB8_1333
; %bb.1322:
	v_cmp_lt_i16_e32 vcc_lo, 24, v16
	s_cbranch_vccz .LBB8_1334
; %bb.1323:
	global_load_u8 v6, v[4:5], off
	s_mov_b32 s13, exec_lo
                                        ; implicit-def: $sgpr0_sgpr1
	s_waitcnt vmcnt(0)
	v_cmpx_lt_i16_e32 0x7f, v6
	s_xor_b32 s13, exec_lo, s13
	s_cbranch_execz .LBB8_1327
; %bb.1324:
	s_mov_b32 s14, -1
	s_mov_b32 s12, exec_lo
                                        ; implicit-def: $sgpr0_sgpr1
	v_cmpx_eq_u16_e32 0x80, v6
; %bb.1325:
	s_mov_b32 s1, 0x7ff80000
	s_brev_b32 s0, 4
	s_xor_b32 s14, exec_lo, -1
; %bb.1326:
	s_or_b32 exec_lo, exec_lo, s12
	s_delay_alu instid0(SALU_CYCLE_1)
	s_and_b32 s12, s14, exec_lo
.LBB8_1327:
	s_or_saveexec_b32 s13, s13
	v_dual_mov_b32 v3, s1 :: v_dual_mov_b32 v2, s0
	s_xor_b32 exec_lo, exec_lo, s13
; %bb.1328:
	v_cmp_ne_u16_e32 vcc_lo, 0, v6
	v_mov_b32_e32 v2, 0
	v_mov_b32_e32 v3, 0
	s_and_not1_b32 s0, s12, exec_lo
	s_and_b32 s1, vcc_lo, exec_lo
	s_delay_alu instid0(SALU_CYCLE_1)
	s_or_b32 s12, s0, s1
; %bb.1329:
	s_or_b32 exec_lo, exec_lo, s13
	s_and_saveexec_b32 s0, s12
	s_cbranch_execz .LBB8_1331
; %bb.1330:
	v_and_b32_e32 v2, 0xffff, v6
	v_lshlrev_b32_e32 v6, 24, v6
	s_delay_alu instid0(VALU_DEP_2) | instskip(NEXT) | instid1(VALU_DEP_2)
	v_and_b32_e32 v3, 3, v2
	v_and_b32_e32 v6, 0x80000000, v6
	s_delay_alu instid0(VALU_DEP_2) | instskip(NEXT) | instid1(VALU_DEP_1)
	v_clz_i32_u32_e32 v7, v3
	v_min_u32_e32 v7, 32, v7
	s_delay_alu instid0(VALU_DEP_1) | instskip(SKIP_1) | instid1(VALU_DEP_2)
	v_subrev_nc_u32_e32 v8, 29, v7
	v_sub_nc_u32_e32 v7, 30, v7
	v_lshlrev_b32_e32 v8, v8, v2
	v_bfe_u32 v2, v2, 2, 5
	s_delay_alu instid0(VALU_DEP_2) | instskip(NEXT) | instid1(VALU_DEP_2)
	v_and_b32_e32 v8, 3, v8
	v_cmp_eq_u32_e32 vcc_lo, 0, v2
	s_delay_alu instid0(VALU_DEP_2) | instskip(NEXT) | instid1(VALU_DEP_1)
	v_dual_cndmask_b32 v2, v2, v7 :: v_dual_cndmask_b32 v3, v3, v8
	v_lshl_add_u32 v2, v2, 23, 0x37800000
	s_delay_alu instid0(VALU_DEP_2) | instskip(NEXT) | instid1(VALU_DEP_1)
	v_lshlrev_b32_e32 v3, 21, v3
	v_or3_b32 v2, v6, v2, v3
	s_delay_alu instid0(VALU_DEP_1)
	v_cvt_f64_f32_e32 v[2:3], v2
.LBB8_1331:
	s_or_b32 exec_lo, exec_lo, s0
	s_mov_b32 s0, 0
	s_branch .LBB8_1335
.LBB8_1332:
	s_mov_b32 s1, -1
                                        ; implicit-def: $vgpr2_vgpr3
	s_branch .LBB8_1341
.LBB8_1333:
	s_mov_b32 s0, -1
                                        ; implicit-def: $vgpr2_vgpr3
	s_branch .LBB8_1338
.LBB8_1334:
	s_mov_b32 s0, -1
                                        ; implicit-def: $vgpr2_vgpr3
.LBB8_1335:
	s_delay_alu instid0(SALU_CYCLE_1)
	s_and_b32 vcc_lo, exec_lo, s0
	s_cbranch_vccz .LBB8_1337
; %bb.1336:
	global_load_u8 v2, v[4:5], off
	s_waitcnt vmcnt(0)
	v_lshlrev_b32_e32 v2, 24, v2
	s_delay_alu instid0(VALU_DEP_1) | instskip(NEXT) | instid1(VALU_DEP_1)
	v_and_b32_e32 v3, 0x7f000000, v2
	v_clz_i32_u32_e32 v6, v3
	v_cmp_ne_u32_e32 vcc_lo, 0, v3
	v_add_nc_u32_e32 v8, 0x1000000, v3
	s_delay_alu instid0(VALU_DEP_3) | instskip(NEXT) | instid1(VALU_DEP_1)
	v_min_u32_e32 v6, 32, v6
	v_sub_nc_u32_e64 v6, v6, 4 clamp
	s_delay_alu instid0(VALU_DEP_1) | instskip(SKIP_1) | instid1(VALU_DEP_2)
	v_lshlrev_b32_e32 v7, v6, v3
	v_lshlrev_b32_e32 v6, 23, v6
	v_lshrrev_b32_e32 v7, 4, v7
	s_delay_alu instid0(VALU_DEP_1) | instskip(SKIP_1) | instid1(VALU_DEP_2)
	v_sub_nc_u32_e32 v6, v7, v6
	v_ashrrev_i32_e32 v7, 8, v8
	v_add_nc_u32_e32 v6, 0x3c000000, v6
	s_delay_alu instid0(VALU_DEP_1) | instskip(NEXT) | instid1(VALU_DEP_1)
	v_and_or_b32 v6, 0x7f800000, v7, v6
	v_cndmask_b32_e32 v3, 0, v6, vcc_lo
	s_delay_alu instid0(VALU_DEP_1) | instskip(NEXT) | instid1(VALU_DEP_1)
	v_and_or_b32 v2, 0x80000000, v2, v3
	v_cvt_f64_f32_e32 v[2:3], v2
.LBB8_1337:
	s_mov_b32 s0, 0
.LBB8_1338:
	s_delay_alu instid0(SALU_CYCLE_1)
	s_and_not1_b32 vcc_lo, exec_lo, s0
	s_cbranch_vccnz .LBB8_1340
; %bb.1339:
	global_load_u8 v2, v[4:5], off
	s_waitcnt vmcnt(0)
	v_lshlrev_b32_e32 v3, 25, v2
	v_lshlrev_b16 v2, 8, v2
	s_delay_alu instid0(VALU_DEP_2) | instskip(NEXT) | instid1(VALU_DEP_2)
	v_lshrrev_b32_e32 v6, 4, v3
	v_and_or_b32 v7, 0x7f00, v2, 0.5
	v_cmp_gt_u32_e32 vcc_lo, 0x8000000, v3
	v_bfe_i32 v2, v2, 0, 16
	s_delay_alu instid0(VALU_DEP_4) | instskip(NEXT) | instid1(VALU_DEP_1)
	v_or_b32_e32 v6, 0x70000000, v6
	v_dual_add_f32 v7, -0.5, v7 :: v_dual_mul_f32 v6, 0x7800000, v6
	s_delay_alu instid0(VALU_DEP_1) | instskip(NEXT) | instid1(VALU_DEP_1)
	v_cndmask_b32_e32 v3, v6, v7, vcc_lo
	v_and_or_b32 v2, 0x80000000, v2, v3
	s_delay_alu instid0(VALU_DEP_1)
	v_cvt_f64_f32_e32 v[2:3], v2
.LBB8_1340:
	s_mov_b32 s1, 0
	s_mov_b32 s0, -1
.LBB8_1341:
	s_and_not1_b32 vcc_lo, exec_lo, s1
	s_mov_b32 s12, 0
	s_cbranch_vccnz .LBB8_1350
; %bb.1342:
	v_cmp_lt_i16_e32 vcc_lo, 14, v16
	s_cbranch_vccz .LBB8_1345
; %bb.1343:
	v_cmp_eq_u16_e32 vcc_lo, 15, v16
	s_cbranch_vccz .LBB8_1346
; %bb.1344:
	global_load_u16 v2, v[4:5], off
	s_mov_b32 s11, 0
	s_mov_b32 s0, -1
	s_waitcnt vmcnt(0)
	v_lshlrev_b32_e32 v2, 16, v2
	s_delay_alu instid0(VALU_DEP_1)
	v_cvt_f64_f32_e32 v[2:3], v2
	s_branch .LBB8_1347
.LBB8_1345:
	s_mov_b32 s1, -1
                                        ; implicit-def: $vgpr2_vgpr3
	s_branch .LBB8_1348
.LBB8_1346:
	s_mov_b32 s11, -1
                                        ; implicit-def: $vgpr2_vgpr3
.LBB8_1347:
	s_mov_b32 s1, 0
.LBB8_1348:
	s_delay_alu instid0(SALU_CYCLE_1)
	s_and_b32 vcc_lo, exec_lo, s1
	s_cbranch_vccz .LBB8_1350
; %bb.1349:
	v_cmp_ne_u16_e64 s11, 11, v16
	s_mov_b32 s12, -1
                                        ; implicit-def: $vgpr2_vgpr3
.LBB8_1350:
	s_delay_alu instid0(VALU_DEP_1)
	s_and_b32 vcc_lo, exec_lo, s11
	s_cbranch_vccnz .LBB8_1386
; %bb.1351:
	s_and_not1_b32 vcc_lo, exec_lo, s12
	s_cbranch_vccnz .LBB8_1353
.LBB8_1352:
	global_load_u8 v2, v[4:5], off
	s_mov_b32 s0, -1
	s_waitcnt vmcnt(0)
	v_cmp_ne_u16_e32 vcc_lo, 0, v2
	v_mov_b32_e32 v2, 0
	v_cndmask_b32_e64 v3, 0, 0x3ff00000, vcc_lo
.LBB8_1353:
.LBB8_1354:
	s_and_not1_b32 vcc_lo, exec_lo, s0
	s_cbranch_vccnz .LBB8_1736
.LBB8_1355:
	s_waitcnt vmcnt(0)
	s_delay_alu instid0(VALU_DEP_1) | instskip(NEXT) | instid1(VALU_DEP_1)
	v_cmp_ge_f64_e64 s0, 0x40200000, |v[2:3]|
                                        ; implicit-def: $vgpr4_vgpr5
	s_and_saveexec_b32 s1, s0
	s_delay_alu instid0(SALU_CYCLE_1)
	s_xor_b32 s0, exec_lo, s1
	s_cbranch_execz .LBB8_1361
; %bb.1356:
	v_fma_f64 v[4:5], |v[2:3]|, 0.5, -2.0
	s_mov_b32 s12, 0xc38a0576
	s_mov_b32 s13, 0xbc7857d0
	;; [unrolled: 1-line block ×4, first 2 shown]
	s_mov_b32 s1, exec_lo
	s_delay_alu instid0(VALU_DEP_1) | instskip(SKIP_3) | instid1(VALU_DEP_1)
	v_fma_f64 v[6:7], v[4:5], s[14:15], s[12:13]
	s_mov_b32 s15, 0xbc499f2a
	s_mov_b32 s12, 0xe593bfac
	;; [unrolled: 1-line block ×3, first 2 shown]
	v_fma_f64 v[8:9], v[4:5], v[6:7], s[14:15]
	s_delay_alu instid0(VALU_DEP_1) | instskip(SKIP_2) | instid1(VALU_DEP_1)
	v_add_f64 v[8:9], v[8:9], s[12:13]
	s_mov_b32 s12, 0x7e0d1573
	s_mov_b32 s13, 0xbcd3eaaa
	v_fma_f64 v[6:7], v[4:5], v[8:9], -v[6:7]
	s_delay_alu instid0(VALU_DEP_1) | instskip(SKIP_2) | instid1(VALU_DEP_1)
	v_add_f64 v[6:7], v[6:7], s[12:13]
	s_mov_b32 s12, 0x615290c
	s_mov_b32 s13, 0x3d011d7f
	v_fma_f64 v[8:9], v[4:5], v[6:7], -v[8:9]
	;; [unrolled: 5-line block ×26, first 2 shown]
	s_delay_alu instid0(VALU_DEP_1) | instskip(NEXT) | instid1(VALU_DEP_1)
	v_add_f64 v[4:5], v[4:5], s[12:13]
	v_add_f64 v[6:7], v[4:5], -v[8:9]
                                        ; implicit-def: $vgpr4_vgpr5
	v_cmpx_ngt_f64_e32 0, v[2:3]
	s_xor_b32 s1, exec_lo, s1
	s_cbranch_execz .LBB8_1358
; %bb.1357:
	s_mov_b32 s12, 0x652b82fe
	s_mov_b32 s13, 0x3ff71547
	;; [unrolled: 1-line block ×3, first 2 shown]
	v_mul_f64 v[4:5], |v[2:3]|, s[12:13]
	s_mov_b32 s12, 0xfefa39ef
	s_mov_b32 s13, 0xbfe62e42
	;; [unrolled: 1-line block ×3, first 2 shown]
	s_delay_alu instid0(VALU_DEP_3) | instskip(SKIP_1) | instid1(VALU_DEP_3)
	v_mul_f64 v[6:7], v[6:7], 0.5
	v_cmp_nlt_f64_e64 vcc_lo, 0x40900000, |v[2:3]|
	v_rndne_f64_e32 v[4:5], v[4:5]
	s_delay_alu instid0(VALU_DEP_1) | instskip(SKIP_4) | instid1(VALU_DEP_3)
	v_fma_f64 v[8:9], v[4:5], s[12:13], |v[2:3]|
	s_mov_b32 s12, 0x3b39803f
	s_mov_b32 s13, 0xbc7abc9e
	v_cvt_i32_f64_e32 v13, v[4:5]
	v_mul_f64 v[2:3], |v[2:3]|, v[6:7]
                                        ; implicit-def: $vgpr6_vgpr7
	v_fma_f64 v[8:9], v[4:5], s[12:13], v[8:9]
	s_mov_b32 s12, 0xfca7ab0c
	s_mov_b32 s13, 0x3e928af3
	s_delay_alu instid0(VALU_DEP_1) | instid1(SALU_CYCLE_1)
	v_fma_f64 v[11:12], v[8:9], s[14:15], s[12:13]
	s_mov_b32 s12, 0x623fde64
	s_mov_b32 s13, 0x3ec71dee
	s_delay_alu instid0(VALU_DEP_1) | instid1(SALU_CYCLE_1)
	v_fma_f64 v[11:12], v[8:9], v[11:12], s[12:13]
	s_mov_b32 s12, 0x7c89e6b0
	s_mov_b32 s13, 0x3efa0199
	s_delay_alu instid0(VALU_DEP_1) | instid1(SALU_CYCLE_1)
	v_fma_f64 v[11:12], v[8:9], v[11:12], s[12:13]
	s_mov_b32 s12, 0x14761f6e
	s_mov_b32 s13, 0x3f2a01a0
	s_delay_alu instid0(VALU_DEP_1) | instid1(SALU_CYCLE_1)
	v_fma_f64 v[11:12], v[8:9], v[11:12], s[12:13]
	s_mov_b32 s12, 0x1852b7b0
	s_mov_b32 s13, 0x3f56c16c
	s_delay_alu instid0(VALU_DEP_1) | instid1(SALU_CYCLE_1)
	v_fma_f64 v[11:12], v[8:9], v[11:12], s[12:13]
	s_mov_b32 s12, 0x11122322
	s_mov_b32 s13, 0x3f811111
	s_delay_alu instid0(VALU_DEP_1) | instid1(SALU_CYCLE_1)
	v_fma_f64 v[11:12], v[8:9], v[11:12], s[12:13]
	s_mov_b32 s12, 0x555502a1
	s_mov_b32 s13, 0x3fa55555
	s_delay_alu instid0(VALU_DEP_1) | instid1(SALU_CYCLE_1)
	v_fma_f64 v[11:12], v[8:9], v[11:12], s[12:13]
	s_mov_b32 s12, 0x55555511
	s_mov_b32 s13, 0x3fc55555
	s_delay_alu instid0(VALU_DEP_1) | instid1(SALU_CYCLE_1)
	v_fma_f64 v[11:12], v[8:9], v[11:12], s[12:13]
	s_mov_b32 s12, 11
	s_mov_b32 s13, 0x3fe00000
	s_delay_alu instid0(VALU_DEP_1) | instid1(SALU_CYCLE_1)
	v_fma_f64 v[11:12], v[8:9], v[11:12], s[12:13]
	s_delay_alu instid0(VALU_DEP_1) | instskip(NEXT) | instid1(VALU_DEP_1)
	v_fma_f64 v[11:12], v[8:9], v[11:12], 1.0
	v_fma_f64 v[4:5], v[8:9], v[11:12], 1.0
	s_delay_alu instid0(VALU_DEP_1) | instskip(NEXT) | instid1(VALU_DEP_1)
	v_ldexp_f64 v[4:5], v[4:5], v13
	v_cndmask_b32_e32 v5, 0x7ff00000, v5, vcc_lo
	s_delay_alu instid0(VALU_DEP_2) | instskip(NEXT) | instid1(VALU_DEP_1)
	v_cndmask_b32_e32 v4, 0, v4, vcc_lo
	v_mul_f64 v[4:5], v[4:5], v[2:3]
                                        ; implicit-def: $vgpr2_vgpr3
.LBB8_1358:
	s_and_not1_saveexec_b32 s1, s1
	s_cbranch_execz .LBB8_1360
; %bb.1359:
	s_mov_b32 s12, 0x652b82fe
	s_mov_b32 s13, 0x3ff71547
	;; [unrolled: 1-line block ×3, first 2 shown]
	v_mul_f64 v[4:5], |v[2:3]|, s[12:13]
	s_mov_b32 s12, 0xfefa39ef
	s_mov_b32 s13, 0xbfe62e42
	;; [unrolled: 1-line block ×3, first 2 shown]
	s_delay_alu instid0(VALU_DEP_3) | instskip(SKIP_1) | instid1(VALU_DEP_3)
	v_mul_f64 v[6:7], v[6:7], -0.5
	v_cmp_nlt_f64_e64 vcc_lo, 0x40900000, |v[2:3]|
	v_rndne_f64_e32 v[4:5], v[4:5]
	s_delay_alu instid0(VALU_DEP_1) | instskip(SKIP_4) | instid1(VALU_DEP_3)
	v_fma_f64 v[8:9], v[4:5], s[12:13], |v[2:3]|
	s_mov_b32 s12, 0x3b39803f
	s_mov_b32 s13, 0xbc7abc9e
	v_cvt_i32_f64_e32 v13, v[4:5]
	v_mul_f64 v[2:3], |v[2:3]|, v[6:7]
	v_fma_f64 v[8:9], v[4:5], s[12:13], v[8:9]
	s_mov_b32 s12, 0xfca7ab0c
	s_mov_b32 s13, 0x3e928af3
	s_delay_alu instid0(VALU_DEP_1) | instid1(SALU_CYCLE_1)
	v_fma_f64 v[11:12], v[8:9], s[14:15], s[12:13]
	s_mov_b32 s12, 0x623fde64
	s_mov_b32 s13, 0x3ec71dee
	s_delay_alu instid0(VALU_DEP_1) | instid1(SALU_CYCLE_1)
	;; [unrolled: 4-line block ×9, first 2 shown]
	v_fma_f64 v[11:12], v[8:9], v[11:12], s[12:13]
	s_delay_alu instid0(VALU_DEP_1) | instskip(NEXT) | instid1(VALU_DEP_1)
	v_fma_f64 v[11:12], v[8:9], v[11:12], 1.0
	v_fma_f64 v[4:5], v[8:9], v[11:12], 1.0
	s_delay_alu instid0(VALU_DEP_1) | instskip(NEXT) | instid1(VALU_DEP_1)
	v_ldexp_f64 v[4:5], v[4:5], v13
	v_cndmask_b32_e32 v5, 0x7ff00000, v5, vcc_lo
	s_delay_alu instid0(VALU_DEP_2) | instskip(NEXT) | instid1(VALU_DEP_1)
	v_cndmask_b32_e32 v4, 0, v4, vcc_lo
	v_mul_f64 v[4:5], v[4:5], v[2:3]
.LBB8_1360:
	s_or_b32 exec_lo, exec_lo, s1
                                        ; implicit-def: $vgpr2_vgpr3
.LBB8_1361:
	s_and_not1_saveexec_b32 s0, s0
	s_cbranch_execz .LBB8_1367
; %bb.1362:
	v_dual_mov_b32 v4, v2 :: v_dual_and_b32 v5, 0x7fffffff, v3
	s_mov_b32 s12, 0xea87b950
	s_mov_b32 s13, 0x3c545b8a
	;; [unrolled: 1-line block ×4, first 2 shown]
	v_div_scale_f64 v[6:7], null, v[4:5], v[4:5], 0x40400000
	v_div_scale_f64 v[4:5], vcc_lo, 0x40400000, v[4:5], 0x40400000
	s_mov_b32 s16, 0x2e9e5443
	s_mov_b32 s17, 0xbe90dbfd
	s_mov_b32 s1, exec_lo
	s_delay_alu instid0(VALU_DEP_2) | instskip(SKIP_2) | instid1(VALU_DEP_1)
	v_rcp_f64_e32 v[8:9], v[6:7]
	s_waitcnt_depctr 0xfff
	v_fma_f64 v[11:12], -v[6:7], v[8:9], 1.0
	v_fma_f64 v[8:9], v[8:9], v[11:12], v[8:9]
	s_delay_alu instid0(VALU_DEP_1) | instskip(NEXT) | instid1(VALU_DEP_1)
	v_fma_f64 v[11:12], -v[6:7], v[8:9], 1.0
	v_fma_f64 v[8:9], v[8:9], v[11:12], v[8:9]
	s_delay_alu instid0(VALU_DEP_1) | instskip(NEXT) | instid1(VALU_DEP_1)
	v_mul_f64 v[11:12], v[4:5], v[8:9]
	v_fma_f64 v[4:5], -v[6:7], v[11:12], v[4:5]
	s_delay_alu instid0(VALU_DEP_1) | instskip(NEXT) | instid1(VALU_DEP_1)
	v_div_fmas_f64 v[4:5], v[4:5], v[8:9], v[11:12]
	v_div_fixup_f64 v[4:5], v[4:5], |v[2:3]|, 0x40400000
	s_delay_alu instid0(VALU_DEP_1) | instskip(NEXT) | instid1(VALU_DEP_1)
	v_add_f64 v[4:5], v[4:5], -2.0
	v_fma_f64 v[6:7], v[4:5], s[14:15], s[12:13]
	s_mov_b32 s15, 0xbc61556d
	s_mov_b32 s12, 0xb2532277
	;; [unrolled: 1-line block ×3, first 2 shown]
	s_delay_alu instid0(VALU_DEP_1) | instskip(SKIP_2) | instid1(VALU_DEP_1)
	v_fma_f64 v[8:9], v[4:5], v[6:7], s[14:15]
	s_mov_b32 s14, 0x9ad53528
	s_mov_b32 s15, 0xbe30790b
	v_add_f64 v[8:9], v[8:9], s[12:13]
	s_mov_b32 s12, 0x9c773320
	s_mov_b32 s13, 0xbc82806c
	s_delay_alu instid0(VALU_DEP_1) | instskip(NEXT) | instid1(VALU_DEP_1)
	v_fma_f64 v[6:7], v[4:5], v[8:9], -v[6:7]
	v_add_f64 v[6:7], v[6:7], s[12:13]
	s_mov_b32 s12, 0xfceb588a
	s_mov_b32 s13, 0x3cb55915
	s_delay_alu instid0(VALU_DEP_1) | instskip(NEXT) | instid1(VALU_DEP_1)
	v_fma_f64 v[8:9], v[4:5], v[6:7], -v[8:9]
	;; [unrolled: 5-line block ×15, first 2 shown]
	v_add_f64 v[6:7], v[6:7], s[12:13]
	s_mov_b32 s12, 0x652b82fe
	s_mov_b32 s13, 0x3ff71547
	s_delay_alu instid0(SALU_CYCLE_1) | instskip(SKIP_2) | instid1(VALU_DEP_2)
	v_mul_f64 v[11:12], |v[2:3]|, s[12:13]
	s_mov_b32 s12, 0xfefa39ef
	s_mov_b32 s13, 0xbfe62e42
	v_fma_f64 v[8:9], v[4:5], v[6:7], -v[8:9]
	s_delay_alu instid0(VALU_DEP_2) | instskip(NEXT) | instid1(VALU_DEP_2)
	v_rndne_f64_e32 v[11:12], v[11:12]
	v_add_f64 v[8:9], v[8:9], s[14:15]
	s_mov_b32 s14, 0x94bb46c1
	s_mov_b32 s15, 0xbe5c4153
	s_delay_alu instid0(VALU_DEP_2) | instskip(SKIP_2) | instid1(VALU_DEP_2)
	v_fma_f64 v[17:18], v[11:12], s[12:13], |v[2:3]|
	s_mov_b32 s12, 0x3b39803f
	s_mov_b32 s13, 0xbc7abc9e
	v_fma_f64 v[6:7], v[4:5], v[8:9], -v[6:7]
	s_delay_alu instid0(VALU_DEP_2) | instskip(SKIP_3) | instid1(VALU_DEP_3)
	v_fma_f64 v[17:18], v[11:12], s[12:13], v[17:18]
	s_mov_b32 s12, 0xfca7ab0c
	s_mov_b32 s13, 0x3e928af3
	v_cvt_i32_f64_e32 v11, v[11:12]
	v_add_f64 v[6:7], v[6:7], s[14:15]
	s_mov_b32 s14, 0x6a5dcb37
	s_mov_b32 s15, 0x3e5ade15
	s_delay_alu instid0(VALU_DEP_3) | instid1(SALU_CYCLE_1)
	v_fma_f64 v[19:20], v[17:18], s[14:15], s[12:13]
	s_mov_b32 s12, 0x623fde64
	s_mov_b32 s13, 0x3ec71dee
	;; [unrolled: 1-line block ×4, first 2 shown]
	s_delay_alu instid0(VALU_DEP_2) | instskip(NEXT) | instid1(VALU_DEP_2)
	v_fma_f64 v[8:9], v[4:5], v[6:7], -v[8:9]
	v_fma_f64 v[19:20], v[17:18], v[19:20], s[12:13]
	s_mov_b32 s12, 0x7c89e6b0
	s_mov_b32 s13, 0x3efa0199
	s_delay_alu instid0(VALU_DEP_2) | instskip(NEXT) | instid1(VALU_DEP_2)
	v_add_f64 v[8:9], v[8:9], s[16:17]
	v_fma_f64 v[19:20], v[17:18], v[19:20], s[12:13]
	s_mov_b32 s12, 0x14761f6e
	s_mov_b32 s13, 0x3f2a01a0
	s_delay_alu instid0(VALU_DEP_2) | instskip(NEXT) | instid1(VALU_DEP_2)
	v_fma_f64 v[6:7], v[4:5], v[8:9], -v[6:7]
	v_fma_f64 v[19:20], v[17:18], v[19:20], s[12:13]
	s_mov_b32 s12, 0x1852b7b0
	s_mov_b32 s13, 0x3f56c16c
	s_delay_alu instid0(VALU_DEP_2) | instskip(SKIP_2) | instid1(VALU_DEP_2)
	v_add_f64 v[6:7], v[6:7], s[14:15]
	s_mov_b32 s14, 0x804aa9a6
	s_mov_b32 s15, 0xbf1cfd7f
	v_fma_f64 v[19:20], v[17:18], v[19:20], s[12:13]
	s_mov_b32 s12, 0x11122322
	s_mov_b32 s13, 0x3f811111
	s_delay_alu instid0(VALU_DEP_2) | instskip(NEXT) | instid1(VALU_DEP_2)
	v_fma_f64 v[8:9], v[4:5], v[6:7], -v[8:9]
	v_fma_f64 v[19:20], v[17:18], v[19:20], s[12:13]
	s_mov_b32 s12, 0x555502a1
	s_mov_b32 s13, 0x3fa55555
	s_delay_alu instid0(VALU_DEP_2) | instskip(SKIP_2) | instid1(VALU_DEP_2)
	v_add_f64 v[8:9], v[8:9], s[14:15]
	s_mov_b32 s14, 0x53fcdb4c
	s_mov_b32 s15, 0xbf83fda0
	v_fma_f64 v[19:20], v[17:18], v[19:20], s[12:13]
	s_mov_b32 s12, 0x55555511
	s_mov_b32 s13, 0x3fc55555
	s_delay_alu instid0(VALU_DEP_2) | instskip(NEXT) | instid1(VALU_DEP_2)
	v_fma_f64 v[6:7], v[4:5], v[8:9], -v[6:7]
	v_fma_f64 v[19:20], v[17:18], v[19:20], s[12:13]
	s_mov_b32 s12, 11
	s_mov_b32 s13, 0x3fe00000
	s_delay_alu instid0(VALU_DEP_2) | instskip(SKIP_2) | instid1(VALU_DEP_1)
	v_add_f64 v[6:7], v[6:7], s[14:15]
	s_mov_b32 s14, 0xb55b1514
	s_mov_b32 s15, 0x3fe8ea18
	v_fma_f64 v[4:5], v[4:5], v[6:7], -v[8:9]
	s_delay_alu instid0(VALU_DEP_3) | instskip(NEXT) | instid1(VALU_DEP_2)
	v_fma_f64 v[6:7], v[17:18], v[19:20], s[12:13]
	v_add_f64 v[4:5], v[4:5], s[14:15]
	s_delay_alu instid0(VALU_DEP_2) | instskip(NEXT) | instid1(VALU_DEP_2)
	v_fma_f64 v[6:7], v[17:18], v[6:7], 1.0
	v_add_f64 v[4:5], v[4:5], -v[8:9]
	s_delay_alu instid0(VALU_DEP_2) | instskip(NEXT) | instid1(VALU_DEP_2)
	v_fma_f64 v[8:9], v[17:18], v[6:7], 1.0
	v_mul_f64 v[6:7], v[4:5], 0.5
                                        ; implicit-def: $vgpr4_vgpr5
	v_cmpx_ngt_f64_e32 0, v[2:3]
	s_xor_b32 s1, exec_lo, s1
	s_cbranch_execz .LBB8_1364
; %bb.1363:
	v_cmp_gt_f64_e64 s11, 0x10000000, |v[2:3]|
	s_delay_alu instid0(VALU_DEP_4) | instskip(SKIP_1) | instid1(VALU_DEP_3)
	v_ldexp_f64 v[8:9], v[8:9], v11
	v_cmp_nlt_f64_e64 vcc_lo, 0x40900000, |v[2:3]|
	v_cndmask_b32_e64 v4, 0, 1, s11
	v_cndmask_b32_e64 v11, 0, 0xffffff80, s11
	s_delay_alu instid0(VALU_DEP_2) | instskip(NEXT) | instid1(VALU_DEP_1)
	v_dual_cndmask_b32 v9, 0x7ff00000, v9 :: v_dual_lshlrev_b32 v4, 8, v4
	v_ldexp_f64 v[4:5], |v[2:3]|, v4
	s_delay_alu instid0(VALU_DEP_1) | instskip(SKIP_3) | instid1(VALU_DEP_1)
	v_rsq_f64_e32 v[12:13], v[4:5]
	s_waitcnt_depctr 0xfff
	v_mul_f64 v[17:18], v[4:5], v[12:13]
	v_mul_f64 v[12:13], v[12:13], 0.5
	v_fma_f64 v[19:20], -v[12:13], v[17:18], 0.5
	s_delay_alu instid0(VALU_DEP_1) | instskip(SKIP_1) | instid1(VALU_DEP_2)
	v_fma_f64 v[17:18], v[17:18], v[19:20], v[17:18]
	v_fma_f64 v[12:13], v[12:13], v[19:20], v[12:13]
	v_fma_f64 v[19:20], -v[17:18], v[17:18], v[4:5]
	s_delay_alu instid0(VALU_DEP_1) | instskip(NEXT) | instid1(VALU_DEP_1)
	v_fma_f64 v[17:18], v[19:20], v[12:13], v[17:18]
	v_fma_f64 v[19:20], -v[17:18], v[17:18], v[4:5]
	s_delay_alu instid0(VALU_DEP_1) | instskip(NEXT) | instid1(VALU_DEP_1)
	v_fma_f64 v[2:3], v[19:20], v[12:13], v[17:18]
	v_ldexp_f64 v[2:3], v[2:3], v11
	v_cndmask_b32_e32 v8, 0, v8, vcc_lo
	v_cmp_class_f64_e64 vcc_lo, v[4:5], 0x260
	s_delay_alu instid0(VALU_DEP_3) | instskip(NEXT) | instid1(VALU_DEP_3)
	v_cndmask_b32_e32 v3, v3, v5, vcc_lo
	v_mul_f64 v[6:7], v[8:9], v[6:7]
	v_cndmask_b32_e32 v2, v2, v4, vcc_lo
	s_delay_alu instid0(VALU_DEP_1) | instskip(NEXT) | instid1(VALU_DEP_1)
	v_div_scale_f64 v[4:5], null, v[2:3], v[2:3], v[6:7]
	v_rcp_f64_e32 v[8:9], v[4:5]
	s_waitcnt_depctr 0xfff
	v_fma_f64 v[11:12], -v[4:5], v[8:9], 1.0
	s_delay_alu instid0(VALU_DEP_1) | instskip(NEXT) | instid1(VALU_DEP_1)
	v_fma_f64 v[8:9], v[8:9], v[11:12], v[8:9]
	v_fma_f64 v[11:12], -v[4:5], v[8:9], 1.0
	s_delay_alu instid0(VALU_DEP_1) | instskip(SKIP_1) | instid1(VALU_DEP_1)
	v_fma_f64 v[8:9], v[8:9], v[11:12], v[8:9]
	v_div_scale_f64 v[11:12], vcc_lo, v[6:7], v[2:3], v[6:7]
	v_mul_f64 v[17:18], v[11:12], v[8:9]
	s_delay_alu instid0(VALU_DEP_1) | instskip(NEXT) | instid1(VALU_DEP_1)
	v_fma_f64 v[4:5], -v[4:5], v[17:18], v[11:12]
                                        ; implicit-def: $vgpr11
	v_div_fmas_f64 v[4:5], v[4:5], v[8:9], v[17:18]
                                        ; implicit-def: $vgpr8_vgpr9
	s_delay_alu instid0(VALU_DEP_1)
	v_div_fixup_f64 v[4:5], v[4:5], v[2:3], v[6:7]
                                        ; implicit-def: $vgpr2_vgpr3
                                        ; implicit-def: $vgpr6_vgpr7
.LBB8_1364:
	s_and_not1_saveexec_b32 s1, s1
	s_cbranch_execz .LBB8_1366
; %bb.1365:
	v_cmp_gt_f64_e64 s11, 0x10000000, |v[2:3]|
	s_delay_alu instid0(VALU_DEP_4) | instskip(SKIP_1) | instid1(VALU_DEP_3)
	v_ldexp_f64 v[8:9], -v[8:9], v11
	v_cmp_nlt_f64_e64 vcc_lo, 0x40900000, |v[2:3]|
	v_cndmask_b32_e64 v4, 0, 1, s11
	v_cndmask_b32_e64 v11, 0, 0xffffff80, s11
	s_delay_alu instid0(VALU_DEP_2) | instskip(NEXT) | instid1(VALU_DEP_1)
	v_dual_cndmask_b32 v9, 0xfff00000, v9 :: v_dual_lshlrev_b32 v4, 8, v4
	v_ldexp_f64 v[4:5], |v[2:3]|, v4
	s_delay_alu instid0(VALU_DEP_1) | instskip(SKIP_3) | instid1(VALU_DEP_1)
	v_rsq_f64_e32 v[12:13], v[4:5]
	s_waitcnt_depctr 0xfff
	v_mul_f64 v[17:18], v[4:5], v[12:13]
	v_mul_f64 v[12:13], v[12:13], 0.5
	v_fma_f64 v[19:20], -v[12:13], v[17:18], 0.5
	s_delay_alu instid0(VALU_DEP_1) | instskip(SKIP_1) | instid1(VALU_DEP_2)
	v_fma_f64 v[17:18], v[17:18], v[19:20], v[17:18]
	v_fma_f64 v[12:13], v[12:13], v[19:20], v[12:13]
	v_fma_f64 v[19:20], -v[17:18], v[17:18], v[4:5]
	s_delay_alu instid0(VALU_DEP_1) | instskip(NEXT) | instid1(VALU_DEP_1)
	v_fma_f64 v[17:18], v[19:20], v[12:13], v[17:18]
	v_fma_f64 v[19:20], -v[17:18], v[17:18], v[4:5]
	s_delay_alu instid0(VALU_DEP_1) | instskip(NEXT) | instid1(VALU_DEP_1)
	v_fma_f64 v[2:3], v[19:20], v[12:13], v[17:18]
	v_ldexp_f64 v[2:3], v[2:3], v11
	v_cndmask_b32_e32 v8, 0, v8, vcc_lo
	v_cmp_class_f64_e64 vcc_lo, v[4:5], 0x260
	s_delay_alu instid0(VALU_DEP_3) | instskip(NEXT) | instid1(VALU_DEP_3)
	v_cndmask_b32_e32 v3, v3, v5, vcc_lo
	v_mul_f64 v[6:7], v[8:9], v[6:7]
	v_cndmask_b32_e32 v2, v2, v4, vcc_lo
	s_delay_alu instid0(VALU_DEP_1) | instskip(NEXT) | instid1(VALU_DEP_1)
	v_div_scale_f64 v[4:5], null, v[2:3], v[2:3], v[6:7]
	v_rcp_f64_e32 v[8:9], v[4:5]
	s_waitcnt_depctr 0xfff
	v_fma_f64 v[11:12], -v[4:5], v[8:9], 1.0
	s_delay_alu instid0(VALU_DEP_1) | instskip(NEXT) | instid1(VALU_DEP_1)
	v_fma_f64 v[8:9], v[8:9], v[11:12], v[8:9]
	v_fma_f64 v[11:12], -v[4:5], v[8:9], 1.0
	s_delay_alu instid0(VALU_DEP_1) | instskip(SKIP_1) | instid1(VALU_DEP_1)
	v_fma_f64 v[8:9], v[8:9], v[11:12], v[8:9]
	v_div_scale_f64 v[11:12], vcc_lo, v[6:7], v[2:3], v[6:7]
	v_mul_f64 v[17:18], v[11:12], v[8:9]
	s_delay_alu instid0(VALU_DEP_1) | instskip(NEXT) | instid1(VALU_DEP_1)
	v_fma_f64 v[4:5], -v[4:5], v[17:18], v[11:12]
	v_div_fmas_f64 v[4:5], v[4:5], v[8:9], v[17:18]
	s_delay_alu instid0(VALU_DEP_1)
	v_div_fixup_f64 v[4:5], v[4:5], v[2:3], v[6:7]
.LBB8_1366:
	s_or_b32 exec_lo, exec_lo, s1
.LBB8_1367:
	s_delay_alu instid0(SALU_CYCLE_1) | instskip(SKIP_2) | instid1(VALU_DEP_2)
	s_or_b32 exec_lo, exec_lo, s0
	v_add_nc_u32_e32 v12, s3, v10
	v_cmp_gt_i16_e32 vcc_lo, 11, v16
	v_ashrrev_i32_e32 v2, 31, v12
	v_add_co_u32 v6, s0, s6, v12
	s_delay_alu instid0(VALU_DEP_1)
	v_add_co_ci_u32_e64 v7, s0, s7, v2, s0
	s_cbranch_vccnz .LBB8_1374
; %bb.1368:
	v_cmp_lt_i16_e32 vcc_lo, 25, v16
	s_mov_b32 s12, 0
	s_cbranch_vccz .LBB8_1380
; %bb.1369:
	v_cmp_lt_i16_e32 vcc_lo, 28, v16
	s_cbranch_vccz .LBB8_1382
; %bb.1370:
	v_cmp_lt_i16_e32 vcc_lo, 43, v16
	;; [unrolled: 3-line block ×3, first 2 shown]
	s_cbranch_vccz .LBB8_1388
; %bb.1372:
	v_cmp_eq_u16_e32 vcc_lo, 46, v16
	s_mov_b32 s1, 0
	s_cbranch_vccz .LBB8_1431
; %bb.1373:
	global_load_b32 v2, v[6:7], off
	s_mov_b32 s11, 0
	s_mov_b32 s0, -1
	s_waitcnt vmcnt(0)
	v_lshlrev_b32_e32 v2, 16, v2
	s_delay_alu instid0(VALU_DEP_1)
	v_cvt_f64_f32_e32 v[2:3], v2
	s_branch .LBB8_1433
.LBB8_1374:
	s_mov_b32 s0, 0
                                        ; implicit-def: $vgpr2_vgpr3
	s_cbranch_execz .LBB8_1499
; %bb.1375:
	v_cmp_gt_i16_e32 vcc_lo, 5, v16
	s_cbranch_vccnz .LBB8_1381
; %bb.1376:
	v_cmp_gt_i16_e32 vcc_lo, 8, v16
	s_cbranch_vccnz .LBB8_1383
	;; [unrolled: 3-line block ×3, first 2 shown]
; %bb.1378:
	v_cmp_lt_i16_e32 vcc_lo, 9, v16
	s_cbranch_vccz .LBB8_1389
; %bb.1379:
	global_load_b64 v[2:3], v[6:7], off
	s_mov_b32 s0, 0
	s_branch .LBB8_1390
.LBB8_1380:
	s_mov_b32 s1, -1
	s_mov_b32 s0, 0
	s_mov_b32 s11, 0
                                        ; implicit-def: $vgpr2_vgpr3
	s_branch .LBB8_1464
.LBB8_1381:
	s_mov_b32 s0, -1
                                        ; implicit-def: $vgpr2_vgpr3
	s_branch .LBB8_1408
.LBB8_1382:
	s_mov_b32 s1, -1
	s_mov_b32 s0, 0
	s_mov_b32 s11, 0
                                        ; implicit-def: $vgpr2_vgpr3
	s_branch .LBB8_1443
.LBB8_1383:
	s_mov_b32 s0, -1
                                        ; implicit-def: $vgpr2_vgpr3
	s_branch .LBB8_1396
.LBB8_1384:
	s_mov_b32 s1, -1
	s_mov_b32 s0, 0
	s_mov_b32 s11, 0
                                        ; implicit-def: $vgpr2_vgpr3
	s_branch .LBB8_1438
.LBB8_1385:
	s_mov_b32 s0, -1
                                        ; implicit-def: $vgpr2_vgpr3
	s_branch .LBB8_1393
.LBB8_1386:
	s_cbranch_execnz .LBB8_1429
; %bb.1387:
	s_or_b32 s8, s8, exec_lo
                                        ; implicit-def: $vgpr2_vgpr3
	s_cbranch_execz .LBB8_1352
	s_branch .LBB8_1353
.LBB8_1388:
	s_mov_b32 s1, -1
	s_mov_b32 s0, 0
	s_mov_b32 s11, 0
	s_branch .LBB8_1432
.LBB8_1389:
	s_mov_b32 s0, -1
                                        ; implicit-def: $vgpr2_vgpr3
.LBB8_1390:
	s_delay_alu instid0(SALU_CYCLE_1)
	s_and_not1_b32 vcc_lo, exec_lo, s0
	s_cbranch_vccnz .LBB8_1392
; %bb.1391:
	global_load_b32 v2, v[6:7], off
	s_waitcnt vmcnt(0)
	v_cvt_f64_f32_e32 v[2:3], v2
.LBB8_1392:
	s_mov_b32 s0, 0
.LBB8_1393:
	s_delay_alu instid0(SALU_CYCLE_1)
	s_and_not1_b32 vcc_lo, exec_lo, s0
	s_cbranch_vccnz .LBB8_1395
; %bb.1394:
	global_load_b32 v2, v[6:7], off
	s_waitcnt vmcnt(0)
	v_cvt_f32_f16_e32 v2, v2
	s_delay_alu instid0(VALU_DEP_1)
	v_cvt_f64_f32_e32 v[2:3], v2
.LBB8_1395:
	s_mov_b32 s0, 0
.LBB8_1396:
	s_delay_alu instid0(SALU_CYCLE_1)
	s_and_not1_b32 vcc_lo, exec_lo, s0
	s_cbranch_vccnz .LBB8_1407
; %bb.1397:
	v_cmp_gt_i16_e32 vcc_lo, 6, v16
	s_cbranch_vccnz .LBB8_1400
; %bb.1398:
	v_cmp_lt_i16_e32 vcc_lo, 6, v16
	s_cbranch_vccz .LBB8_1401
; %bb.1399:
	global_load_b64 v[2:3], v[6:7], off
	s_mov_b32 s0, 0
	s_branch .LBB8_1402
.LBB8_1400:
	s_mov_b32 s0, -1
                                        ; implicit-def: $vgpr2_vgpr3
	s_branch .LBB8_1405
.LBB8_1401:
	s_mov_b32 s0, -1
                                        ; implicit-def: $vgpr2_vgpr3
.LBB8_1402:
	s_delay_alu instid0(SALU_CYCLE_1)
	s_and_not1_b32 vcc_lo, exec_lo, s0
	s_cbranch_vccnz .LBB8_1404
; %bb.1403:
	global_load_b32 v2, v[6:7], off
	s_waitcnt vmcnt(0)
	v_cvt_f64_f32_e32 v[2:3], v2
.LBB8_1404:
	s_mov_b32 s0, 0
.LBB8_1405:
	s_delay_alu instid0(SALU_CYCLE_1)
	s_and_not1_b32 vcc_lo, exec_lo, s0
	s_cbranch_vccnz .LBB8_1407
; %bb.1406:
	global_load_u16 v2, v[6:7], off
	s_waitcnt vmcnt(0)
	v_cvt_f32_f16_e32 v2, v2
	s_delay_alu instid0(VALU_DEP_1)
	v_cvt_f64_f32_e32 v[2:3], v2
.LBB8_1407:
	s_mov_b32 s0, 0
.LBB8_1408:
	s_delay_alu instid0(SALU_CYCLE_1)
	s_and_not1_b32 vcc_lo, exec_lo, s0
	s_cbranch_vccnz .LBB8_1428
; %bb.1409:
	v_cmp_gt_i16_e32 vcc_lo, 2, v16
	s_cbranch_vccnz .LBB8_1413
; %bb.1410:
	v_cmp_gt_i16_e32 vcc_lo, 3, v16
	s_cbranch_vccnz .LBB8_1414
; %bb.1411:
	v_cmp_lt_i16_e32 vcc_lo, 3, v16
	s_cbranch_vccz .LBB8_1415
; %bb.1412:
	global_load_b64 v[2:3], v[6:7], off
	s_mov_b32 s0, 0
	s_waitcnt vmcnt(0)
	v_cvt_f64_i32_e32 v[8:9], v3
	v_cvt_f64_u32_e32 v[2:3], v2
	s_delay_alu instid0(VALU_DEP_2) | instskip(NEXT) | instid1(VALU_DEP_1)
	v_ldexp_f64 v[8:9], v[8:9], 32
	v_add_f64 v[2:3], v[8:9], v[2:3]
	s_branch .LBB8_1416
.LBB8_1413:
	s_mov_b32 s0, -1
                                        ; implicit-def: $vgpr2_vgpr3
	s_branch .LBB8_1422
.LBB8_1414:
	s_mov_b32 s0, -1
                                        ; implicit-def: $vgpr2_vgpr3
	s_branch .LBB8_1419
.LBB8_1415:
	s_mov_b32 s0, -1
                                        ; implicit-def: $vgpr2_vgpr3
.LBB8_1416:
	s_delay_alu instid0(SALU_CYCLE_1)
	s_and_not1_b32 vcc_lo, exec_lo, s0
	s_cbranch_vccnz .LBB8_1418
; %bb.1417:
	global_load_b32 v2, v[6:7], off
	s_waitcnt vmcnt(0)
	v_cvt_f64_i32_e32 v[2:3], v2
.LBB8_1418:
	s_mov_b32 s0, 0
.LBB8_1419:
	s_delay_alu instid0(SALU_CYCLE_1)
	s_and_not1_b32 vcc_lo, exec_lo, s0
	s_cbranch_vccnz .LBB8_1421
; %bb.1420:
	global_load_i16 v2, v[6:7], off
	s_waitcnt vmcnt(0)
	v_cvt_f64_i32_e32 v[2:3], v2
.LBB8_1421:
	s_mov_b32 s0, 0
.LBB8_1422:
	s_delay_alu instid0(SALU_CYCLE_1)
	s_and_not1_b32 vcc_lo, exec_lo, s0
	s_cbranch_vccnz .LBB8_1428
; %bb.1423:
	v_cmp_lt_i16_e32 vcc_lo, 0, v16
	s_mov_b32 s0, 0
	s_cbranch_vccz .LBB8_1425
; %bb.1424:
	global_load_i8 v2, v[6:7], off
	s_waitcnt vmcnt(0)
	v_cvt_f64_i32_e32 v[2:3], v2
	s_branch .LBB8_1426
.LBB8_1425:
	s_mov_b32 s0, -1
                                        ; implicit-def: $vgpr2_vgpr3
.LBB8_1426:
	s_delay_alu instid0(SALU_CYCLE_1)
	s_and_not1_b32 vcc_lo, exec_lo, s0
	s_cbranch_vccnz .LBB8_1428
; %bb.1427:
	global_load_u8 v2, v[6:7], off
	s_waitcnt vmcnt(0)
	v_cvt_f64_u32_e32 v[2:3], v2
.LBB8_1428:
	s_branch .LBB8_1500
.LBB8_1429:
	s_trap 2
	s_sendmsg_rtn_b32 s0, sendmsg(MSG_RTN_GET_DOORBELL)
	s_mov_b32 ttmp2, m0
	s_waitcnt lgkmcnt(0)
	s_and_b32 s0, s0, 0x3ff
	s_delay_alu instid0(SALU_CYCLE_1) | instskip(NEXT) | instid1(SALU_CYCLE_1)
	s_bitset1_b32 s0, 10
	s_mov_b32 m0, s0
	s_sendmsg sendmsg(MSG_INTERRUPT)
	s_mov_b32 m0, ttmp2
.LBB8_1430:                             ; =>This Inner Loop Header: Depth=1
	s_sethalt 5
	s_branch .LBB8_1430
.LBB8_1431:
	s_mov_b32 s11, -1
	s_mov_b32 s0, 0
.LBB8_1432:
                                        ; implicit-def: $vgpr2_vgpr3
.LBB8_1433:
	s_and_b32 vcc_lo, exec_lo, s1
	s_cbranch_vccz .LBB8_1437
; %bb.1434:
	v_cmp_eq_u16_e32 vcc_lo, 44, v16
	s_cbranch_vccz .LBB8_1436
; %bb.1435:
	global_load_u8 v8, v[6:7], off
	s_mov_b32 s11, 0
	s_mov_b32 s0, -1
	s_waitcnt vmcnt(0)
	v_cmp_ne_u32_e32 vcc_lo, 0xff, v8
	v_lshlrev_b32_e32 v2, 23, v8
	s_delay_alu instid0(VALU_DEP_1) | instskip(NEXT) | instid1(VALU_DEP_1)
	v_cvt_f64_f32_e32 v[2:3], v2
	v_cndmask_b32_e32 v3, 0x7ff80000, v3, vcc_lo
	s_delay_alu instid0(VALU_DEP_2) | instskip(SKIP_1) | instid1(VALU_DEP_3)
	v_cndmask_b32_e32 v2, 0x20000000, v2, vcc_lo
	v_cmp_ne_u32_e32 vcc_lo, 0, v8
	v_cndmask_b32_e32 v3, 0x38000000, v3, vcc_lo
	s_delay_alu instid0(VALU_DEP_3)
	v_cndmask_b32_e32 v2, 0, v2, vcc_lo
	s_branch .LBB8_1437
.LBB8_1436:
	s_mov_b32 s11, -1
                                        ; implicit-def: $vgpr2_vgpr3
.LBB8_1437:
	s_mov_b32 s1, 0
.LBB8_1438:
	s_delay_alu instid0(SALU_CYCLE_1)
	s_and_b32 vcc_lo, exec_lo, s1
	s_cbranch_vccz .LBB8_1442
; %bb.1439:
	v_cmp_eq_u16_e32 vcc_lo, 29, v16
	s_cbranch_vccz .LBB8_1441
; %bb.1440:
	global_load_b64 v[2:3], v[6:7], off
	s_mov_b32 s11, 0
	s_mov_b32 s0, -1
	s_mov_b32 s1, 0
	s_waitcnt vmcnt(0)
	v_cvt_f64_u32_e32 v[8:9], v3
	v_cvt_f64_u32_e32 v[2:3], v2
	s_delay_alu instid0(VALU_DEP_2) | instskip(NEXT) | instid1(VALU_DEP_1)
	v_ldexp_f64 v[8:9], v[8:9], 32
	v_add_f64 v[2:3], v[8:9], v[2:3]
	s_branch .LBB8_1443
.LBB8_1441:
	s_mov_b32 s11, -1
                                        ; implicit-def: $vgpr2_vgpr3
.LBB8_1442:
	s_mov_b32 s1, 0
.LBB8_1443:
	s_delay_alu instid0(SALU_CYCLE_1)
	s_and_b32 vcc_lo, exec_lo, s1
	s_cbranch_vccz .LBB8_1463
; %bb.1444:
	v_cmp_gt_i16_e32 vcc_lo, 27, v16
	s_cbranch_vccnz .LBB8_1447
; %bb.1445:
	v_cmp_lt_i16_e32 vcc_lo, 27, v16
	s_cbranch_vccz .LBB8_1448
; %bb.1446:
	global_load_b32 v2, v[6:7], off
	s_mov_b32 s0, 0
	s_waitcnt vmcnt(0)
	v_cvt_f64_u32_e32 v[2:3], v2
	s_branch .LBB8_1449
.LBB8_1447:
	s_mov_b32 s0, -1
                                        ; implicit-def: $vgpr2_vgpr3
	s_branch .LBB8_1452
.LBB8_1448:
	s_mov_b32 s0, -1
                                        ; implicit-def: $vgpr2_vgpr3
.LBB8_1449:
	s_delay_alu instid0(SALU_CYCLE_1)
	s_and_not1_b32 vcc_lo, exec_lo, s0
	s_cbranch_vccnz .LBB8_1451
; %bb.1450:
	global_load_u16 v2, v[6:7], off
	s_waitcnt vmcnt(0)
	v_cvt_f64_u32_e32 v[2:3], v2
.LBB8_1451:
	s_mov_b32 s0, 0
.LBB8_1452:
	s_delay_alu instid0(SALU_CYCLE_1)
	s_and_not1_b32 vcc_lo, exec_lo, s0
	s_cbranch_vccnz .LBB8_1462
; %bb.1453:
	global_load_u8 v8, v[6:7], off
	s_mov_b32 s13, 0
	s_mov_b32 s14, exec_lo
                                        ; implicit-def: $sgpr0_sgpr1
	s_waitcnt vmcnt(0)
	v_cmpx_lt_i16_e32 0x7f, v8
	s_xor_b32 s14, exec_lo, s14
	s_cbranch_execz .LBB8_1457
; %bb.1454:
	s_mov_b32 s15, -1
	s_mov_b32 s13, exec_lo
                                        ; implicit-def: $sgpr0_sgpr1
	v_cmpx_eq_u16_e32 0x80, v8
; %bb.1455:
	s_mov_b32 s1, 0x7ff80000
	s_brev_b32 s0, 4
	s_xor_b32 s15, exec_lo, -1
; %bb.1456:
	s_or_b32 exec_lo, exec_lo, s13
	s_delay_alu instid0(SALU_CYCLE_1)
	s_and_b32 s13, s15, exec_lo
.LBB8_1457:
	s_or_saveexec_b32 s14, s14
	v_dual_mov_b32 v3, s1 :: v_dual_mov_b32 v2, s0
	s_xor_b32 exec_lo, exec_lo, s14
; %bb.1458:
	v_cmp_ne_u16_e32 vcc_lo, 0, v8
	v_mov_b32_e32 v2, 0
	v_mov_b32_e32 v3, 0
	s_and_not1_b32 s0, s13, exec_lo
	s_and_b32 s1, vcc_lo, exec_lo
	s_delay_alu instid0(SALU_CYCLE_1)
	s_or_b32 s13, s0, s1
; %bb.1459:
	s_or_b32 exec_lo, exec_lo, s14
	s_and_saveexec_b32 s0, s13
	s_cbranch_execz .LBB8_1461
; %bb.1460:
	v_and_b32_e32 v2, 0xffff, v8
	v_lshlrev_b32_e32 v8, 24, v8
	s_delay_alu instid0(VALU_DEP_2) | instskip(NEXT) | instid1(VALU_DEP_2)
	v_and_b32_e32 v3, 7, v2
	v_and_b32_e32 v8, 0x80000000, v8
	s_delay_alu instid0(VALU_DEP_2) | instskip(NEXT) | instid1(VALU_DEP_1)
	v_clz_i32_u32_e32 v9, v3
	v_min_u32_e32 v9, 32, v9
	s_delay_alu instid0(VALU_DEP_1) | instskip(SKIP_1) | instid1(VALU_DEP_2)
	v_subrev_nc_u32_e32 v10, 28, v9
	v_sub_nc_u32_e32 v9, 29, v9
	v_lshlrev_b32_e32 v10, v10, v2
	v_bfe_u32 v2, v2, 3, 4
	s_delay_alu instid0(VALU_DEP_2) | instskip(NEXT) | instid1(VALU_DEP_2)
	v_and_b32_e32 v10, 7, v10
	v_cmp_eq_u32_e32 vcc_lo, 0, v2
	s_delay_alu instid0(VALU_DEP_2) | instskip(NEXT) | instid1(VALU_DEP_1)
	v_dual_cndmask_b32 v2, v2, v9 :: v_dual_cndmask_b32 v3, v3, v10
	v_lshl_add_u32 v2, v2, 23, 0x3b800000
	s_delay_alu instid0(VALU_DEP_2) | instskip(NEXT) | instid1(VALU_DEP_1)
	v_lshlrev_b32_e32 v3, 20, v3
	v_or3_b32 v2, v8, v2, v3
	s_delay_alu instid0(VALU_DEP_1)
	v_cvt_f64_f32_e32 v[2:3], v2
.LBB8_1461:
	s_or_b32 exec_lo, exec_lo, s0
.LBB8_1462:
	s_mov_b32 s0, -1
.LBB8_1463:
	s_mov_b32 s1, 0
.LBB8_1464:
	s_delay_alu instid0(SALU_CYCLE_1)
	s_and_b32 vcc_lo, exec_lo, s1
	s_cbranch_vccz .LBB8_1495
; %bb.1465:
	v_cmp_lt_i16_e32 vcc_lo, 22, v16
	s_cbranch_vccz .LBB8_1477
; %bb.1466:
	v_cmp_gt_i16_e32 vcc_lo, 24, v16
	s_cbranch_vccnz .LBB8_1478
; %bb.1467:
	v_cmp_lt_i16_e32 vcc_lo, 24, v16
	s_cbranch_vccz .LBB8_1479
; %bb.1468:
	global_load_u8 v8, v[6:7], off
	s_mov_b32 s13, exec_lo
                                        ; implicit-def: $sgpr0_sgpr1
	s_waitcnt vmcnt(0)
	v_cmpx_lt_i16_e32 0x7f, v8
	s_xor_b32 s13, exec_lo, s13
	s_cbranch_execz .LBB8_1472
; %bb.1469:
	s_mov_b32 s14, -1
	s_mov_b32 s12, exec_lo
                                        ; implicit-def: $sgpr0_sgpr1
	v_cmpx_eq_u16_e32 0x80, v8
; %bb.1470:
	s_mov_b32 s1, 0x7ff80000
	s_brev_b32 s0, 4
	s_xor_b32 s14, exec_lo, -1
; %bb.1471:
	s_or_b32 exec_lo, exec_lo, s12
	s_delay_alu instid0(SALU_CYCLE_1)
	s_and_b32 s12, s14, exec_lo
.LBB8_1472:
	s_or_saveexec_b32 s13, s13
	v_dual_mov_b32 v3, s1 :: v_dual_mov_b32 v2, s0
	s_xor_b32 exec_lo, exec_lo, s13
; %bb.1473:
	v_cmp_ne_u16_e32 vcc_lo, 0, v8
	v_mov_b32_e32 v2, 0
	v_mov_b32_e32 v3, 0
	s_and_not1_b32 s0, s12, exec_lo
	s_and_b32 s1, vcc_lo, exec_lo
	s_delay_alu instid0(SALU_CYCLE_1)
	s_or_b32 s12, s0, s1
; %bb.1474:
	s_or_b32 exec_lo, exec_lo, s13
	s_and_saveexec_b32 s0, s12
	s_cbranch_execz .LBB8_1476
; %bb.1475:
	v_and_b32_e32 v2, 0xffff, v8
	v_lshlrev_b32_e32 v8, 24, v8
	s_delay_alu instid0(VALU_DEP_2) | instskip(NEXT) | instid1(VALU_DEP_2)
	v_and_b32_e32 v3, 3, v2
	v_and_b32_e32 v8, 0x80000000, v8
	s_delay_alu instid0(VALU_DEP_2) | instskip(NEXT) | instid1(VALU_DEP_1)
	v_clz_i32_u32_e32 v9, v3
	v_min_u32_e32 v9, 32, v9
	s_delay_alu instid0(VALU_DEP_1) | instskip(SKIP_1) | instid1(VALU_DEP_2)
	v_subrev_nc_u32_e32 v10, 29, v9
	v_sub_nc_u32_e32 v9, 30, v9
	v_lshlrev_b32_e32 v10, v10, v2
	v_bfe_u32 v2, v2, 2, 5
	s_delay_alu instid0(VALU_DEP_2) | instskip(NEXT) | instid1(VALU_DEP_2)
	v_and_b32_e32 v10, 3, v10
	v_cmp_eq_u32_e32 vcc_lo, 0, v2
	s_delay_alu instid0(VALU_DEP_2) | instskip(NEXT) | instid1(VALU_DEP_1)
	v_dual_cndmask_b32 v2, v2, v9 :: v_dual_cndmask_b32 v3, v3, v10
	v_lshl_add_u32 v2, v2, 23, 0x37800000
	s_delay_alu instid0(VALU_DEP_2) | instskip(NEXT) | instid1(VALU_DEP_1)
	v_lshlrev_b32_e32 v3, 21, v3
	v_or3_b32 v2, v8, v2, v3
	s_delay_alu instid0(VALU_DEP_1)
	v_cvt_f64_f32_e32 v[2:3], v2
.LBB8_1476:
	s_or_b32 exec_lo, exec_lo, s0
	s_mov_b32 s0, 0
	s_branch .LBB8_1480
.LBB8_1477:
	s_mov_b32 s1, -1
                                        ; implicit-def: $vgpr2_vgpr3
	s_branch .LBB8_1486
.LBB8_1478:
	s_mov_b32 s0, -1
                                        ; implicit-def: $vgpr2_vgpr3
	s_branch .LBB8_1483
.LBB8_1479:
	s_mov_b32 s0, -1
                                        ; implicit-def: $vgpr2_vgpr3
.LBB8_1480:
	s_delay_alu instid0(SALU_CYCLE_1)
	s_and_b32 vcc_lo, exec_lo, s0
	s_cbranch_vccz .LBB8_1482
; %bb.1481:
	global_load_u8 v2, v[6:7], off
	s_waitcnt vmcnt(0)
	v_lshlrev_b32_e32 v2, 24, v2
	s_delay_alu instid0(VALU_DEP_1) | instskip(NEXT) | instid1(VALU_DEP_1)
	v_and_b32_e32 v3, 0x7f000000, v2
	v_clz_i32_u32_e32 v8, v3
	v_add_nc_u32_e32 v10, 0x1000000, v3
	v_cmp_ne_u32_e32 vcc_lo, 0, v3
	s_delay_alu instid0(VALU_DEP_3) | instskip(NEXT) | instid1(VALU_DEP_1)
	v_min_u32_e32 v8, 32, v8
	v_sub_nc_u32_e64 v8, v8, 4 clamp
	s_delay_alu instid0(VALU_DEP_1) | instskip(SKIP_1) | instid1(VALU_DEP_2)
	v_lshlrev_b32_e32 v9, v8, v3
	v_lshlrev_b32_e32 v8, 23, v8
	v_lshrrev_b32_e32 v9, 4, v9
	s_delay_alu instid0(VALU_DEP_1) | instskip(SKIP_1) | instid1(VALU_DEP_2)
	v_sub_nc_u32_e32 v8, v9, v8
	v_ashrrev_i32_e32 v9, 8, v10
	v_add_nc_u32_e32 v8, 0x3c000000, v8
	s_delay_alu instid0(VALU_DEP_1) | instskip(NEXT) | instid1(VALU_DEP_1)
	v_and_or_b32 v8, 0x7f800000, v9, v8
	v_cndmask_b32_e32 v3, 0, v8, vcc_lo
	s_delay_alu instid0(VALU_DEP_1) | instskip(NEXT) | instid1(VALU_DEP_1)
	v_and_or_b32 v2, 0x80000000, v2, v3
	v_cvt_f64_f32_e32 v[2:3], v2
.LBB8_1482:
	s_mov_b32 s0, 0
.LBB8_1483:
	s_delay_alu instid0(SALU_CYCLE_1)
	s_and_not1_b32 vcc_lo, exec_lo, s0
	s_cbranch_vccnz .LBB8_1485
; %bb.1484:
	global_load_u8 v2, v[6:7], off
	s_waitcnt vmcnt(0)
	v_lshlrev_b32_e32 v3, 25, v2
	v_lshlrev_b16 v2, 8, v2
	s_delay_alu instid0(VALU_DEP_2) | instskip(NEXT) | instid1(VALU_DEP_2)
	v_lshrrev_b32_e32 v8, 4, v3
	v_and_or_b32 v9, 0x7f00, v2, 0.5
	v_bfe_i32 v2, v2, 0, 16
	s_delay_alu instid0(VALU_DEP_3) | instskip(NEXT) | instid1(VALU_DEP_1)
	v_or_b32_e32 v8, 0x70000000, v8
	v_dual_add_f32 v9, -0.5, v9 :: v_dual_mul_f32 v8, 0x7800000, v8
	v_cmp_gt_u32_e32 vcc_lo, 0x8000000, v3
	s_delay_alu instid0(VALU_DEP_2) | instskip(NEXT) | instid1(VALU_DEP_1)
	v_cndmask_b32_e32 v3, v8, v9, vcc_lo
	v_and_or_b32 v2, 0x80000000, v2, v3
	s_delay_alu instid0(VALU_DEP_1)
	v_cvt_f64_f32_e32 v[2:3], v2
.LBB8_1485:
	s_mov_b32 s1, 0
	s_mov_b32 s0, -1
.LBB8_1486:
	s_and_not1_b32 vcc_lo, exec_lo, s1
	s_mov_b32 s12, 0
	s_cbranch_vccnz .LBB8_1495
; %bb.1487:
	v_cmp_lt_i16_e32 vcc_lo, 14, v16
	s_cbranch_vccz .LBB8_1490
; %bb.1488:
	v_cmp_eq_u16_e32 vcc_lo, 15, v16
	s_cbranch_vccz .LBB8_1491
; %bb.1489:
	global_load_u16 v2, v[6:7], off
	s_mov_b32 s11, 0
	s_mov_b32 s0, -1
	s_waitcnt vmcnt(0)
	v_lshlrev_b32_e32 v2, 16, v2
	s_delay_alu instid0(VALU_DEP_1)
	v_cvt_f64_f32_e32 v[2:3], v2
	s_branch .LBB8_1492
.LBB8_1490:
	s_mov_b32 s1, -1
                                        ; implicit-def: $vgpr2_vgpr3
	s_branch .LBB8_1493
.LBB8_1491:
	s_mov_b32 s11, -1
                                        ; implicit-def: $vgpr2_vgpr3
.LBB8_1492:
	s_mov_b32 s1, 0
.LBB8_1493:
	s_delay_alu instid0(SALU_CYCLE_1)
	s_and_b32 vcc_lo, exec_lo, s1
	s_cbranch_vccz .LBB8_1495
; %bb.1494:
	v_cmp_ne_u16_e64 s11, 11, v16
	s_mov_b32 s12, -1
                                        ; implicit-def: $vgpr2_vgpr3
.LBB8_1495:
	s_delay_alu instid0(VALU_DEP_1)
	s_and_b32 vcc_lo, exec_lo, s11
	s_cbranch_vccnz .LBB8_1523
; %bb.1496:
	s_and_not1_b32 vcc_lo, exec_lo, s12
	s_cbranch_vccnz .LBB8_1498
.LBB8_1497:
	global_load_u8 v2, v[6:7], off
	s_mov_b32 s0, -1
	s_waitcnt vmcnt(0)
	v_cmp_ne_u16_e32 vcc_lo, 0, v2
	v_mov_b32_e32 v2, 0
	v_cndmask_b32_e64 v3, 0, 0x3ff00000, vcc_lo
.LBB8_1498:
.LBB8_1499:
	s_and_not1_b32 vcc_lo, exec_lo, s0
	s_cbranch_vccnz .LBB8_1736
.LBB8_1500:
	s_waitcnt vmcnt(0)
	s_delay_alu instid0(VALU_DEP_1) | instskip(NEXT) | instid1(VALU_DEP_1)
	v_cmp_ge_f64_e64 s0, 0x40200000, |v[2:3]|
                                        ; implicit-def: $vgpr8_vgpr9
	s_and_saveexec_b32 s1, s0
	s_delay_alu instid0(SALU_CYCLE_1)
	s_xor_b32 s0, exec_lo, s1
	s_cbranch_execz .LBB8_1506
; %bb.1501:
	v_fma_f64 v[6:7], |v[2:3]|, 0.5, -2.0
	s_mov_b32 s12, 0xc38a0576
	s_mov_b32 s13, 0xbc7857d0
	;; [unrolled: 1-line block ×4, first 2 shown]
	s_mov_b32 s1, exec_lo
	s_delay_alu instid0(VALU_DEP_1) | instskip(SKIP_3) | instid1(VALU_DEP_1)
	v_fma_f64 v[8:9], v[6:7], s[14:15], s[12:13]
	s_mov_b32 s15, 0xbc499f2a
	s_mov_b32 s12, 0xe593bfac
	;; [unrolled: 1-line block ×3, first 2 shown]
	v_fma_f64 v[10:11], v[6:7], v[8:9], s[14:15]
	s_delay_alu instid0(VALU_DEP_1) | instskip(SKIP_2) | instid1(VALU_DEP_1)
	v_add_f64 v[10:11], v[10:11], s[12:13]
	s_mov_b32 s12, 0x7e0d1573
	s_mov_b32 s13, 0xbcd3eaaa
	v_fma_f64 v[8:9], v[6:7], v[10:11], -v[8:9]
	s_delay_alu instid0(VALU_DEP_1) | instskip(SKIP_2) | instid1(VALU_DEP_1)
	v_add_f64 v[8:9], v[8:9], s[12:13]
	s_mov_b32 s12, 0x615290c
	s_mov_b32 s13, 0x3d011d7f
	v_fma_f64 v[10:11], v[6:7], v[8:9], -v[10:11]
	s_delay_alu instid0(VALU_DEP_1) | instskip(SKIP_2) | instid1(VALU_DEP_1)
	v_add_f64 v[10:11], v[10:11], s[12:13]
	s_mov_b32 s12, 0x1c8f0b3b
	s_mov_b32 s13, 0xbd2c628e
	v_fma_f64 v[8:9], v[6:7], v[10:11], -v[8:9]
	s_delay_alu instid0(VALU_DEP_1) | instskip(SKIP_2) | instid1(VALU_DEP_1)
	v_add_f64 v[8:9], v[8:9], s[12:13]
	s_mov_b32 s12, 0x4779d955
	s_mov_b32 s13, 0x3d56af78
	v_fma_f64 v[10:11], v[6:7], v[8:9], -v[10:11]
	s_delay_alu instid0(VALU_DEP_1) | instskip(SKIP_2) | instid1(VALU_DEP_1)
	v_add_f64 v[10:11], v[10:11], s[12:13]
	s_mov_b32 s12, 0x5fb70366
	s_mov_b32 s13, 0xbd817383
	v_fma_f64 v[8:9], v[6:7], v[10:11], -v[8:9]
	s_delay_alu instid0(VALU_DEP_1) | instskip(SKIP_2) | instid1(VALU_DEP_1)
	v_add_f64 v[8:9], v[8:9], s[12:13]
	s_mov_b32 s12, 0xb21d3154
	s_mov_b32 s13, 0x3da9cee2
	v_fma_f64 v[10:11], v[6:7], v[8:9], -v[10:11]
	s_delay_alu instid0(VALU_DEP_1) | instskip(SKIP_2) | instid1(VALU_DEP_1)
	v_add_f64 v[10:11], v[10:11], s[12:13]
	s_mov_b32 s12, 0x97eb07de
	s_mov_b32 s13, 0xbdd25103
	v_fma_f64 v[8:9], v[6:7], v[10:11], -v[8:9]
	s_delay_alu instid0(VALU_DEP_1) | instskip(SKIP_2) | instid1(VALU_DEP_1)
	v_add_f64 v[8:9], v[8:9], s[12:13]
	s_mov_b32 s12, 0xb43fdf6c
	s_mov_b32 s13, 0x3df8ea34
	v_fma_f64 v[10:11], v[6:7], v[8:9], -v[10:11]
	s_delay_alu instid0(VALU_DEP_1) | instskip(SKIP_2) | instid1(VALU_DEP_1)
	v_add_f64 v[10:11], v[10:11], s[12:13]
	s_mov_b32 s12, 0x28ea67e6
	s_mov_b32 s13, 0xbe20361b
	v_fma_f64 v[8:9], v[6:7], v[10:11], -v[8:9]
	s_delay_alu instid0(VALU_DEP_1) | instskip(SKIP_2) | instid1(VALU_DEP_1)
	v_add_f64 v[8:9], v[8:9], s[12:13]
	s_mov_b32 s12, 0x2395010
	s_mov_b32 s13, 0x3e44258e
	v_fma_f64 v[10:11], v[6:7], v[8:9], -v[10:11]
	s_delay_alu instid0(VALU_DEP_1) | instskip(SKIP_2) | instid1(VALU_DEP_1)
	v_add_f64 v[10:11], v[10:11], s[12:13]
	s_mov_b32 s12, 0x24b8c3e8
	s_mov_b32 s13, 0xbe67dd3e
	v_fma_f64 v[8:9], v[6:7], v[10:11], -v[8:9]
	s_delay_alu instid0(VALU_DEP_1) | instskip(SKIP_2) | instid1(VALU_DEP_1)
	v_add_f64 v[8:9], v[8:9], s[12:13]
	s_mov_b32 s12, 0xb347d108
	s_mov_b32 s13, 0x3e8ae344
	v_fma_f64 v[10:11], v[6:7], v[8:9], -v[10:11]
	s_delay_alu instid0(VALU_DEP_1) | instskip(SKIP_2) | instid1(VALU_DEP_1)
	v_add_f64 v[10:11], v[10:11], s[12:13]
	s_mov_b32 s12, 0x8363992a
	s_mov_b32 s13, 0xbeacc079
	v_fma_f64 v[8:9], v[6:7], v[10:11], -v[8:9]
	s_delay_alu instid0(VALU_DEP_1) | instskip(SKIP_2) | instid1(VALU_DEP_1)
	v_add_f64 v[8:9], v[8:9], s[12:13]
	s_mov_b32 s12, 0xd511afc5
	s_mov_b32 s13, 0x3ecd1c4e
	v_fma_f64 v[10:11], v[6:7], v[8:9], -v[10:11]
	s_delay_alu instid0(VALU_DEP_1) | instskip(SKIP_2) | instid1(VALU_DEP_1)
	v_add_f64 v[10:11], v[10:11], s[12:13]
	s_mov_b32 s12, 0xb8debbcf
	s_mov_b32 s13, 0xbeebd5f9
	v_fma_f64 v[8:9], v[6:7], v[10:11], -v[8:9]
	s_delay_alu instid0(VALU_DEP_1) | instskip(SKIP_2) | instid1(VALU_DEP_1)
	v_add_f64 v[8:9], v[8:9], s[12:13]
	s_mov_b32 s12, 0x42c70d0b
	s_mov_b32 s13, 0x3f0911b5
	v_fma_f64 v[10:11], v[6:7], v[8:9], -v[10:11]
	s_delay_alu instid0(VALU_DEP_1) | instskip(SKIP_2) | instid1(VALU_DEP_1)
	v_add_f64 v[10:11], v[10:11], s[12:13]
	s_mov_b32 s12, 0xd3d694fe
	s_mov_b32 s13, 0xbf2533ca
	v_fma_f64 v[8:9], v[6:7], v[10:11], -v[8:9]
	s_delay_alu instid0(VALU_DEP_1) | instskip(SKIP_2) | instid1(VALU_DEP_1)
	v_add_f64 v[8:9], v[8:9], s[12:13]
	s_mov_b32 s12, 0xb6c6df7d
	s_mov_b32 s13, 0x3f40c95d
	v_fma_f64 v[10:11], v[6:7], v[8:9], -v[10:11]
	s_delay_alu instid0(VALU_DEP_1) | instskip(SKIP_2) | instid1(VALU_DEP_1)
	v_add_f64 v[10:11], v[10:11], s[12:13]
	s_mov_b32 s12, 0xb3cd4a4
	s_mov_b32 s13, 0xbf58cc62
	v_fma_f64 v[8:9], v[6:7], v[10:11], -v[8:9]
	s_delay_alu instid0(VALU_DEP_1) | instskip(SKIP_2) | instid1(VALU_DEP_1)
	v_add_f64 v[8:9], v[8:9], s[12:13]
	s_mov_b32 s12, 0x49d3a1b4
	s_mov_b32 s13, 0x3f710653
	v_fma_f64 v[10:11], v[6:7], v[8:9], -v[10:11]
	s_delay_alu instid0(VALU_DEP_1) | instskip(SKIP_2) | instid1(VALU_DEP_1)
	v_add_f64 v[10:11], v[10:11], s[12:13]
	s_mov_b32 s12, 0x7913a26a
	s_mov_b32 s13, 0xbf85a29f
	v_fma_f64 v[8:9], v[6:7], v[10:11], -v[8:9]
	s_delay_alu instid0(VALU_DEP_1) | instskip(SKIP_2) | instid1(VALU_DEP_1)
	v_add_f64 v[8:9], v[8:9], s[12:13]
	s_mov_b32 s12, 0xe7bb2349
	s_mov_b32 s13, 0x3f9951e3
	v_fma_f64 v[10:11], v[6:7], v[8:9], -v[10:11]
	s_delay_alu instid0(VALU_DEP_1) | instskip(SKIP_2) | instid1(VALU_DEP_1)
	v_add_f64 v[10:11], v[10:11], s[12:13]
	s_mov_b32 s12, 0x537c9ebc
	s_mov_b32 s13, 0xbfab1bbc
	v_fma_f64 v[8:9], v[6:7], v[10:11], -v[8:9]
	s_delay_alu instid0(VALU_DEP_1) | instskip(SKIP_2) | instid1(VALU_DEP_1)
	v_add_f64 v[8:9], v[8:9], s[12:13]
	s_mov_b32 s12, 0xd536f53c
	s_mov_b32 s13, 0x3fba46da
	v_fma_f64 v[10:11], v[6:7], v[8:9], -v[10:11]
	s_delay_alu instid0(VALU_DEP_1) | instskip(SKIP_2) | instid1(VALU_DEP_1)
	v_add_f64 v[10:11], v[10:11], s[12:13]
	s_mov_b32 s12, 0x469192e
	s_mov_b32 s13, 0xbfc694d1
	v_fma_f64 v[8:9], v[6:7], v[10:11], -v[8:9]
	s_delay_alu instid0(VALU_DEP_1) | instskip(SKIP_2) | instid1(VALU_DEP_1)
	v_add_f64 v[8:9], v[8:9], s[12:13]
	s_mov_b32 s12, 0x724a7ffa
	s_mov_b32 s13, 0x3fd02a63
	v_fma_f64 v[6:7], v[6:7], v[8:9], -v[10:11]
                                        ; implicit-def: $vgpr8_vgpr9
	s_delay_alu instid0(VALU_DEP_1) | instskip(NEXT) | instid1(VALU_DEP_1)
	v_add_f64 v[6:7], v[6:7], s[12:13]
	v_add_f64 v[6:7], v[6:7], -v[10:11]
	v_cmpx_ngt_f64_e32 0, v[2:3]
	s_xor_b32 s1, exec_lo, s1
	s_cbranch_execz .LBB8_1503
; %bb.1502:
	s_mov_b32 s12, 0x652b82fe
	s_mov_b32 s13, 0x3ff71547
	;; [unrolled: 1-line block ×3, first 2 shown]
	v_mul_f64 v[8:9], |v[2:3]|, s[12:13]
	s_mov_b32 s12, 0xfefa39ef
	s_mov_b32 s13, 0xbfe62e42
	;; [unrolled: 1-line block ×3, first 2 shown]
	s_delay_alu instid0(VALU_DEP_3) | instskip(SKIP_1) | instid1(VALU_DEP_3)
	v_mul_f64 v[6:7], v[6:7], 0.5
	v_cmp_nlt_f64_e64 vcc_lo, 0x40900000, |v[2:3]|
	v_rndne_f64_e32 v[8:9], v[8:9]
	s_delay_alu instid0(VALU_DEP_1) | instskip(SKIP_4) | instid1(VALU_DEP_3)
	v_fma_f64 v[10:11], v[8:9], s[12:13], |v[2:3]|
	s_mov_b32 s12, 0x3b39803f
	s_mov_b32 s13, 0xbc7abc9e
	v_cvt_i32_f64_e32 v13, v[8:9]
	v_mul_f64 v[2:3], |v[2:3]|, v[6:7]
	v_fma_f64 v[10:11], v[8:9], s[12:13], v[10:11]
	s_mov_b32 s12, 0xfca7ab0c
	s_mov_b32 s13, 0x3e928af3
	s_delay_alu instid0(VALU_DEP_1) | instid1(SALU_CYCLE_1)
	v_fma_f64 v[17:18], v[10:11], s[14:15], s[12:13]
	s_mov_b32 s12, 0x623fde64
	s_mov_b32 s13, 0x3ec71dee
	s_delay_alu instid0(VALU_DEP_1) | instid1(SALU_CYCLE_1)
	;; [unrolled: 4-line block ×9, first 2 shown]
	v_fma_f64 v[17:18], v[10:11], v[17:18], s[12:13]
	s_delay_alu instid0(VALU_DEP_1) | instskip(NEXT) | instid1(VALU_DEP_1)
	v_fma_f64 v[17:18], v[10:11], v[17:18], 1.0
	v_fma_f64 v[8:9], v[10:11], v[17:18], 1.0
	s_delay_alu instid0(VALU_DEP_1) | instskip(NEXT) | instid1(VALU_DEP_1)
	v_ldexp_f64 v[8:9], v[8:9], v13
	v_cndmask_b32_e32 v7, 0x7ff00000, v9, vcc_lo
	s_delay_alu instid0(VALU_DEP_2) | instskip(NEXT) | instid1(VALU_DEP_1)
	v_cndmask_b32_e32 v6, 0, v8, vcc_lo
	v_mul_f64 v[8:9], v[6:7], v[2:3]
                                        ; implicit-def: $vgpr2_vgpr3
                                        ; implicit-def: $vgpr6_vgpr7
.LBB8_1503:
	s_and_not1_saveexec_b32 s1, s1
	s_cbranch_execz .LBB8_1505
; %bb.1504:
	s_mov_b32 s12, 0x652b82fe
	s_mov_b32 s13, 0x3ff71547
	;; [unrolled: 1-line block ×3, first 2 shown]
	v_mul_f64 v[8:9], |v[2:3]|, s[12:13]
	s_mov_b32 s12, 0xfefa39ef
	s_mov_b32 s13, 0xbfe62e42
	;; [unrolled: 1-line block ×3, first 2 shown]
	s_delay_alu instid0(VALU_DEP_3) | instskip(SKIP_1) | instid1(VALU_DEP_3)
	v_mul_f64 v[6:7], v[6:7], -0.5
	v_cmp_nlt_f64_e64 vcc_lo, 0x40900000, |v[2:3]|
	v_rndne_f64_e32 v[8:9], v[8:9]
	s_delay_alu instid0(VALU_DEP_1) | instskip(SKIP_4) | instid1(VALU_DEP_3)
	v_fma_f64 v[10:11], v[8:9], s[12:13], |v[2:3]|
	s_mov_b32 s12, 0x3b39803f
	s_mov_b32 s13, 0xbc7abc9e
	v_cvt_i32_f64_e32 v13, v[8:9]
	v_mul_f64 v[2:3], |v[2:3]|, v[6:7]
	v_fma_f64 v[10:11], v[8:9], s[12:13], v[10:11]
	s_mov_b32 s12, 0xfca7ab0c
	s_mov_b32 s13, 0x3e928af3
	s_delay_alu instid0(VALU_DEP_1) | instid1(SALU_CYCLE_1)
	v_fma_f64 v[17:18], v[10:11], s[14:15], s[12:13]
	s_mov_b32 s12, 0x623fde64
	s_mov_b32 s13, 0x3ec71dee
	s_delay_alu instid0(VALU_DEP_1) | instid1(SALU_CYCLE_1)
	;; [unrolled: 4-line block ×9, first 2 shown]
	v_fma_f64 v[17:18], v[10:11], v[17:18], s[12:13]
	s_delay_alu instid0(VALU_DEP_1) | instskip(NEXT) | instid1(VALU_DEP_1)
	v_fma_f64 v[17:18], v[10:11], v[17:18], 1.0
	v_fma_f64 v[8:9], v[10:11], v[17:18], 1.0
	s_delay_alu instid0(VALU_DEP_1) | instskip(NEXT) | instid1(VALU_DEP_1)
	v_ldexp_f64 v[8:9], v[8:9], v13
	v_cndmask_b32_e32 v7, 0x7ff00000, v9, vcc_lo
	s_delay_alu instid0(VALU_DEP_2) | instskip(NEXT) | instid1(VALU_DEP_1)
	v_cndmask_b32_e32 v6, 0, v8, vcc_lo
	v_mul_f64 v[8:9], v[6:7], v[2:3]
.LBB8_1505:
	s_or_b32 exec_lo, exec_lo, s1
                                        ; implicit-def: $vgpr2_vgpr3
.LBB8_1506:
	s_and_not1_saveexec_b32 s0, s0
	s_cbranch_execz .LBB8_1512
; %bb.1507:
	v_dual_mov_b32 v6, v2 :: v_dual_and_b32 v7, 0x7fffffff, v3
	s_mov_b32 s12, 0xea87b950
	s_mov_b32 s13, 0x3c545b8a
	;; [unrolled: 1-line block ×4, first 2 shown]
	v_div_scale_f64 v[8:9], null, v[6:7], v[6:7], 0x40400000
	v_div_scale_f64 v[6:7], vcc_lo, 0x40400000, v[6:7], 0x40400000
	s_mov_b32 s16, 0x2e9e5443
	s_mov_b32 s17, 0xbe90dbfd
	s_mov_b32 s1, exec_lo
	s_delay_alu instid0(VALU_DEP_2) | instskip(SKIP_2) | instid1(VALU_DEP_1)
	v_rcp_f64_e32 v[10:11], v[8:9]
	s_waitcnt_depctr 0xfff
	v_fma_f64 v[17:18], -v[8:9], v[10:11], 1.0
	v_fma_f64 v[10:11], v[10:11], v[17:18], v[10:11]
	s_delay_alu instid0(VALU_DEP_1) | instskip(NEXT) | instid1(VALU_DEP_1)
	v_fma_f64 v[17:18], -v[8:9], v[10:11], 1.0
	v_fma_f64 v[10:11], v[10:11], v[17:18], v[10:11]
	s_delay_alu instid0(VALU_DEP_1) | instskip(NEXT) | instid1(VALU_DEP_1)
	v_mul_f64 v[17:18], v[6:7], v[10:11]
	v_fma_f64 v[6:7], -v[8:9], v[17:18], v[6:7]
	s_delay_alu instid0(VALU_DEP_1) | instskip(NEXT) | instid1(VALU_DEP_1)
	v_div_fmas_f64 v[6:7], v[6:7], v[10:11], v[17:18]
	v_div_fixup_f64 v[6:7], v[6:7], |v[2:3]|, 0x40400000
	s_delay_alu instid0(VALU_DEP_1) | instskip(NEXT) | instid1(VALU_DEP_1)
	v_add_f64 v[6:7], v[6:7], -2.0
	v_fma_f64 v[8:9], v[6:7], s[14:15], s[12:13]
	s_mov_b32 s15, 0xbc61556d
	s_mov_b32 s12, 0xb2532277
	;; [unrolled: 1-line block ×3, first 2 shown]
	s_delay_alu instid0(VALU_DEP_1) | instskip(SKIP_2) | instid1(VALU_DEP_1)
	v_fma_f64 v[10:11], v[6:7], v[8:9], s[14:15]
	s_mov_b32 s14, 0x9ad53528
	s_mov_b32 s15, 0xbe30790b
	v_add_f64 v[10:11], v[10:11], s[12:13]
	s_mov_b32 s12, 0x9c773320
	s_mov_b32 s13, 0xbc82806c
	s_delay_alu instid0(VALU_DEP_1) | instskip(NEXT) | instid1(VALU_DEP_1)
	v_fma_f64 v[8:9], v[6:7], v[10:11], -v[8:9]
	v_add_f64 v[8:9], v[8:9], s[12:13]
	s_mov_b32 s12, 0xfceb588a
	s_mov_b32 s13, 0x3cb55915
	s_delay_alu instid0(VALU_DEP_1) | instskip(NEXT) | instid1(VALU_DEP_1)
	v_fma_f64 v[10:11], v[6:7], v[8:9], -v[10:11]
	;; [unrolled: 5-line block ×15, first 2 shown]
	v_add_f64 v[8:9], v[8:9], s[12:13]
	s_mov_b32 s12, 0x652b82fe
	s_mov_b32 s13, 0x3ff71547
	s_delay_alu instid0(SALU_CYCLE_1) | instskip(SKIP_2) | instid1(VALU_DEP_2)
	v_mul_f64 v[17:18], |v[2:3]|, s[12:13]
	s_mov_b32 s12, 0xfefa39ef
	s_mov_b32 s13, 0xbfe62e42
	v_fma_f64 v[10:11], v[6:7], v[8:9], -v[10:11]
	s_delay_alu instid0(VALU_DEP_2) | instskip(NEXT) | instid1(VALU_DEP_2)
	v_rndne_f64_e32 v[17:18], v[17:18]
	v_add_f64 v[10:11], v[10:11], s[14:15]
	s_mov_b32 s14, 0x94bb46c1
	s_mov_b32 s15, 0xbe5c4153
	s_delay_alu instid0(VALU_DEP_2) | instskip(SKIP_3) | instid1(VALU_DEP_3)
	v_fma_f64 v[19:20], v[17:18], s[12:13], |v[2:3]|
	s_mov_b32 s12, 0x3b39803f
	s_mov_b32 s13, 0xbc7abc9e
	v_cvt_i32_f64_e32 v13, v[17:18]
	v_fma_f64 v[8:9], v[6:7], v[10:11], -v[8:9]
	s_delay_alu instid0(VALU_DEP_3) | instskip(SKIP_2) | instid1(VALU_DEP_2)
	v_fma_f64 v[19:20], v[17:18], s[12:13], v[19:20]
	s_mov_b32 s12, 0xfca7ab0c
	s_mov_b32 s13, 0x3e928af3
	v_add_f64 v[8:9], v[8:9], s[14:15]
	s_mov_b32 s14, 0x6a5dcb37
	s_mov_b32 s15, 0x3e5ade15
	s_delay_alu instid0(VALU_DEP_2) | instid1(SALU_CYCLE_1)
	v_fma_f64 v[21:22], v[19:20], s[14:15], s[12:13]
	s_mov_b32 s12, 0x623fde64
	s_mov_b32 s13, 0x3ec71dee
	;; [unrolled: 1-line block ×4, first 2 shown]
	s_delay_alu instid0(VALU_DEP_2) | instskip(NEXT) | instid1(VALU_DEP_2)
	v_fma_f64 v[10:11], v[6:7], v[8:9], -v[10:11]
	v_fma_f64 v[21:22], v[19:20], v[21:22], s[12:13]
	s_mov_b32 s12, 0x7c89e6b0
	s_mov_b32 s13, 0x3efa0199
	s_delay_alu instid0(VALU_DEP_2) | instskip(NEXT) | instid1(VALU_DEP_2)
	v_add_f64 v[10:11], v[10:11], s[16:17]
	v_fma_f64 v[21:22], v[19:20], v[21:22], s[12:13]
	s_mov_b32 s12, 0x14761f6e
	s_mov_b32 s13, 0x3f2a01a0
	s_delay_alu instid0(VALU_DEP_2) | instskip(NEXT) | instid1(VALU_DEP_2)
	v_fma_f64 v[8:9], v[6:7], v[10:11], -v[8:9]
	v_fma_f64 v[21:22], v[19:20], v[21:22], s[12:13]
	s_mov_b32 s12, 0x1852b7b0
	s_mov_b32 s13, 0x3f56c16c
	s_delay_alu instid0(VALU_DEP_2) | instskip(SKIP_2) | instid1(VALU_DEP_2)
	v_add_f64 v[8:9], v[8:9], s[14:15]
	s_mov_b32 s14, 0x804aa9a6
	s_mov_b32 s15, 0xbf1cfd7f
	v_fma_f64 v[21:22], v[19:20], v[21:22], s[12:13]
	s_mov_b32 s12, 0x11122322
	s_mov_b32 s13, 0x3f811111
	s_delay_alu instid0(VALU_DEP_2) | instskip(NEXT) | instid1(VALU_DEP_2)
	v_fma_f64 v[10:11], v[6:7], v[8:9], -v[10:11]
	v_fma_f64 v[21:22], v[19:20], v[21:22], s[12:13]
	s_mov_b32 s12, 0x555502a1
	s_mov_b32 s13, 0x3fa55555
	s_delay_alu instid0(VALU_DEP_2) | instskip(SKIP_2) | instid1(VALU_DEP_2)
	v_add_f64 v[10:11], v[10:11], s[14:15]
	s_mov_b32 s14, 0x53fcdb4c
	s_mov_b32 s15, 0xbf83fda0
	v_fma_f64 v[21:22], v[19:20], v[21:22], s[12:13]
	s_mov_b32 s12, 0x55555511
	s_mov_b32 s13, 0x3fc55555
	s_delay_alu instid0(VALU_DEP_2) | instskip(NEXT) | instid1(VALU_DEP_2)
	v_fma_f64 v[8:9], v[6:7], v[10:11], -v[8:9]
	v_fma_f64 v[21:22], v[19:20], v[21:22], s[12:13]
	s_mov_b32 s12, 11
	s_mov_b32 s13, 0x3fe00000
	s_delay_alu instid0(VALU_DEP_2) | instskip(SKIP_2) | instid1(VALU_DEP_1)
	v_add_f64 v[8:9], v[8:9], s[14:15]
	s_mov_b32 s14, 0xb55b1514
	s_mov_b32 s15, 0x3fe8ea18
	v_fma_f64 v[6:7], v[6:7], v[8:9], -v[10:11]
	s_delay_alu instid0(VALU_DEP_3) | instskip(NEXT) | instid1(VALU_DEP_2)
	v_fma_f64 v[8:9], v[19:20], v[21:22], s[12:13]
	v_add_f64 v[6:7], v[6:7], s[14:15]
	s_delay_alu instid0(VALU_DEP_2) | instskip(NEXT) | instid1(VALU_DEP_2)
	v_fma_f64 v[8:9], v[19:20], v[8:9], 1.0
	v_add_f64 v[6:7], v[6:7], -v[10:11]
	s_delay_alu instid0(VALU_DEP_2) | instskip(NEXT) | instid1(VALU_DEP_2)
	v_fma_f64 v[10:11], v[19:20], v[8:9], 1.0
                                        ; implicit-def: $vgpr8_vgpr9
	v_mul_f64 v[6:7], v[6:7], 0.5
	v_cmpx_ngt_f64_e32 0, v[2:3]
	s_xor_b32 s1, exec_lo, s1
	s_cbranch_execz .LBB8_1509
; %bb.1508:
	v_cmp_gt_f64_e64 s11, 0x10000000, |v[2:3]|
	s_delay_alu instid0(VALU_DEP_4) | instskip(SKIP_1) | instid1(VALU_DEP_3)
	v_ldexp_f64 v[10:11], v[10:11], v13
	v_cmp_nlt_f64_e64 vcc_lo, 0x40900000, |v[2:3]|
	v_cndmask_b32_e64 v8, 0, 1, s11
	v_cndmask_b32_e64 v13, 0, 0xffffff80, s11
	s_delay_alu instid0(VALU_DEP_2) | instskip(NEXT) | instid1(VALU_DEP_1)
	v_dual_cndmask_b32 v11, 0x7ff00000, v11 :: v_dual_lshlrev_b32 v8, 8, v8
	v_ldexp_f64 v[8:9], |v[2:3]|, v8
	s_delay_alu instid0(VALU_DEP_1) | instskip(SKIP_3) | instid1(VALU_DEP_1)
	v_rsq_f64_e32 v[17:18], v[8:9]
	s_waitcnt_depctr 0xfff
	v_mul_f64 v[19:20], v[8:9], v[17:18]
	v_mul_f64 v[17:18], v[17:18], 0.5
	v_fma_f64 v[21:22], -v[17:18], v[19:20], 0.5
	s_delay_alu instid0(VALU_DEP_1) | instskip(SKIP_1) | instid1(VALU_DEP_2)
	v_fma_f64 v[19:20], v[19:20], v[21:22], v[19:20]
	v_fma_f64 v[17:18], v[17:18], v[21:22], v[17:18]
	v_fma_f64 v[21:22], -v[19:20], v[19:20], v[8:9]
	s_delay_alu instid0(VALU_DEP_1) | instskip(NEXT) | instid1(VALU_DEP_1)
	v_fma_f64 v[19:20], v[21:22], v[17:18], v[19:20]
	v_fma_f64 v[21:22], -v[19:20], v[19:20], v[8:9]
	s_delay_alu instid0(VALU_DEP_1) | instskip(NEXT) | instid1(VALU_DEP_1)
	v_fma_f64 v[2:3], v[21:22], v[17:18], v[19:20]
	v_ldexp_f64 v[2:3], v[2:3], v13
	v_cndmask_b32_e32 v10, 0, v10, vcc_lo
	v_cmp_class_f64_e64 vcc_lo, v[8:9], 0x260
                                        ; implicit-def: $vgpr13
	s_delay_alu instid0(VALU_DEP_3) | instskip(NEXT) | instid1(VALU_DEP_3)
	v_cndmask_b32_e32 v3, v3, v9, vcc_lo
	v_mul_f64 v[6:7], v[10:11], v[6:7]
	v_cndmask_b32_e32 v2, v2, v8, vcc_lo
	s_delay_alu instid0(VALU_DEP_1) | instskip(NEXT) | instid1(VALU_DEP_1)
	v_div_scale_f64 v[8:9], null, v[2:3], v[2:3], v[6:7]
	v_rcp_f64_e32 v[10:11], v[8:9]
	s_waitcnt_depctr 0xfff
	v_fma_f64 v[17:18], -v[8:9], v[10:11], 1.0
	s_delay_alu instid0(VALU_DEP_1) | instskip(NEXT) | instid1(VALU_DEP_1)
	v_fma_f64 v[10:11], v[10:11], v[17:18], v[10:11]
	v_fma_f64 v[17:18], -v[8:9], v[10:11], 1.0
	s_delay_alu instid0(VALU_DEP_1) | instskip(SKIP_1) | instid1(VALU_DEP_1)
	v_fma_f64 v[10:11], v[10:11], v[17:18], v[10:11]
	v_div_scale_f64 v[17:18], vcc_lo, v[6:7], v[2:3], v[6:7]
	v_mul_f64 v[19:20], v[17:18], v[10:11]
	s_delay_alu instid0(VALU_DEP_1) | instskip(NEXT) | instid1(VALU_DEP_1)
	v_fma_f64 v[8:9], -v[8:9], v[19:20], v[17:18]
	v_div_fmas_f64 v[8:9], v[8:9], v[10:11], v[19:20]
                                        ; implicit-def: $vgpr10_vgpr11
	s_delay_alu instid0(VALU_DEP_1)
	v_div_fixup_f64 v[8:9], v[8:9], v[2:3], v[6:7]
                                        ; implicit-def: $vgpr2_vgpr3
                                        ; implicit-def: $vgpr6_vgpr7
.LBB8_1509:
	s_and_not1_saveexec_b32 s1, s1
	s_cbranch_execz .LBB8_1511
; %bb.1510:
	v_cmp_gt_f64_e64 s11, 0x10000000, |v[2:3]|
	s_delay_alu instid0(VALU_DEP_4) | instskip(SKIP_1) | instid1(VALU_DEP_3)
	v_ldexp_f64 v[10:11], -v[10:11], v13
	v_cmp_nlt_f64_e64 vcc_lo, 0x40900000, |v[2:3]|
	v_cndmask_b32_e64 v8, 0, 1, s11
	v_cndmask_b32_e64 v13, 0, 0xffffff80, s11
	s_delay_alu instid0(VALU_DEP_2) | instskip(NEXT) | instid1(VALU_DEP_1)
	v_dual_cndmask_b32 v11, 0xfff00000, v11 :: v_dual_lshlrev_b32 v8, 8, v8
	v_ldexp_f64 v[8:9], |v[2:3]|, v8
	s_delay_alu instid0(VALU_DEP_1) | instskip(SKIP_3) | instid1(VALU_DEP_1)
	v_rsq_f64_e32 v[17:18], v[8:9]
	s_waitcnt_depctr 0xfff
	v_mul_f64 v[19:20], v[8:9], v[17:18]
	v_mul_f64 v[17:18], v[17:18], 0.5
	v_fma_f64 v[21:22], -v[17:18], v[19:20], 0.5
	s_delay_alu instid0(VALU_DEP_1) | instskip(SKIP_1) | instid1(VALU_DEP_2)
	v_fma_f64 v[19:20], v[19:20], v[21:22], v[19:20]
	v_fma_f64 v[17:18], v[17:18], v[21:22], v[17:18]
	v_fma_f64 v[21:22], -v[19:20], v[19:20], v[8:9]
	s_delay_alu instid0(VALU_DEP_1) | instskip(NEXT) | instid1(VALU_DEP_1)
	v_fma_f64 v[19:20], v[21:22], v[17:18], v[19:20]
	v_fma_f64 v[21:22], -v[19:20], v[19:20], v[8:9]
	s_delay_alu instid0(VALU_DEP_1) | instskip(NEXT) | instid1(VALU_DEP_1)
	v_fma_f64 v[2:3], v[21:22], v[17:18], v[19:20]
	v_ldexp_f64 v[2:3], v[2:3], v13
	v_cndmask_b32_e32 v10, 0, v10, vcc_lo
	v_cmp_class_f64_e64 vcc_lo, v[8:9], 0x260
	s_delay_alu instid0(VALU_DEP_3) | instskip(NEXT) | instid1(VALU_DEP_3)
	v_cndmask_b32_e32 v3, v3, v9, vcc_lo
	v_mul_f64 v[6:7], v[10:11], v[6:7]
	v_cndmask_b32_e32 v2, v2, v8, vcc_lo
	s_delay_alu instid0(VALU_DEP_1) | instskip(NEXT) | instid1(VALU_DEP_1)
	v_div_scale_f64 v[8:9], null, v[2:3], v[2:3], v[6:7]
	v_rcp_f64_e32 v[10:11], v[8:9]
	s_waitcnt_depctr 0xfff
	v_fma_f64 v[17:18], -v[8:9], v[10:11], 1.0
	s_delay_alu instid0(VALU_DEP_1) | instskip(NEXT) | instid1(VALU_DEP_1)
	v_fma_f64 v[10:11], v[10:11], v[17:18], v[10:11]
	v_fma_f64 v[17:18], -v[8:9], v[10:11], 1.0
	s_delay_alu instid0(VALU_DEP_1) | instskip(SKIP_1) | instid1(VALU_DEP_1)
	v_fma_f64 v[10:11], v[10:11], v[17:18], v[10:11]
	v_div_scale_f64 v[17:18], vcc_lo, v[6:7], v[2:3], v[6:7]
	v_mul_f64 v[19:20], v[17:18], v[10:11]
	s_delay_alu instid0(VALU_DEP_1) | instskip(NEXT) | instid1(VALU_DEP_1)
	v_fma_f64 v[8:9], -v[8:9], v[19:20], v[17:18]
	v_div_fmas_f64 v[8:9], v[8:9], v[10:11], v[19:20]
	s_delay_alu instid0(VALU_DEP_1)
	v_div_fixup_f64 v[8:9], v[8:9], v[2:3], v[6:7]
.LBB8_1511:
	s_or_b32 exec_lo, exec_lo, s1
.LBB8_1512:
	s_delay_alu instid0(SALU_CYCLE_1) | instskip(SKIP_2) | instid1(VALU_DEP_2)
	s_or_b32 exec_lo, exec_lo, s0
	v_add_nc_u32_e32 v2, s3, v12
	v_cmp_gt_i16_e32 vcc_lo, 11, v16
	v_ashrrev_i32_e32 v3, 31, v2
	v_add_co_u32 v6, s0, s6, v2
	s_delay_alu instid0(VALU_DEP_1)
	v_add_co_ci_u32_e64 v7, s0, s7, v3, s0
	s_cbranch_vccnz .LBB8_1519
; %bb.1513:
	v_cmp_lt_i16_e32 vcc_lo, 25, v16
	s_mov_b32 s6, 0
	s_cbranch_vccz .LBB8_1520
; %bb.1514:
	v_cmp_lt_i16_e32 vcc_lo, 28, v16
	s_cbranch_vccz .LBB8_1521
; %bb.1515:
	v_cmp_lt_i16_e32 vcc_lo, 43, v16
	;; [unrolled: 3-line block ×3, first 2 shown]
	s_cbranch_vccz .LBB8_1525
; %bb.1517:
	v_cmp_eq_u16_e32 vcc_lo, 46, v16
	s_mov_b32 s1, 0
	s_cbranch_vccz .LBB8_1528
; %bb.1518:
	global_load_b32 v2, v[6:7], off
	s_mov_b32 s3, 0
	s_mov_b32 s0, -1
	s_waitcnt vmcnt(0)
	v_lshlrev_b32_e32 v2, 16, v2
	s_delay_alu instid0(VALU_DEP_1)
	v_cvt_f64_f32_e32 v[2:3], v2
	s_branch .LBB8_1530
.LBB8_1519:
	s_mov_b32 s1, -1
	s_mov_b32 s0, 0
                                        ; implicit-def: $vgpr2_vgpr3
	s_branch .LBB8_1596
.LBB8_1520:
	s_mov_b32 s1, -1
	s_mov_b32 s0, 0
	s_mov_b32 s3, 0
                                        ; implicit-def: $vgpr2_vgpr3
	s_branch .LBB8_1561
.LBB8_1521:
	s_mov_b32 s1, -1
	s_mov_b32 s0, 0
	s_mov_b32 s3, 0
                                        ; implicit-def: $vgpr2_vgpr3
	s_branch .LBB8_1540
.LBB8_1522:
	s_mov_b32 s1, -1
	s_mov_b32 s0, 0
	s_mov_b32 s3, 0
                                        ; implicit-def: $vgpr2_vgpr3
	s_branch .LBB8_1535
.LBB8_1523:
	s_cbranch_execnz .LBB8_1526
; %bb.1524:
	s_or_b32 s8, s8, exec_lo
                                        ; implicit-def: $vgpr2_vgpr3
	s_cbranch_execz .LBB8_1497
	s_branch .LBB8_1498
.LBB8_1525:
	s_mov_b32 s1, -1
	s_mov_b32 s0, 0
	s_mov_b32 s3, 0
	s_branch .LBB8_1529
.LBB8_1526:
	s_trap 2
	s_sendmsg_rtn_b32 s0, sendmsg(MSG_RTN_GET_DOORBELL)
	s_mov_b32 ttmp2, m0
	s_waitcnt lgkmcnt(0)
	s_and_b32 s0, s0, 0x3ff
	s_delay_alu instid0(SALU_CYCLE_1) | instskip(NEXT) | instid1(SALU_CYCLE_1)
	s_bitset1_b32 s0, 10
	s_mov_b32 m0, s0
	s_sendmsg sendmsg(MSG_INTERRUPT)
	s_mov_b32 m0, ttmp2
.LBB8_1527:                             ; =>This Inner Loop Header: Depth=1
	s_sethalt 5
	s_branch .LBB8_1527
.LBB8_1528:
	s_mov_b32 s3, -1
	s_mov_b32 s0, 0
.LBB8_1529:
                                        ; implicit-def: $vgpr2_vgpr3
.LBB8_1530:
	s_and_b32 vcc_lo, exec_lo, s1
	s_cbranch_vccz .LBB8_1534
; %bb.1531:
	v_cmp_eq_u16_e32 vcc_lo, 44, v16
	s_cbranch_vccz .LBB8_1533
; %bb.1532:
	global_load_u8 v10, v[6:7], off
	s_mov_b32 s3, 0
	s_mov_b32 s0, -1
	s_waitcnt vmcnt(0)
	v_cmp_ne_u32_e32 vcc_lo, 0xff, v10
	v_lshlrev_b32_e32 v2, 23, v10
	s_delay_alu instid0(VALU_DEP_1) | instskip(NEXT) | instid1(VALU_DEP_1)
	v_cvt_f64_f32_e32 v[2:3], v2
	v_cndmask_b32_e32 v3, 0x7ff80000, v3, vcc_lo
	s_delay_alu instid0(VALU_DEP_2) | instskip(SKIP_1) | instid1(VALU_DEP_3)
	v_cndmask_b32_e32 v2, 0x20000000, v2, vcc_lo
	v_cmp_ne_u32_e32 vcc_lo, 0, v10
	v_cndmask_b32_e32 v3, 0x38000000, v3, vcc_lo
	s_delay_alu instid0(VALU_DEP_3)
	v_cndmask_b32_e32 v2, 0, v2, vcc_lo
	s_branch .LBB8_1534
.LBB8_1533:
	s_mov_b32 s3, -1
                                        ; implicit-def: $vgpr2_vgpr3
.LBB8_1534:
	s_mov_b32 s1, 0
.LBB8_1535:
	s_delay_alu instid0(SALU_CYCLE_1)
	s_and_b32 vcc_lo, exec_lo, s1
	s_cbranch_vccz .LBB8_1539
; %bb.1536:
	v_cmp_eq_u16_e32 vcc_lo, 29, v16
	s_cbranch_vccz .LBB8_1538
; %bb.1537:
	global_load_b64 v[2:3], v[6:7], off
	s_mov_b32 s3, 0
	s_mov_b32 s0, -1
	s_mov_b32 s1, 0
	s_waitcnt vmcnt(0)
	v_cvt_f64_u32_e32 v[10:11], v3
	v_cvt_f64_u32_e32 v[2:3], v2
	s_delay_alu instid0(VALU_DEP_2) | instskip(NEXT) | instid1(VALU_DEP_1)
	v_ldexp_f64 v[10:11], v[10:11], 32
	v_add_f64 v[2:3], v[10:11], v[2:3]
	s_branch .LBB8_1540
.LBB8_1538:
	s_mov_b32 s3, -1
                                        ; implicit-def: $vgpr2_vgpr3
.LBB8_1539:
	s_mov_b32 s1, 0
.LBB8_1540:
	s_delay_alu instid0(SALU_CYCLE_1)
	s_and_b32 vcc_lo, exec_lo, s1
	s_cbranch_vccz .LBB8_1560
; %bb.1541:
	v_cmp_gt_i16_e32 vcc_lo, 27, v16
	s_cbranch_vccnz .LBB8_1544
; %bb.1542:
	v_cmp_lt_i16_e32 vcc_lo, 27, v16
	s_cbranch_vccz .LBB8_1545
; %bb.1543:
	global_load_b32 v2, v[6:7], off
	s_mov_b32 s0, 0
	s_waitcnt vmcnt(0)
	v_cvt_f64_u32_e32 v[2:3], v2
	s_branch .LBB8_1546
.LBB8_1544:
	s_mov_b32 s0, -1
                                        ; implicit-def: $vgpr2_vgpr3
	s_branch .LBB8_1549
.LBB8_1545:
	s_mov_b32 s0, -1
                                        ; implicit-def: $vgpr2_vgpr3
.LBB8_1546:
	s_delay_alu instid0(SALU_CYCLE_1)
	s_and_not1_b32 vcc_lo, exec_lo, s0
	s_cbranch_vccnz .LBB8_1548
; %bb.1547:
	global_load_u16 v2, v[6:7], off
	s_waitcnt vmcnt(0)
	v_cvt_f64_u32_e32 v[2:3], v2
.LBB8_1548:
	s_mov_b32 s0, 0
.LBB8_1549:
	s_delay_alu instid0(SALU_CYCLE_1)
	s_and_not1_b32 vcc_lo, exec_lo, s0
	s_cbranch_vccnz .LBB8_1559
; %bb.1550:
	global_load_u8 v10, v[6:7], off
	s_mov_b32 s7, 0
	s_mov_b32 s11, exec_lo
                                        ; implicit-def: $sgpr0_sgpr1
	s_waitcnt vmcnt(0)
	v_cmpx_lt_i16_e32 0x7f, v10
	s_xor_b32 s11, exec_lo, s11
	s_cbranch_execz .LBB8_1554
; %bb.1551:
	s_mov_b32 s12, -1
	s_mov_b32 s7, exec_lo
                                        ; implicit-def: $sgpr0_sgpr1
	v_cmpx_eq_u16_e32 0x80, v10
; %bb.1552:
	s_mov_b32 s1, 0x7ff80000
	s_brev_b32 s0, 4
	s_xor_b32 s12, exec_lo, -1
; %bb.1553:
	s_or_b32 exec_lo, exec_lo, s7
	s_delay_alu instid0(SALU_CYCLE_1)
	s_and_b32 s7, s12, exec_lo
.LBB8_1554:
	s_or_saveexec_b32 s11, s11
	v_dual_mov_b32 v3, s1 :: v_dual_mov_b32 v2, s0
	s_xor_b32 exec_lo, exec_lo, s11
; %bb.1555:
	v_cmp_ne_u16_e32 vcc_lo, 0, v10
	v_mov_b32_e32 v2, 0
	v_mov_b32_e32 v3, 0
	s_and_not1_b32 s0, s7, exec_lo
	s_and_b32 s1, vcc_lo, exec_lo
	s_delay_alu instid0(SALU_CYCLE_1)
	s_or_b32 s7, s0, s1
; %bb.1556:
	s_or_b32 exec_lo, exec_lo, s11
	s_and_saveexec_b32 s0, s7
	s_cbranch_execz .LBB8_1558
; %bb.1557:
	v_and_b32_e32 v2, 0xffff, v10
	v_lshlrev_b32_e32 v10, 24, v10
	s_delay_alu instid0(VALU_DEP_2) | instskip(NEXT) | instid1(VALU_DEP_2)
	v_and_b32_e32 v3, 7, v2
	v_and_b32_e32 v10, 0x80000000, v10
	s_delay_alu instid0(VALU_DEP_2) | instskip(NEXT) | instid1(VALU_DEP_1)
	v_clz_i32_u32_e32 v11, v3
	v_min_u32_e32 v11, 32, v11
	s_delay_alu instid0(VALU_DEP_1) | instskip(SKIP_1) | instid1(VALU_DEP_2)
	v_subrev_nc_u32_e32 v12, 28, v11
	v_sub_nc_u32_e32 v11, 29, v11
	v_lshlrev_b32_e32 v12, v12, v2
	v_bfe_u32 v2, v2, 3, 4
	s_delay_alu instid0(VALU_DEP_2) | instskip(NEXT) | instid1(VALU_DEP_2)
	v_and_b32_e32 v12, 7, v12
	v_cmp_eq_u32_e32 vcc_lo, 0, v2
	s_delay_alu instid0(VALU_DEP_2) | instskip(NEXT) | instid1(VALU_DEP_1)
	v_dual_cndmask_b32 v2, v2, v11 :: v_dual_cndmask_b32 v3, v3, v12
	v_lshl_add_u32 v2, v2, 23, 0x3b800000
	s_delay_alu instid0(VALU_DEP_2) | instskip(NEXT) | instid1(VALU_DEP_1)
	v_lshlrev_b32_e32 v3, 20, v3
	v_or3_b32 v2, v10, v2, v3
	s_delay_alu instid0(VALU_DEP_1)
	v_cvt_f64_f32_e32 v[2:3], v2
.LBB8_1558:
	s_or_b32 exec_lo, exec_lo, s0
.LBB8_1559:
	s_mov_b32 s0, -1
.LBB8_1560:
	s_mov_b32 s1, 0
.LBB8_1561:
	s_delay_alu instid0(SALU_CYCLE_1)
	s_and_b32 vcc_lo, exec_lo, s1
	s_cbranch_vccz .LBB8_1592
; %bb.1562:
	v_cmp_lt_i16_e32 vcc_lo, 22, v16
	s_cbranch_vccz .LBB8_1574
; %bb.1563:
	v_cmp_gt_i16_e32 vcc_lo, 24, v16
	s_cbranch_vccnz .LBB8_1575
; %bb.1564:
	v_cmp_lt_i16_e32 vcc_lo, 24, v16
	s_cbranch_vccz .LBB8_1576
; %bb.1565:
	global_load_u8 v10, v[6:7], off
	s_mov_b32 s7, exec_lo
                                        ; implicit-def: $sgpr0_sgpr1
	s_waitcnt vmcnt(0)
	v_cmpx_lt_i16_e32 0x7f, v10
	s_xor_b32 s7, exec_lo, s7
	s_cbranch_execz .LBB8_1569
; %bb.1566:
	s_mov_b32 s11, -1
	s_mov_b32 s6, exec_lo
                                        ; implicit-def: $sgpr0_sgpr1
	v_cmpx_eq_u16_e32 0x80, v10
; %bb.1567:
	s_mov_b32 s1, 0x7ff80000
	s_brev_b32 s0, 4
	s_xor_b32 s11, exec_lo, -1
; %bb.1568:
	s_or_b32 exec_lo, exec_lo, s6
	s_delay_alu instid0(SALU_CYCLE_1)
	s_and_b32 s6, s11, exec_lo
.LBB8_1569:
	s_or_saveexec_b32 s7, s7
	v_dual_mov_b32 v3, s1 :: v_dual_mov_b32 v2, s0
	s_xor_b32 exec_lo, exec_lo, s7
; %bb.1570:
	v_cmp_ne_u16_e32 vcc_lo, 0, v10
	v_mov_b32_e32 v2, 0
	v_mov_b32_e32 v3, 0
	s_and_not1_b32 s0, s6, exec_lo
	s_and_b32 s1, vcc_lo, exec_lo
	s_delay_alu instid0(SALU_CYCLE_1)
	s_or_b32 s6, s0, s1
; %bb.1571:
	s_or_b32 exec_lo, exec_lo, s7
	s_and_saveexec_b32 s0, s6
	s_cbranch_execz .LBB8_1573
; %bb.1572:
	v_and_b32_e32 v2, 0xffff, v10
	v_lshlrev_b32_e32 v10, 24, v10
	s_delay_alu instid0(VALU_DEP_2) | instskip(NEXT) | instid1(VALU_DEP_2)
	v_and_b32_e32 v3, 3, v2
	v_and_b32_e32 v10, 0x80000000, v10
	s_delay_alu instid0(VALU_DEP_2) | instskip(NEXT) | instid1(VALU_DEP_1)
	v_clz_i32_u32_e32 v11, v3
	v_min_u32_e32 v11, 32, v11
	s_delay_alu instid0(VALU_DEP_1) | instskip(SKIP_1) | instid1(VALU_DEP_2)
	v_subrev_nc_u32_e32 v12, 29, v11
	v_sub_nc_u32_e32 v11, 30, v11
	v_lshlrev_b32_e32 v12, v12, v2
	v_bfe_u32 v2, v2, 2, 5
	s_delay_alu instid0(VALU_DEP_2) | instskip(NEXT) | instid1(VALU_DEP_2)
	v_and_b32_e32 v12, 3, v12
	v_cmp_eq_u32_e32 vcc_lo, 0, v2
	s_delay_alu instid0(VALU_DEP_2) | instskip(NEXT) | instid1(VALU_DEP_1)
	v_dual_cndmask_b32 v2, v2, v11 :: v_dual_cndmask_b32 v3, v3, v12
	v_lshl_add_u32 v2, v2, 23, 0x37800000
	s_delay_alu instid0(VALU_DEP_2) | instskip(NEXT) | instid1(VALU_DEP_1)
	v_lshlrev_b32_e32 v3, 21, v3
	v_or3_b32 v2, v10, v2, v3
	s_delay_alu instid0(VALU_DEP_1)
	v_cvt_f64_f32_e32 v[2:3], v2
.LBB8_1573:
	s_or_b32 exec_lo, exec_lo, s0
	s_mov_b32 s0, 0
	s_branch .LBB8_1577
.LBB8_1574:
	s_mov_b32 s1, -1
                                        ; implicit-def: $vgpr2_vgpr3
	s_branch .LBB8_1583
.LBB8_1575:
	s_mov_b32 s0, -1
                                        ; implicit-def: $vgpr2_vgpr3
	s_branch .LBB8_1580
.LBB8_1576:
	s_mov_b32 s0, -1
                                        ; implicit-def: $vgpr2_vgpr3
.LBB8_1577:
	s_delay_alu instid0(SALU_CYCLE_1)
	s_and_b32 vcc_lo, exec_lo, s0
	s_cbranch_vccz .LBB8_1579
; %bb.1578:
	global_load_u8 v2, v[6:7], off
	s_waitcnt vmcnt(0)
	v_lshlrev_b32_e32 v2, 24, v2
	s_delay_alu instid0(VALU_DEP_1) | instskip(NEXT) | instid1(VALU_DEP_1)
	v_and_b32_e32 v3, 0x7f000000, v2
	v_clz_i32_u32_e32 v10, v3
	v_cmp_ne_u32_e32 vcc_lo, 0, v3
	v_add_nc_u32_e32 v12, 0x1000000, v3
	s_delay_alu instid0(VALU_DEP_3) | instskip(NEXT) | instid1(VALU_DEP_1)
	v_min_u32_e32 v10, 32, v10
	v_sub_nc_u32_e64 v10, v10, 4 clamp
	s_delay_alu instid0(VALU_DEP_1) | instskip(SKIP_1) | instid1(VALU_DEP_2)
	v_lshlrev_b32_e32 v11, v10, v3
	v_lshlrev_b32_e32 v10, 23, v10
	v_lshrrev_b32_e32 v11, 4, v11
	s_delay_alu instid0(VALU_DEP_1) | instskip(SKIP_1) | instid1(VALU_DEP_2)
	v_sub_nc_u32_e32 v10, v11, v10
	v_ashrrev_i32_e32 v11, 8, v12
	v_add_nc_u32_e32 v10, 0x3c000000, v10
	s_delay_alu instid0(VALU_DEP_1) | instskip(NEXT) | instid1(VALU_DEP_1)
	v_and_or_b32 v10, 0x7f800000, v11, v10
	v_cndmask_b32_e32 v3, 0, v10, vcc_lo
	s_delay_alu instid0(VALU_DEP_1) | instskip(NEXT) | instid1(VALU_DEP_1)
	v_and_or_b32 v2, 0x80000000, v2, v3
	v_cvt_f64_f32_e32 v[2:3], v2
.LBB8_1579:
	s_mov_b32 s0, 0
.LBB8_1580:
	s_delay_alu instid0(SALU_CYCLE_1)
	s_and_not1_b32 vcc_lo, exec_lo, s0
	s_cbranch_vccnz .LBB8_1582
; %bb.1581:
	global_load_u8 v2, v[6:7], off
	s_waitcnt vmcnt(0)
	v_lshlrev_b32_e32 v3, 25, v2
	v_lshlrev_b16 v2, 8, v2
	s_delay_alu instid0(VALU_DEP_2) | instskip(NEXT) | instid1(VALU_DEP_2)
	v_lshrrev_b32_e32 v10, 4, v3
	v_and_or_b32 v11, 0x7f00, v2, 0.5
	v_cmp_gt_u32_e32 vcc_lo, 0x8000000, v3
	v_bfe_i32 v2, v2, 0, 16
	s_delay_alu instid0(VALU_DEP_4) | instskip(NEXT) | instid1(VALU_DEP_1)
	v_or_b32_e32 v10, 0x70000000, v10
	v_dual_add_f32 v11, -0.5, v11 :: v_dual_mul_f32 v10, 0x7800000, v10
	s_delay_alu instid0(VALU_DEP_1) | instskip(NEXT) | instid1(VALU_DEP_1)
	v_cndmask_b32_e32 v3, v10, v11, vcc_lo
	v_and_or_b32 v2, 0x80000000, v2, v3
	s_delay_alu instid0(VALU_DEP_1)
	v_cvt_f64_f32_e32 v[2:3], v2
.LBB8_1582:
	s_mov_b32 s1, 0
	s_mov_b32 s0, -1
.LBB8_1583:
	s_and_not1_b32 vcc_lo, exec_lo, s1
	s_mov_b32 s6, 0
	s_cbranch_vccnz .LBB8_1592
; %bb.1584:
	v_cmp_lt_i16_e32 vcc_lo, 14, v16
	s_cbranch_vccz .LBB8_1587
; %bb.1585:
	v_cmp_eq_u16_e32 vcc_lo, 15, v16
	s_cbranch_vccz .LBB8_1588
; %bb.1586:
	global_load_u16 v2, v[6:7], off
	s_mov_b32 s3, 0
	s_mov_b32 s0, -1
	s_waitcnt vmcnt(0)
	v_lshlrev_b32_e32 v2, 16, v2
	s_delay_alu instid0(VALU_DEP_1)
	v_cvt_f64_f32_e32 v[2:3], v2
	s_branch .LBB8_1589
.LBB8_1587:
	s_mov_b32 s1, -1
                                        ; implicit-def: $vgpr2_vgpr3
	s_branch .LBB8_1590
.LBB8_1588:
	s_mov_b32 s3, -1
                                        ; implicit-def: $vgpr2_vgpr3
.LBB8_1589:
	s_mov_b32 s1, 0
.LBB8_1590:
	s_delay_alu instid0(SALU_CYCLE_1)
	s_and_b32 vcc_lo, exec_lo, s1
	s_cbranch_vccz .LBB8_1592
; %bb.1591:
	v_cmp_ne_u16_e64 s3, 11, v16
	s_mov_b32 s6, -1
                                        ; implicit-def: $vgpr2_vgpr3
.LBB8_1592:
	s_delay_alu instid0(VALU_DEP_1)
	s_and_b32 vcc_lo, exec_lo, s3
	s_cbranch_vccnz .LBB8_2138
; %bb.1593:
	s_and_not1_b32 vcc_lo, exec_lo, s6
	s_cbranch_vccnz .LBB8_1595
.LBB8_1594:
	global_load_u8 v2, v[6:7], off
	s_mov_b32 s0, -1
	s_waitcnt vmcnt(0)
	v_cmp_ne_u16_e32 vcc_lo, 0, v2
	v_mov_b32_e32 v2, 0
	v_cndmask_b32_e64 v3, 0, 0x3ff00000, vcc_lo
.LBB8_1595:
	s_mov_b32 s1, 0
.LBB8_1596:
	s_delay_alu instid0(SALU_CYCLE_1)
	s_and_b32 vcc_lo, exec_lo, s1
	s_cbranch_vccz .LBB8_1645
; %bb.1597:
	v_cmp_gt_i16_e32 vcc_lo, 5, v16
	s_cbranch_vccnz .LBB8_1602
; %bb.1598:
	v_cmp_gt_i16_e32 vcc_lo, 8, v16
	s_cbranch_vccnz .LBB8_1603
	;; [unrolled: 3-line block ×3, first 2 shown]
; %bb.1600:
	v_cmp_lt_i16_e32 vcc_lo, 9, v16
	s_cbranch_vccz .LBB8_1605
; %bb.1601:
	global_load_b64 v[2:3], v[6:7], off
	s_mov_b32 s0, 0
	s_branch .LBB8_1606
.LBB8_1602:
	s_mov_b32 s0, -1
                                        ; implicit-def: $vgpr2_vgpr3
	s_branch .LBB8_1624
.LBB8_1603:
	s_mov_b32 s0, -1
                                        ; implicit-def: $vgpr2_vgpr3
	s_branch .LBB8_1612
.LBB8_1604:
	s_mov_b32 s0, -1
                                        ; implicit-def: $vgpr2_vgpr3
	s_branch .LBB8_1609
.LBB8_1605:
	s_mov_b32 s0, -1
                                        ; implicit-def: $vgpr2_vgpr3
.LBB8_1606:
	s_delay_alu instid0(SALU_CYCLE_1)
	s_and_not1_b32 vcc_lo, exec_lo, s0
	s_cbranch_vccnz .LBB8_1608
; %bb.1607:
	global_load_b32 v2, v[6:7], off
	s_waitcnt vmcnt(0)
	v_cvt_f64_f32_e32 v[2:3], v2
.LBB8_1608:
	s_mov_b32 s0, 0
.LBB8_1609:
	s_delay_alu instid0(SALU_CYCLE_1)
	s_and_not1_b32 vcc_lo, exec_lo, s0
	s_cbranch_vccnz .LBB8_1611
; %bb.1610:
	global_load_b32 v2, v[6:7], off
	s_waitcnt vmcnt(0)
	v_cvt_f32_f16_e32 v2, v2
	s_delay_alu instid0(VALU_DEP_1)
	v_cvt_f64_f32_e32 v[2:3], v2
.LBB8_1611:
	s_mov_b32 s0, 0
.LBB8_1612:
	s_delay_alu instid0(SALU_CYCLE_1)
	s_and_not1_b32 vcc_lo, exec_lo, s0
	s_cbranch_vccnz .LBB8_1623
; %bb.1613:
	v_cmp_gt_i16_e32 vcc_lo, 6, v16
	s_cbranch_vccnz .LBB8_1616
; %bb.1614:
	v_cmp_lt_i16_e32 vcc_lo, 6, v16
	s_cbranch_vccz .LBB8_1617
; %bb.1615:
	global_load_b64 v[2:3], v[6:7], off
	s_mov_b32 s0, 0
	s_branch .LBB8_1618
.LBB8_1616:
	s_mov_b32 s0, -1
                                        ; implicit-def: $vgpr2_vgpr3
	s_branch .LBB8_1621
.LBB8_1617:
	s_mov_b32 s0, -1
                                        ; implicit-def: $vgpr2_vgpr3
.LBB8_1618:
	s_delay_alu instid0(SALU_CYCLE_1)
	s_and_not1_b32 vcc_lo, exec_lo, s0
	s_cbranch_vccnz .LBB8_1620
; %bb.1619:
	global_load_b32 v2, v[6:7], off
	s_waitcnt vmcnt(0)
	v_cvt_f64_f32_e32 v[2:3], v2
.LBB8_1620:
	s_mov_b32 s0, 0
.LBB8_1621:
	s_delay_alu instid0(SALU_CYCLE_1)
	s_and_not1_b32 vcc_lo, exec_lo, s0
	s_cbranch_vccnz .LBB8_1623
; %bb.1622:
	global_load_u16 v2, v[6:7], off
	s_waitcnt vmcnt(0)
	v_cvt_f32_f16_e32 v2, v2
	s_delay_alu instid0(VALU_DEP_1)
	v_cvt_f64_f32_e32 v[2:3], v2
.LBB8_1623:
	s_mov_b32 s0, 0
.LBB8_1624:
	s_delay_alu instid0(SALU_CYCLE_1)
	s_and_not1_b32 vcc_lo, exec_lo, s0
	s_cbranch_vccnz .LBB8_1644
; %bb.1625:
	v_cmp_gt_i16_e32 vcc_lo, 2, v16
	s_cbranch_vccnz .LBB8_1629
; %bb.1626:
	v_cmp_gt_i16_e32 vcc_lo, 3, v16
	s_cbranch_vccnz .LBB8_1630
; %bb.1627:
	v_cmp_lt_i16_e32 vcc_lo, 3, v16
	s_cbranch_vccz .LBB8_1631
; %bb.1628:
	global_load_b64 v[2:3], v[6:7], off
	s_mov_b32 s0, 0
	s_waitcnt vmcnt(0)
	v_cvt_f64_i32_e32 v[10:11], v3
	v_cvt_f64_u32_e32 v[2:3], v2
	s_delay_alu instid0(VALU_DEP_2) | instskip(NEXT) | instid1(VALU_DEP_1)
	v_ldexp_f64 v[10:11], v[10:11], 32
	v_add_f64 v[2:3], v[10:11], v[2:3]
	s_branch .LBB8_1632
.LBB8_1629:
	s_mov_b32 s0, -1
                                        ; implicit-def: $vgpr2_vgpr3
	s_branch .LBB8_1638
.LBB8_1630:
	s_mov_b32 s0, -1
                                        ; implicit-def: $vgpr2_vgpr3
	s_branch .LBB8_1635
.LBB8_1631:
	s_mov_b32 s0, -1
                                        ; implicit-def: $vgpr2_vgpr3
.LBB8_1632:
	s_delay_alu instid0(SALU_CYCLE_1)
	s_and_not1_b32 vcc_lo, exec_lo, s0
	s_cbranch_vccnz .LBB8_1634
; %bb.1633:
	global_load_b32 v2, v[6:7], off
	s_waitcnt vmcnt(0)
	v_cvt_f64_i32_e32 v[2:3], v2
.LBB8_1634:
	s_mov_b32 s0, 0
.LBB8_1635:
	s_delay_alu instid0(SALU_CYCLE_1)
	s_and_not1_b32 vcc_lo, exec_lo, s0
	s_cbranch_vccnz .LBB8_1637
; %bb.1636:
	global_load_i16 v2, v[6:7], off
	s_waitcnt vmcnt(0)
	v_cvt_f64_i32_e32 v[2:3], v2
.LBB8_1637:
	s_mov_b32 s0, 0
.LBB8_1638:
	s_delay_alu instid0(SALU_CYCLE_1)
	s_and_not1_b32 vcc_lo, exec_lo, s0
	s_cbranch_vccnz .LBB8_1644
; %bb.1639:
	v_cmp_lt_i16_e32 vcc_lo, 0, v16
	s_mov_b32 s0, 0
	s_cbranch_vccz .LBB8_1641
; %bb.1640:
	global_load_i8 v2, v[6:7], off
	s_waitcnt vmcnt(0)
	v_cvt_f64_i32_e32 v[2:3], v2
	s_branch .LBB8_1642
.LBB8_1641:
	s_mov_b32 s0, -1
                                        ; implicit-def: $vgpr2_vgpr3
.LBB8_1642:
	s_delay_alu instid0(SALU_CYCLE_1)
	s_and_not1_b32 vcc_lo, exec_lo, s0
	s_cbranch_vccnz .LBB8_1644
; %bb.1643:
	global_load_u8 v2, v[6:7], off
	s_waitcnt vmcnt(0)
	v_cvt_f64_u32_e32 v[2:3], v2
.LBB8_1644:
	s_mov_b32 s0, -1
.LBB8_1645:
	s_delay_alu instid0(SALU_CYCLE_1)
	s_and_not1_b32 vcc_lo, exec_lo, s0
	s_cbranch_vccnz .LBB8_1736
; %bb.1646:
	s_waitcnt vmcnt(0)
	s_delay_alu instid0(VALU_DEP_1) | instskip(NEXT) | instid1(VALU_DEP_1)
	v_cmp_ge_f64_e64 s0, 0x40200000, |v[2:3]|
                                        ; implicit-def: $vgpr12_vgpr13
	s_and_saveexec_b32 s1, s0
	s_delay_alu instid0(SALU_CYCLE_1)
	s_xor_b32 s0, exec_lo, s1
	s_cbranch_execz .LBB8_1652
; %bb.1647:
	v_fma_f64 v[6:7], |v[2:3]|, 0.5, -2.0
	s_mov_b32 s6, 0xc38a0576
	s_mov_b32 s7, 0xbc7857d0
	s_mov_b32 s13, 0x3c499f2a
	s_mov_b32 s12, 0xc3c4014
	s_mov_b32 s1, exec_lo
	s_delay_alu instid0(VALU_DEP_1) | instskip(SKIP_3) | instid1(VALU_DEP_1)
	v_fma_f64 v[10:11], v[6:7], s[12:13], s[6:7]
	s_mov_b32 s13, 0xbc499f2a
	s_mov_b32 s6, 0xe593bfac
	;; [unrolled: 1-line block ×3, first 2 shown]
	v_fma_f64 v[12:13], v[6:7], v[10:11], s[12:13]
	s_delay_alu instid0(VALU_DEP_1) | instskip(SKIP_2) | instid1(VALU_DEP_1)
	v_add_f64 v[12:13], v[12:13], s[6:7]
	s_mov_b32 s6, 0x7e0d1573
	s_mov_b32 s7, 0xbcd3eaaa
	v_fma_f64 v[10:11], v[6:7], v[12:13], -v[10:11]
	s_delay_alu instid0(VALU_DEP_1) | instskip(SKIP_2) | instid1(VALU_DEP_1)
	v_add_f64 v[10:11], v[10:11], s[6:7]
	s_mov_b32 s6, 0x615290c
	s_mov_b32 s7, 0x3d011d7f
	v_fma_f64 v[12:13], v[6:7], v[10:11], -v[12:13]
	;; [unrolled: 5-line block ×26, first 2 shown]
	s_delay_alu instid0(VALU_DEP_1) | instskip(NEXT) | instid1(VALU_DEP_1)
	v_add_f64 v[6:7], v[6:7], s[6:7]
	v_add_f64 v[6:7], v[6:7], -v[12:13]
                                        ; implicit-def: $vgpr12_vgpr13
	v_cmpx_ngt_f64_e32 0, v[2:3]
	s_xor_b32 s1, exec_lo, s1
	s_cbranch_execz .LBB8_1649
; %bb.1648:
	s_mov_b32 s6, 0x652b82fe
	s_mov_b32 s7, 0x3ff71547
	;; [unrolled: 1-line block ×3, first 2 shown]
	v_mul_f64 v[10:11], |v[2:3]|, s[6:7]
	s_mov_b32 s6, 0xfefa39ef
	s_mov_b32 s7, 0xbfe62e42
	;; [unrolled: 1-line block ×3, first 2 shown]
	s_delay_alu instid0(VALU_DEP_3) | instskip(SKIP_1) | instid1(VALU_DEP_3)
	v_mul_f64 v[6:7], v[6:7], 0.5
	v_cmp_nlt_f64_e64 vcc_lo, 0x40900000, |v[2:3]|
	v_rndne_f64_e32 v[10:11], v[10:11]
	s_delay_alu instid0(VALU_DEP_1) | instskip(SKIP_4) | instid1(VALU_DEP_3)
	v_fma_f64 v[12:13], v[10:11], s[6:7], |v[2:3]|
	s_mov_b32 s6, 0x3b39803f
	s_mov_b32 s7, 0xbc7abc9e
	v_cvt_i32_f64_e32 v18, v[10:11]
	v_mul_f64 v[2:3], |v[2:3]|, v[6:7]
	v_fma_f64 v[12:13], v[10:11], s[6:7], v[12:13]
	s_mov_b32 s6, 0xfca7ab0c
	s_mov_b32 s7, 0x3e928af3
	s_delay_alu instid0(VALU_DEP_1) | instid1(SALU_CYCLE_1)
	v_fma_f64 v[16:17], v[12:13], s[12:13], s[6:7]
	s_mov_b32 s6, 0x623fde64
	s_mov_b32 s7, 0x3ec71dee
	s_delay_alu instid0(VALU_DEP_1) | instid1(SALU_CYCLE_1)
	v_fma_f64 v[16:17], v[12:13], v[16:17], s[6:7]
	s_mov_b32 s6, 0x7c89e6b0
	s_mov_b32 s7, 0x3efa0199
	s_delay_alu instid0(VALU_DEP_1) | instid1(SALU_CYCLE_1)
	v_fma_f64 v[16:17], v[12:13], v[16:17], s[6:7]
	s_mov_b32 s6, 0x14761f6e
	s_mov_b32 s7, 0x3f2a01a0
	s_delay_alu instid0(VALU_DEP_1) | instid1(SALU_CYCLE_1)
	v_fma_f64 v[16:17], v[12:13], v[16:17], s[6:7]
	s_mov_b32 s6, 0x1852b7b0
	s_mov_b32 s7, 0x3f56c16c
	s_delay_alu instid0(VALU_DEP_1) | instid1(SALU_CYCLE_1)
	v_fma_f64 v[16:17], v[12:13], v[16:17], s[6:7]
	s_mov_b32 s6, 0x11122322
	s_mov_b32 s7, 0x3f811111
	s_delay_alu instid0(VALU_DEP_1) | instid1(SALU_CYCLE_1)
	v_fma_f64 v[16:17], v[12:13], v[16:17], s[6:7]
	s_mov_b32 s6, 0x555502a1
	s_mov_b32 s7, 0x3fa55555
	s_delay_alu instid0(VALU_DEP_1) | instid1(SALU_CYCLE_1)
	v_fma_f64 v[16:17], v[12:13], v[16:17], s[6:7]
	s_mov_b32 s6, 0x55555511
	s_mov_b32 s7, 0x3fc55555
	s_delay_alu instid0(VALU_DEP_1) | instid1(SALU_CYCLE_1)
	v_fma_f64 v[16:17], v[12:13], v[16:17], s[6:7]
	s_mov_b32 s6, 11
	s_mov_b32 s7, 0x3fe00000
	s_delay_alu instid0(VALU_DEP_1) | instid1(SALU_CYCLE_1)
	v_fma_f64 v[16:17], v[12:13], v[16:17], s[6:7]
	s_delay_alu instid0(VALU_DEP_1) | instskip(NEXT) | instid1(VALU_DEP_1)
	v_fma_f64 v[16:17], v[12:13], v[16:17], 1.0
	v_fma_f64 v[10:11], v[12:13], v[16:17], 1.0
	s_delay_alu instid0(VALU_DEP_1) | instskip(NEXT) | instid1(VALU_DEP_1)
	v_ldexp_f64 v[10:11], v[10:11], v18
	v_cndmask_b32_e32 v7, 0x7ff00000, v11, vcc_lo
	s_delay_alu instid0(VALU_DEP_2) | instskip(NEXT) | instid1(VALU_DEP_1)
	v_cndmask_b32_e32 v6, 0, v10, vcc_lo
	v_mul_f64 v[12:13], v[6:7], v[2:3]
                                        ; implicit-def: $vgpr2_vgpr3
                                        ; implicit-def: $vgpr6_vgpr7
.LBB8_1649:
	s_and_not1_saveexec_b32 s1, s1
	s_cbranch_execz .LBB8_1651
; %bb.1650:
	s_mov_b32 s6, 0x652b82fe
	s_mov_b32 s7, 0x3ff71547
	;; [unrolled: 1-line block ×3, first 2 shown]
	v_mul_f64 v[10:11], |v[2:3]|, s[6:7]
	s_mov_b32 s6, 0xfefa39ef
	s_mov_b32 s7, 0xbfe62e42
	;; [unrolled: 1-line block ×3, first 2 shown]
	s_delay_alu instid0(VALU_DEP_3) | instskip(SKIP_1) | instid1(VALU_DEP_3)
	v_mul_f64 v[6:7], v[6:7], -0.5
	v_cmp_nlt_f64_e64 vcc_lo, 0x40900000, |v[2:3]|
	v_rndne_f64_e32 v[10:11], v[10:11]
	s_delay_alu instid0(VALU_DEP_1) | instskip(SKIP_4) | instid1(VALU_DEP_3)
	v_fma_f64 v[12:13], v[10:11], s[6:7], |v[2:3]|
	s_mov_b32 s6, 0x3b39803f
	s_mov_b32 s7, 0xbc7abc9e
	v_cvt_i32_f64_e32 v18, v[10:11]
	v_mul_f64 v[2:3], |v[2:3]|, v[6:7]
	v_fma_f64 v[12:13], v[10:11], s[6:7], v[12:13]
	s_mov_b32 s6, 0xfca7ab0c
	s_mov_b32 s7, 0x3e928af3
	s_delay_alu instid0(VALU_DEP_1) | instid1(SALU_CYCLE_1)
	v_fma_f64 v[16:17], v[12:13], s[12:13], s[6:7]
	s_mov_b32 s6, 0x623fde64
	s_mov_b32 s7, 0x3ec71dee
	s_delay_alu instid0(VALU_DEP_1) | instid1(SALU_CYCLE_1)
	;; [unrolled: 4-line block ×9, first 2 shown]
	v_fma_f64 v[16:17], v[12:13], v[16:17], s[6:7]
	s_delay_alu instid0(VALU_DEP_1) | instskip(NEXT) | instid1(VALU_DEP_1)
	v_fma_f64 v[16:17], v[12:13], v[16:17], 1.0
	v_fma_f64 v[10:11], v[12:13], v[16:17], 1.0
	s_delay_alu instid0(VALU_DEP_1) | instskip(NEXT) | instid1(VALU_DEP_1)
	v_ldexp_f64 v[10:11], v[10:11], v18
	v_cndmask_b32_e32 v7, 0x7ff00000, v11, vcc_lo
	s_delay_alu instid0(VALU_DEP_2) | instskip(NEXT) | instid1(VALU_DEP_1)
	v_cndmask_b32_e32 v6, 0, v10, vcc_lo
	v_mul_f64 v[12:13], v[6:7], v[2:3]
.LBB8_1651:
	s_or_b32 exec_lo, exec_lo, s1
                                        ; implicit-def: $vgpr2_vgpr3
.LBB8_1652:
	s_and_not1_saveexec_b32 s0, s0
	s_cbranch_execz .LBB8_1658
; %bb.1653:
	v_dual_mov_b32 v6, v2 :: v_dual_and_b32 v7, 0x7fffffff, v3
	s_mov_b32 s6, 0xea87b950
	s_mov_b32 s7, 0x3c545b8a
	s_mov_b32 s13, 0x3c61556d
	s_mov_b32 s12, 0xb352e8e6
	v_div_scale_f64 v[10:11], null, v[6:7], v[6:7], 0x40400000
	v_div_scale_f64 v[6:7], vcc_lo, 0x40400000, v[6:7], 0x40400000
	s_mov_b32 s14, 0x2e9e5443
	s_mov_b32 s15, 0xbe90dbfd
	s_mov_b32 s1, exec_lo
	s_delay_alu instid0(VALU_DEP_2) | instskip(SKIP_2) | instid1(VALU_DEP_1)
	v_rcp_f64_e32 v[12:13], v[10:11]
	s_waitcnt_depctr 0xfff
	v_fma_f64 v[16:17], -v[10:11], v[12:13], 1.0
	v_fma_f64 v[12:13], v[12:13], v[16:17], v[12:13]
	s_delay_alu instid0(VALU_DEP_1) | instskip(NEXT) | instid1(VALU_DEP_1)
	v_fma_f64 v[16:17], -v[10:11], v[12:13], 1.0
	v_fma_f64 v[12:13], v[12:13], v[16:17], v[12:13]
	s_delay_alu instid0(VALU_DEP_1) | instskip(NEXT) | instid1(VALU_DEP_1)
	v_mul_f64 v[16:17], v[6:7], v[12:13]
	v_fma_f64 v[6:7], -v[10:11], v[16:17], v[6:7]
	s_delay_alu instid0(VALU_DEP_1) | instskip(NEXT) | instid1(VALU_DEP_1)
	v_div_fmas_f64 v[6:7], v[6:7], v[12:13], v[16:17]
	v_div_fixup_f64 v[6:7], v[6:7], |v[2:3]|, 0x40400000
	s_delay_alu instid0(VALU_DEP_1) | instskip(NEXT) | instid1(VALU_DEP_1)
	v_add_f64 v[6:7], v[6:7], -2.0
	v_fma_f64 v[10:11], v[6:7], s[12:13], s[6:7]
	s_mov_b32 s13, 0xbc61556d
	s_mov_b32 s6, 0xb2532277
	;; [unrolled: 1-line block ×3, first 2 shown]
	s_delay_alu instid0(VALU_DEP_1) | instskip(SKIP_2) | instid1(VALU_DEP_1)
	v_fma_f64 v[12:13], v[6:7], v[10:11], s[12:13]
	s_mov_b32 s12, 0x9ad53528
	s_mov_b32 s13, 0xbe30790b
	v_add_f64 v[12:13], v[12:13], s[6:7]
	s_mov_b32 s6, 0x9c773320
	s_mov_b32 s7, 0xbc82806c
	s_delay_alu instid0(VALU_DEP_1) | instskip(NEXT) | instid1(VALU_DEP_1)
	v_fma_f64 v[10:11], v[6:7], v[12:13], -v[10:11]
	v_add_f64 v[10:11], v[10:11], s[6:7]
	s_mov_b32 s6, 0xfceb588a
	s_mov_b32 s7, 0x3cb55915
	s_delay_alu instid0(VALU_DEP_1) | instskip(NEXT) | instid1(VALU_DEP_1)
	v_fma_f64 v[12:13], v[6:7], v[10:11], -v[12:13]
	;; [unrolled: 5-line block ×15, first 2 shown]
	v_add_f64 v[10:11], v[10:11], s[6:7]
	s_mov_b32 s6, 0x652b82fe
	s_mov_b32 s7, 0x3ff71547
	s_delay_alu instid0(SALU_CYCLE_1) | instskip(SKIP_2) | instid1(VALU_DEP_2)
	v_mul_f64 v[16:17], |v[2:3]|, s[6:7]
	s_mov_b32 s6, 0xfefa39ef
	s_mov_b32 s7, 0xbfe62e42
	v_fma_f64 v[12:13], v[6:7], v[10:11], -v[12:13]
	s_delay_alu instid0(VALU_DEP_2) | instskip(NEXT) | instid1(VALU_DEP_2)
	v_rndne_f64_e32 v[16:17], v[16:17]
	v_add_f64 v[12:13], v[12:13], s[12:13]
	s_mov_b32 s12, 0x94bb46c1
	s_mov_b32 s13, 0xbe5c4153
	s_delay_alu instid0(VALU_DEP_2) | instskip(SKIP_2) | instid1(VALU_DEP_2)
	v_fma_f64 v[18:19], v[16:17], s[6:7], |v[2:3]|
	s_mov_b32 s6, 0x3b39803f
	s_mov_b32 s7, 0xbc7abc9e
	v_fma_f64 v[10:11], v[6:7], v[12:13], -v[10:11]
	s_delay_alu instid0(VALU_DEP_2) | instskip(SKIP_3) | instid1(VALU_DEP_3)
	v_fma_f64 v[18:19], v[16:17], s[6:7], v[18:19]
	s_mov_b32 s6, 0xfca7ab0c
	s_mov_b32 s7, 0x3e928af3
	v_cvt_i32_f64_e32 v16, v[16:17]
	v_add_f64 v[10:11], v[10:11], s[12:13]
	s_mov_b32 s12, 0x6a5dcb37
	s_mov_b32 s13, 0x3e5ade15
	s_delay_alu instid0(VALU_DEP_3) | instid1(SALU_CYCLE_1)
	v_fma_f64 v[20:21], v[18:19], s[12:13], s[6:7]
	s_mov_b32 s6, 0x623fde64
	s_mov_b32 s7, 0x3ec71dee
	;; [unrolled: 1-line block ×4, first 2 shown]
	s_delay_alu instid0(VALU_DEP_2) | instskip(NEXT) | instid1(VALU_DEP_2)
	v_fma_f64 v[12:13], v[6:7], v[10:11], -v[12:13]
	v_fma_f64 v[20:21], v[18:19], v[20:21], s[6:7]
	s_mov_b32 s6, 0x7c89e6b0
	s_mov_b32 s7, 0x3efa0199
	s_delay_alu instid0(VALU_DEP_2) | instskip(NEXT) | instid1(VALU_DEP_2)
	v_add_f64 v[12:13], v[12:13], s[14:15]
	v_fma_f64 v[20:21], v[18:19], v[20:21], s[6:7]
	s_mov_b32 s6, 0x14761f6e
	s_mov_b32 s7, 0x3f2a01a0
	s_delay_alu instid0(VALU_DEP_2) | instskip(NEXT) | instid1(VALU_DEP_2)
	v_fma_f64 v[10:11], v[6:7], v[12:13], -v[10:11]
	v_fma_f64 v[20:21], v[18:19], v[20:21], s[6:7]
	s_mov_b32 s6, 0x1852b7b0
	s_mov_b32 s7, 0x3f56c16c
	s_delay_alu instid0(VALU_DEP_2) | instskip(SKIP_2) | instid1(VALU_DEP_2)
	v_add_f64 v[10:11], v[10:11], s[12:13]
	s_mov_b32 s12, 0x804aa9a6
	s_mov_b32 s13, 0xbf1cfd7f
	v_fma_f64 v[20:21], v[18:19], v[20:21], s[6:7]
	s_mov_b32 s6, 0x11122322
	s_mov_b32 s7, 0x3f811111
	s_delay_alu instid0(VALU_DEP_2) | instskip(NEXT) | instid1(VALU_DEP_2)
	v_fma_f64 v[12:13], v[6:7], v[10:11], -v[12:13]
	v_fma_f64 v[20:21], v[18:19], v[20:21], s[6:7]
	s_mov_b32 s6, 0x555502a1
	s_mov_b32 s7, 0x3fa55555
	s_delay_alu instid0(VALU_DEP_2) | instskip(SKIP_2) | instid1(VALU_DEP_2)
	v_add_f64 v[12:13], v[12:13], s[12:13]
	s_mov_b32 s12, 0x53fcdb4c
	s_mov_b32 s13, 0xbf83fda0
	v_fma_f64 v[20:21], v[18:19], v[20:21], s[6:7]
	s_mov_b32 s6, 0x55555511
	s_mov_b32 s7, 0x3fc55555
	s_delay_alu instid0(VALU_DEP_2) | instskip(NEXT) | instid1(VALU_DEP_2)
	v_fma_f64 v[10:11], v[6:7], v[12:13], -v[10:11]
	v_fma_f64 v[20:21], v[18:19], v[20:21], s[6:7]
	s_mov_b32 s6, 11
	s_mov_b32 s7, 0x3fe00000
	s_delay_alu instid0(VALU_DEP_2) | instskip(SKIP_2) | instid1(VALU_DEP_1)
	v_add_f64 v[10:11], v[10:11], s[12:13]
	s_mov_b32 s12, 0xb55b1514
	s_mov_b32 s13, 0x3fe8ea18
	v_fma_f64 v[6:7], v[6:7], v[10:11], -v[12:13]
	s_delay_alu instid0(VALU_DEP_3) | instskip(NEXT) | instid1(VALU_DEP_2)
	v_fma_f64 v[10:11], v[18:19], v[20:21], s[6:7]
	v_add_f64 v[6:7], v[6:7], s[12:13]
	s_delay_alu instid0(VALU_DEP_2) | instskip(NEXT) | instid1(VALU_DEP_2)
	v_fma_f64 v[10:11], v[18:19], v[10:11], 1.0
	v_add_f64 v[6:7], v[6:7], -v[12:13]
	s_delay_alu instid0(VALU_DEP_2) | instskip(NEXT) | instid1(VALU_DEP_2)
	v_fma_f64 v[10:11], v[18:19], v[10:11], 1.0
                                        ; implicit-def: $vgpr12_vgpr13
	v_mul_f64 v[6:7], v[6:7], 0.5
	v_cmpx_ngt_f64_e32 0, v[2:3]
	s_xor_b32 s1, exec_lo, s1
	s_cbranch_execz .LBB8_1655
; %bb.1654:
	v_cmp_gt_f64_e64 s3, 0x10000000, |v[2:3]|
	s_delay_alu instid0(VALU_DEP_4) | instskip(SKIP_1) | instid1(VALU_DEP_3)
	v_ldexp_f64 v[10:11], v[10:11], v16
	v_cmp_nlt_f64_e64 vcc_lo, 0x40900000, |v[2:3]|
	v_cndmask_b32_e64 v12, 0, 1, s3
	v_cndmask_b32_e64 v16, 0, 0xffffff80, s3
	s_delay_alu instid0(VALU_DEP_2) | instskip(NEXT) | instid1(VALU_DEP_1)
	v_dual_cndmask_b32 v11, 0x7ff00000, v11 :: v_dual_lshlrev_b32 v12, 8, v12
	v_ldexp_f64 v[12:13], |v[2:3]|, v12
	s_delay_alu instid0(VALU_DEP_1) | instskip(SKIP_3) | instid1(VALU_DEP_1)
	v_rsq_f64_e32 v[17:18], v[12:13]
	s_waitcnt_depctr 0xfff
	v_mul_f64 v[19:20], v[12:13], v[17:18]
	v_mul_f64 v[17:18], v[17:18], 0.5
	v_fma_f64 v[21:22], -v[17:18], v[19:20], 0.5
	s_delay_alu instid0(VALU_DEP_1) | instskip(SKIP_1) | instid1(VALU_DEP_2)
	v_fma_f64 v[19:20], v[19:20], v[21:22], v[19:20]
	v_fma_f64 v[17:18], v[17:18], v[21:22], v[17:18]
	v_fma_f64 v[21:22], -v[19:20], v[19:20], v[12:13]
	s_delay_alu instid0(VALU_DEP_1) | instskip(NEXT) | instid1(VALU_DEP_1)
	v_fma_f64 v[19:20], v[21:22], v[17:18], v[19:20]
	v_fma_f64 v[21:22], -v[19:20], v[19:20], v[12:13]
	s_delay_alu instid0(VALU_DEP_1) | instskip(NEXT) | instid1(VALU_DEP_1)
	v_fma_f64 v[2:3], v[21:22], v[17:18], v[19:20]
	v_ldexp_f64 v[2:3], v[2:3], v16
	v_cndmask_b32_e32 v10, 0, v10, vcc_lo
	v_cmp_class_f64_e64 vcc_lo, v[12:13], 0x260
	s_delay_alu instid0(VALU_DEP_3) | instskip(NEXT) | instid1(VALU_DEP_3)
	v_cndmask_b32_e32 v3, v3, v13, vcc_lo
	v_mul_f64 v[6:7], v[10:11], v[6:7]
	v_cndmask_b32_e32 v2, v2, v12, vcc_lo
	s_delay_alu instid0(VALU_DEP_1) | instskip(NEXT) | instid1(VALU_DEP_1)
	v_div_scale_f64 v[10:11], null, v[2:3], v[2:3], v[6:7]
	v_rcp_f64_e32 v[12:13], v[10:11]
	s_waitcnt_depctr 0xfff
	v_fma_f64 v[16:17], -v[10:11], v[12:13], 1.0
	s_delay_alu instid0(VALU_DEP_1) | instskip(NEXT) | instid1(VALU_DEP_1)
	v_fma_f64 v[12:13], v[12:13], v[16:17], v[12:13]
	v_fma_f64 v[16:17], -v[10:11], v[12:13], 1.0
	s_delay_alu instid0(VALU_DEP_1) | instskip(SKIP_1) | instid1(VALU_DEP_1)
	v_fma_f64 v[12:13], v[12:13], v[16:17], v[12:13]
	v_div_scale_f64 v[16:17], vcc_lo, v[6:7], v[2:3], v[6:7]
	v_mul_f64 v[18:19], v[16:17], v[12:13]
	s_delay_alu instid0(VALU_DEP_1) | instskip(NEXT) | instid1(VALU_DEP_1)
	v_fma_f64 v[10:11], -v[10:11], v[18:19], v[16:17]
                                        ; implicit-def: $vgpr16
	v_div_fmas_f64 v[10:11], v[10:11], v[12:13], v[18:19]
	s_delay_alu instid0(VALU_DEP_1)
	v_div_fixup_f64 v[12:13], v[10:11], v[2:3], v[6:7]
                                        ; implicit-def: $vgpr2_vgpr3
                                        ; implicit-def: $vgpr10_vgpr11
                                        ; implicit-def: $vgpr6_vgpr7
.LBB8_1655:
	s_and_not1_saveexec_b32 s1, s1
	s_cbranch_execz .LBB8_1657
; %bb.1656:
	v_cmp_gt_f64_e64 s3, 0x10000000, |v[2:3]|
	s_delay_alu instid0(VALU_DEP_4) | instskip(SKIP_1) | instid1(VALU_DEP_3)
	v_ldexp_f64 v[10:11], -v[10:11], v16
	v_cmp_nlt_f64_e64 vcc_lo, 0x40900000, |v[2:3]|
	v_cndmask_b32_e64 v12, 0, 1, s3
	v_cndmask_b32_e64 v16, 0, 0xffffff80, s3
	s_delay_alu instid0(VALU_DEP_2) | instskip(NEXT) | instid1(VALU_DEP_1)
	v_dual_cndmask_b32 v11, 0xfff00000, v11 :: v_dual_lshlrev_b32 v12, 8, v12
	v_ldexp_f64 v[12:13], |v[2:3]|, v12
	s_delay_alu instid0(VALU_DEP_1) | instskip(SKIP_3) | instid1(VALU_DEP_1)
	v_rsq_f64_e32 v[17:18], v[12:13]
	s_waitcnt_depctr 0xfff
	v_mul_f64 v[19:20], v[12:13], v[17:18]
	v_mul_f64 v[17:18], v[17:18], 0.5
	v_fma_f64 v[21:22], -v[17:18], v[19:20], 0.5
	s_delay_alu instid0(VALU_DEP_1) | instskip(SKIP_1) | instid1(VALU_DEP_2)
	v_fma_f64 v[19:20], v[19:20], v[21:22], v[19:20]
	v_fma_f64 v[17:18], v[17:18], v[21:22], v[17:18]
	v_fma_f64 v[21:22], -v[19:20], v[19:20], v[12:13]
	s_delay_alu instid0(VALU_DEP_1) | instskip(NEXT) | instid1(VALU_DEP_1)
	v_fma_f64 v[19:20], v[21:22], v[17:18], v[19:20]
	v_fma_f64 v[21:22], -v[19:20], v[19:20], v[12:13]
	s_delay_alu instid0(VALU_DEP_1) | instskip(NEXT) | instid1(VALU_DEP_1)
	v_fma_f64 v[2:3], v[21:22], v[17:18], v[19:20]
	v_ldexp_f64 v[2:3], v[2:3], v16
	v_cndmask_b32_e32 v10, 0, v10, vcc_lo
	v_cmp_class_f64_e64 vcc_lo, v[12:13], 0x260
	s_delay_alu instid0(VALU_DEP_3) | instskip(NEXT) | instid1(VALU_DEP_3)
	v_cndmask_b32_e32 v3, v3, v13, vcc_lo
	v_mul_f64 v[6:7], v[10:11], v[6:7]
	v_cndmask_b32_e32 v2, v2, v12, vcc_lo
	s_delay_alu instid0(VALU_DEP_1) | instskip(NEXT) | instid1(VALU_DEP_1)
	v_div_scale_f64 v[10:11], null, v[2:3], v[2:3], v[6:7]
	v_rcp_f64_e32 v[12:13], v[10:11]
	s_waitcnt_depctr 0xfff
	v_fma_f64 v[16:17], -v[10:11], v[12:13], 1.0
	s_delay_alu instid0(VALU_DEP_1) | instskip(NEXT) | instid1(VALU_DEP_1)
	v_fma_f64 v[12:13], v[12:13], v[16:17], v[12:13]
	v_fma_f64 v[16:17], -v[10:11], v[12:13], 1.0
	s_delay_alu instid0(VALU_DEP_1) | instskip(SKIP_1) | instid1(VALU_DEP_1)
	v_fma_f64 v[12:13], v[12:13], v[16:17], v[12:13]
	v_div_scale_f64 v[16:17], vcc_lo, v[6:7], v[2:3], v[6:7]
	v_mul_f64 v[18:19], v[16:17], v[12:13]
	s_delay_alu instid0(VALU_DEP_1) | instskip(NEXT) | instid1(VALU_DEP_1)
	v_fma_f64 v[10:11], -v[10:11], v[18:19], v[16:17]
	v_div_fmas_f64 v[10:11], v[10:11], v[12:13], v[18:19]
	s_delay_alu instid0(VALU_DEP_1)
	v_div_fixup_f64 v[12:13], v[10:11], v[2:3], v[6:7]
.LBB8_1657:
	s_or_b32 exec_lo, exec_lo, s1
.LBB8_1658:
	s_delay_alu instid0(SALU_CYCLE_1) | instskip(SKIP_2) | instid1(VALU_DEP_1)
	s_or_b32 exec_lo, exec_lo, s0
	v_mul_lo_u32 v10, s2, v15
	v_and_b32_e32 v17, 0xff, v14
	v_cmp_gt_i16_e32 vcc_lo, 11, v17
	s_delay_alu instid0(VALU_DEP_3) | instskip(SKIP_1) | instid1(VALU_DEP_1)
	v_ashrrev_i32_e32 v2, 31, v10
	v_add_co_u32 v6, s0, s4, v10
	v_add_co_ci_u32_e64 v7, s0, s5, v2, s0
	s_cbranch_vccnz .LBB8_1781
; %bb.1659:
	v_cmp_lt_i16_e32 vcc_lo, 25, v17
	s_mov_b32 s6, -1
	s_mov_b32 s1, 0
	s_mov_b32 s3, 0
	;; [unrolled: 1-line block ×3, first 2 shown]
	s_cbranch_vccz .LBB8_1692
; %bb.1660:
	v_cmp_lt_i16_e32 vcc_lo, 28, v17
	s_cbranch_vccz .LBB8_1675
; %bb.1661:
	v_cmp_lt_i16_e32 vcc_lo, 43, v17
	s_cbranch_vccz .LBB8_1671
; %bb.1662:
	v_cmp_lt_i16_e32 vcc_lo, 45, v17
	s_cbranch_vccz .LBB8_1665
; %bb.1663:
	v_cmp_eq_u16_e32 vcc_lo, 46, v17
	s_mov_b32 s0, -1
	s_mov_b32 s6, 0
	s_cbranch_vccz .LBB8_1665
; %bb.1664:
	v_cvt_f32_f64_e32 v2, v[0:1]
	s_mov_b32 s0, 0
	s_mov_b32 s3, -1
	s_delay_alu instid0(VALU_DEP_1) | instskip(SKIP_1) | instid1(VALU_DEP_2)
	v_bfe_u32 v3, v2, 16, 1
	v_cmp_o_f32_e32 vcc_lo, v2, v2
	v_add3_u32 v3, v2, v3, 0x7fff
	s_delay_alu instid0(VALU_DEP_1) | instskip(NEXT) | instid1(VALU_DEP_1)
	v_lshrrev_b32_e32 v3, 16, v3
	v_cndmask_b32_e32 v2, 0x7fc0, v3, vcc_lo
	global_store_b32 v[6:7], v2, off
.LBB8_1665:
	s_and_b32 vcc_lo, exec_lo, s6
	s_cbranch_vccz .LBB8_1670
; %bb.1666:
	v_cmp_eq_u16_e32 vcc_lo, 44, v17
	s_mov_b32 s0, -1
	s_cbranch_vccz .LBB8_1670
; %bb.1667:
	v_cvt_f32_f64_e32 v2, v[0:1]
	v_mov_b32_e32 v3, 0xff
	s_mov_b32 s3, exec_lo
	s_delay_alu instid0(VALU_DEP_2) | instskip(NEXT) | instid1(VALU_DEP_1)
	v_bfe_u32 v11, v2, 23, 8
	v_cmpx_ne_u32_e32 0xff, v11
; %bb.1668:
	v_and_b32_e32 v3, 0x400000, v2
	v_and_or_b32 v11, 0x3fffff, v2, v11
	v_lshrrev_b32_e32 v2, 23, v2
	s_delay_alu instid0(VALU_DEP_3) | instskip(NEXT) | instid1(VALU_DEP_3)
	v_cmp_ne_u32_e32 vcc_lo, 0, v3
	v_cmp_ne_u32_e64 s0, 0, v11
	s_delay_alu instid0(VALU_DEP_1) | instskip(NEXT) | instid1(SALU_CYCLE_1)
	s_and_b32 s0, vcc_lo, s0
	v_cndmask_b32_e64 v3, 0, 1, s0
	s_delay_alu instid0(VALU_DEP_1)
	v_add_nc_u32_e32 v3, v2, v3
; %bb.1669:
	s_or_b32 exec_lo, exec_lo, s3
	s_mov_b32 s0, 0
	s_mov_b32 s3, -1
	global_store_b8 v[6:7], v3, off
.LBB8_1670:
	s_mov_b32 s6, 0
.LBB8_1671:
	s_delay_alu instid0(SALU_CYCLE_1)
	s_and_b32 vcc_lo, exec_lo, s6
	s_cbranch_vccz .LBB8_1674
; %bb.1672:
	v_cmp_eq_u16_e32 vcc_lo, 29, v17
	s_mov_b32 s0, -1
	s_cbranch_vccz .LBB8_1674
; %bb.1673:
	v_trunc_f64_e32 v[2:3], v[0:1]
	s_mov_b32 s0, 0
	s_mov_b32 s3, -1
	s_delay_alu instid0(VALU_DEP_1) | instskip(NEXT) | instid1(VALU_DEP_1)
	v_ldexp_f64 v[14:15], v[2:3], 0xffffffe0
	v_floor_f64_e32 v[14:15], v[14:15]
	s_delay_alu instid0(VALU_DEP_1) | instskip(SKIP_1) | instid1(VALU_DEP_2)
	v_fma_f64 v[2:3], 0xc1f00000, v[14:15], v[2:3]
	v_cvt_u32_f64_e32 v15, v[14:15]
	v_cvt_u32_f64_e32 v14, v[2:3]
	global_store_b64 v[6:7], v[14:15], off
.LBB8_1674:
	s_mov_b32 s6, 0
.LBB8_1675:
	s_delay_alu instid0(SALU_CYCLE_1)
	s_and_b32 vcc_lo, exec_lo, s6
	s_cbranch_vccz .LBB8_1691
; %bb.1676:
	v_cmp_gt_i16_e32 vcc_lo, 27, v17
	s_mov_b32 s3, -1
	s_cbranch_vccnz .LBB8_1682
; %bb.1677:
	v_cvt_u32_f64_e32 v2, v[0:1]
	v_cmp_lt_i16_e32 vcc_lo, 27, v17
	s_cbranch_vccz .LBB8_1679
; %bb.1678:
	s_mov_b32 s3, 0
	global_store_b32 v[6:7], v2, off
.LBB8_1679:
	s_and_not1_b32 vcc_lo, exec_lo, s3
	s_cbranch_vccnz .LBB8_1681
; %bb.1680:
	global_store_b16 v[6:7], v2, off
.LBB8_1681:
	s_mov_b32 s3, 0
.LBB8_1682:
	s_delay_alu instid0(SALU_CYCLE_1)
	s_and_not1_b32 vcc_lo, exec_lo, s3
	s_cbranch_vccnz .LBB8_1690
; %bb.1683:
	v_cvt_f32_f64_e32 v2, v[0:1]
	v_mov_b32_e32 v11, 0x80
	s_mov_b32 s3, exec_lo
	s_delay_alu instid0(VALU_DEP_2) | instskip(NEXT) | instid1(VALU_DEP_1)
	v_and_b32_e32 v3, 0x7fffffff, v2
	v_cmpx_gt_u32_e32 0x43800000, v3
	s_cbranch_execz .LBB8_1689
; %bb.1684:
	v_cmp_lt_u32_e32 vcc_lo, 0x3bffffff, v3
	s_mov_b32 s6, 0
                                        ; implicit-def: $vgpr3
	s_and_saveexec_b32 s7, vcc_lo
	s_delay_alu instid0(SALU_CYCLE_1)
	s_xor_b32 s7, exec_lo, s7
	s_cbranch_execz .LBB8_2140
; %bb.1685:
	v_bfe_u32 v3, v2, 20, 1
	s_mov_b32 s6, exec_lo
	s_delay_alu instid0(VALU_DEP_1) | instskip(NEXT) | instid1(VALU_DEP_1)
	v_add3_u32 v3, v2, v3, 0x487ffff
	v_lshrrev_b32_e32 v3, 20, v3
	s_or_saveexec_b32 s7, s7
                                        ; implicit-def: $sgpr11
	s_delay_alu instid0(SALU_CYCLE_1)
	s_xor_b32 exec_lo, exec_lo, s7
	s_cbranch_execnz .LBB8_2141
.LBB8_1686:
	s_or_b32 exec_lo, exec_lo, s7
	v_mov_b32_e32 v11, s11
	s_and_saveexec_b32 s7, s6
.LBB8_1687:
	v_lshrrev_b32_e32 v2, 24, v2
	s_delay_alu instid0(VALU_DEP_1)
	v_and_or_b32 v11, 0x80, v2, v3
.LBB8_1688:
	s_or_b32 exec_lo, exec_lo, s7
.LBB8_1689:
	s_delay_alu instid0(SALU_CYCLE_1)
	s_or_b32 exec_lo, exec_lo, s3
	global_store_b8 v[6:7], v11, off
.LBB8_1690:
	s_mov_b32 s3, -1
.LBB8_1691:
	s_mov_b32 s6, 0
.LBB8_1692:
	s_delay_alu instid0(SALU_CYCLE_1)
	s_and_b32 vcc_lo, exec_lo, s6
	s_cbranch_vccz .LBB8_1732
; %bb.1693:
	v_cmp_lt_i16_e32 vcc_lo, 22, v17
	s_mov_b32 s1, -1
	s_cbranch_vccz .LBB8_1725
; %bb.1694:
	v_cmp_gt_i16_e32 vcc_lo, 24, v17
	s_cbranch_vccnz .LBB8_1714
; %bb.1695:
	v_cmp_lt_i16_e32 vcc_lo, 24, v17
	s_cbranch_vccz .LBB8_1703
; %bb.1696:
	v_cvt_f32_f64_e32 v2, v[0:1]
	v_mov_b32_e32 v11, 0x80
	s_mov_b32 s1, exec_lo
	s_delay_alu instid0(VALU_DEP_2) | instskip(NEXT) | instid1(VALU_DEP_1)
	v_and_b32_e32 v3, 0x7fffffff, v2
	v_cmpx_gt_u32_e32 0x47800000, v3
	s_cbranch_execz .LBB8_1702
; %bb.1697:
	v_cmp_lt_u32_e32 vcc_lo, 0x37ffffff, v3
	s_mov_b32 s3, 0
                                        ; implicit-def: $vgpr3
	s_and_saveexec_b32 s6, vcc_lo
	s_delay_alu instid0(SALU_CYCLE_1)
	s_xor_b32 s6, exec_lo, s6
	s_cbranch_execz .LBB8_2146
; %bb.1698:
	v_bfe_u32 v3, v2, 21, 1
	s_mov_b32 s3, exec_lo
	s_delay_alu instid0(VALU_DEP_1) | instskip(NEXT) | instid1(VALU_DEP_1)
	v_add3_u32 v3, v2, v3, 0x88fffff
	v_lshrrev_b32_e32 v3, 21, v3
	s_or_saveexec_b32 s6, s6
                                        ; implicit-def: $sgpr7
	s_delay_alu instid0(SALU_CYCLE_1)
	s_xor_b32 exec_lo, exec_lo, s6
	s_cbranch_execnz .LBB8_2147
.LBB8_1699:
	s_or_b32 exec_lo, exec_lo, s6
	v_mov_b32_e32 v11, s7
	s_and_saveexec_b32 s6, s3
.LBB8_1700:
	v_lshrrev_b32_e32 v2, 24, v2
	s_delay_alu instid0(VALU_DEP_1)
	v_and_or_b32 v11, 0x80, v2, v3
.LBB8_1701:
	s_or_b32 exec_lo, exec_lo, s6
.LBB8_1702:
	s_delay_alu instid0(SALU_CYCLE_1)
	s_or_b32 exec_lo, exec_lo, s1
	s_mov_b32 s1, 0
	global_store_b8 v[6:7], v11, off
.LBB8_1703:
	s_and_b32 vcc_lo, exec_lo, s1
	s_cbranch_vccz .LBB8_1713
; %bb.1704:
	v_cvt_f32_f64_e32 v2, v[0:1]
	s_mov_b32 s1, exec_lo
                                        ; implicit-def: $vgpr3
	s_delay_alu instid0(VALU_DEP_1) | instskip(NEXT) | instid1(VALU_DEP_1)
	v_and_b32_e32 v11, 0x7fffffff, v2
	v_cmpx_gt_u32_e32 0x43f00000, v11
	s_xor_b32 s1, exec_lo, s1
	s_cbranch_execz .LBB8_1710
; %bb.1705:
	s_mov_b32 s3, exec_lo
                                        ; implicit-def: $vgpr3
	v_cmpx_lt_u32_e32 0x3c7fffff, v11
	s_xor_b32 s3, exec_lo, s3
; %bb.1706:
	v_bfe_u32 v3, v2, 20, 1
	s_delay_alu instid0(VALU_DEP_1) | instskip(NEXT) | instid1(VALU_DEP_1)
	v_add3_u32 v3, v2, v3, 0x407ffff
	v_and_b32_e32 v11, 0xff00000, v3
	v_lshrrev_b32_e32 v3, 20, v3
	s_delay_alu instid0(VALU_DEP_2) | instskip(NEXT) | instid1(VALU_DEP_2)
	v_cmp_ne_u32_e32 vcc_lo, 0x7f00000, v11
	v_cndmask_b32_e32 v3, 0x7e, v3, vcc_lo
; %bb.1707:
	s_and_not1_saveexec_b32 s3, s3
; %bb.1708:
	v_add_f32_e64 v3, 0x46800000, |v2|
; %bb.1709:
	s_or_b32 exec_lo, exec_lo, s3
                                        ; implicit-def: $vgpr11
.LBB8_1710:
	s_and_not1_saveexec_b32 s1, s1
; %bb.1711:
	v_mov_b32_e32 v3, 0x7f
	v_cmp_lt_u32_e32 vcc_lo, 0x7f800000, v11
	s_delay_alu instid0(VALU_DEP_2)
	v_cndmask_b32_e32 v3, 0x7e, v3, vcc_lo
; %bb.1712:
	s_or_b32 exec_lo, exec_lo, s1
	v_lshrrev_b32_e32 v2, 24, v2
	s_delay_alu instid0(VALU_DEP_1)
	v_and_or_b32 v2, 0x80, v2, v3
	global_store_b8 v[6:7], v2, off
.LBB8_1713:
	s_mov_b32 s1, 0
.LBB8_1714:
	s_delay_alu instid0(SALU_CYCLE_1)
	s_and_not1_b32 vcc_lo, exec_lo, s1
	s_cbranch_vccnz .LBB8_1724
; %bb.1715:
	v_cvt_f32_f64_e32 v2, v[0:1]
	s_mov_b32 s1, exec_lo
                                        ; implicit-def: $vgpr3
	s_delay_alu instid0(VALU_DEP_1) | instskip(NEXT) | instid1(VALU_DEP_1)
	v_and_b32_e32 v11, 0x7fffffff, v2
	v_cmpx_gt_u32_e32 0x47800000, v11
	s_xor_b32 s1, exec_lo, s1
	s_cbranch_execz .LBB8_1721
; %bb.1716:
	s_mov_b32 s3, exec_lo
                                        ; implicit-def: $vgpr3
	v_cmpx_lt_u32_e32 0x387fffff, v11
	s_xor_b32 s3, exec_lo, s3
; %bb.1717:
	v_bfe_u32 v3, v2, 21, 1
	s_delay_alu instid0(VALU_DEP_1) | instskip(NEXT) | instid1(VALU_DEP_1)
	v_add3_u32 v3, v2, v3, 0x80fffff
	v_lshrrev_b32_e32 v3, 21, v3
; %bb.1718:
	s_and_not1_saveexec_b32 s3, s3
; %bb.1719:
	v_add_f32_e64 v3, 0x43000000, |v2|
; %bb.1720:
	s_or_b32 exec_lo, exec_lo, s3
                                        ; implicit-def: $vgpr11
.LBB8_1721:
	s_and_not1_saveexec_b32 s1, s1
; %bb.1722:
	v_mov_b32_e32 v3, 0x7f
	v_cmp_lt_u32_e32 vcc_lo, 0x7f800000, v11
	s_delay_alu instid0(VALU_DEP_2)
	v_cndmask_b32_e32 v3, 0x7c, v3, vcc_lo
; %bb.1723:
	s_or_b32 exec_lo, exec_lo, s1
	v_lshrrev_b32_e32 v2, 24, v2
	s_delay_alu instid0(VALU_DEP_1)
	v_and_or_b32 v2, 0x80, v2, v3
	global_store_b8 v[6:7], v2, off
.LBB8_1724:
	s_mov_b32 s1, 0
	s_mov_b32 s3, -1
.LBB8_1725:
	s_and_not1_b32 vcc_lo, exec_lo, s1
	s_mov_b32 s1, 0
	s_cbranch_vccnz .LBB8_1732
; %bb.1726:
	v_cmp_lt_i16_e32 vcc_lo, 14, v17
	s_mov_b32 s1, -1
	s_cbranch_vccz .LBB8_1730
; %bb.1727:
	v_cmp_eq_u16_e32 vcc_lo, 15, v17
	s_mov_b32 s0, -1
	s_cbranch_vccz .LBB8_1729
; %bb.1728:
	v_cvt_f32_f64_e32 v2, v[0:1]
	s_mov_b32 s0, 0
	s_mov_b32 s3, -1
	s_delay_alu instid0(VALU_DEP_1) | instskip(SKIP_1) | instid1(VALU_DEP_2)
	v_bfe_u32 v3, v2, 16, 1
	v_cmp_o_f32_e32 vcc_lo, v2, v2
	v_add3_u32 v3, v2, v3, 0x7fff
	s_delay_alu instid0(VALU_DEP_1) | instskip(NEXT) | instid1(VALU_DEP_1)
	v_lshrrev_b32_e32 v3, 16, v3
	v_cndmask_b32_e32 v2, 0x7fc0, v3, vcc_lo
	global_store_b16 v[6:7], v2, off
.LBB8_1729:
	s_mov_b32 s1, 0
.LBB8_1730:
	s_delay_alu instid0(SALU_CYCLE_1)
	s_and_b32 vcc_lo, exec_lo, s1
	s_mov_b32 s1, 0
	s_cbranch_vccz .LBB8_1732
; %bb.1731:
	v_cmp_ne_u16_e64 s0, 11, v17
	s_mov_b32 s1, -1
.LBB8_1732:
	s_delay_alu instid0(VALU_DEP_1)
	s_and_b32 vcc_lo, exec_lo, s0
	s_cbranch_vccnz .LBB8_2144
; %bb.1733:
	s_and_not1_b32 vcc_lo, exec_lo, s1
	s_cbranch_vccnz .LBB8_1735
.LBB8_1734:
	v_cmp_neq_f64_e32 vcc_lo, 0, v[0:1]
	s_mov_b32 s3, -1
	v_cndmask_b32_e64 v2, 0, 1, vcc_lo
	global_store_b8 v[6:7], v2, off
.LBB8_1735:
	s_mov_b32 s0, 0
	s_branch .LBB8_1782
.LBB8_1736:
	s_mov_b32 s0, 0
	s_mov_b32 s1, 0
                                        ; implicit-def: $vgpr17
                                        ; implicit-def: $vgpr0_vgpr1
                                        ; implicit-def: $vgpr12_vgpr13
.LBB8_1737:
	s_and_not1_b32 s2, s10, exec_lo
	s_and_b32 s3, s8, exec_lo
	s_and_b32 s0, s0, exec_lo
	;; [unrolled: 1-line block ×3, first 2 shown]
	s_or_b32 s10, s2, s3
.LBB8_1738:
	s_or_b32 exec_lo, exec_lo, s9
	s_and_saveexec_b32 s1, s10
	s_cbranch_execz .LBB8_1741
; %bb.1739:
	; divergent unreachable
	s_or_b32 exec_lo, exec_lo, s1
	s_and_saveexec_b32 s1, s8
	s_delay_alu instid0(SALU_CYCLE_1)
	s_xor_b32 s1, exec_lo, s1
	s_cbranch_execnz .LBB8_1742
.LBB8_1740:
	s_or_b32 exec_lo, exec_lo, s1
	s_and_saveexec_b32 s1, s0
	s_cbranch_execnz .LBB8_1743
	s_branch .LBB8_1780
.LBB8_1741:
	s_or_b32 exec_lo, exec_lo, s1
	s_and_saveexec_b32 s1, s8
	s_delay_alu instid0(SALU_CYCLE_1)
	s_xor_b32 s1, exec_lo, s1
	s_cbranch_execz .LBB8_1740
.LBB8_1742:
	v_cmp_neq_f64_e32 vcc_lo, 0, v[12:13]
	s_waitcnt vmcnt(0)
	v_cndmask_b32_e64 v2, 0, 1, vcc_lo
	global_store_b8 v[0:1], v2, off
	s_or_b32 exec_lo, exec_lo, s1
	s_and_saveexec_b32 s1, s0
	s_cbranch_execz .LBB8_1780
.LBB8_1743:
	v_cmp_gt_i16_e32 vcc_lo, 5, v17
	s_mov_b32 s0, -1
	s_cbranch_vccnz .LBB8_1764
; %bb.1744:
	v_cmp_gt_i16_e32 vcc_lo, 8, v17
	s_cbranch_vccnz .LBB8_1754
; %bb.1745:
	v_cmp_gt_i16_e32 vcc_lo, 9, v17
	s_cbranch_vccnz .LBB8_1751
; %bb.1746:
	v_cmp_lt_i16_e32 vcc_lo, 9, v17
	s_cbranch_vccz .LBB8_1748
; %bb.1747:
	v_mov_b32_e32 v14, 0
	s_mov_b32 s0, 0
	s_delay_alu instid0(VALU_DEP_1)
	v_mov_b32_e32 v15, v14
	global_store_b128 v[0:1], v[12:15], off
.LBB8_1748:
	s_and_not1_b32 vcc_lo, exec_lo, s0
	s_cbranch_vccnz .LBB8_1750
; %bb.1749:
	s_waitcnt vmcnt(0)
	v_cvt_f32_f64_e32 v2, v[12:13]
	v_mov_b32_e32 v3, 0
	global_store_b64 v[0:1], v[2:3], off
.LBB8_1750:
	s_mov_b32 s0, 0
.LBB8_1751:
	s_delay_alu instid0(SALU_CYCLE_1)
	s_and_not1_b32 vcc_lo, exec_lo, s0
	s_cbranch_vccnz .LBB8_1753
; %bb.1752:
	s_waitcnt vmcnt(0)
	v_cvt_f32_f64_e32 v2, v[12:13]
	s_delay_alu instid0(VALU_DEP_1) | instskip(NEXT) | instid1(VALU_DEP_1)
	v_cvt_f16_f32_e32 v2, v2
	v_and_b32_e32 v2, 0xffff, v2
	global_store_b32 v[0:1], v2, off
.LBB8_1753:
	s_mov_b32 s0, 0
.LBB8_1754:
	s_delay_alu instid0(SALU_CYCLE_1)
	s_and_not1_b32 vcc_lo, exec_lo, s0
	s_cbranch_vccnz .LBB8_1763
; %bb.1755:
	v_cmp_gt_i16_e32 vcc_lo, 6, v17
	s_mov_b32 s0, -1
	s_cbranch_vccnz .LBB8_1761
; %bb.1756:
	v_cmp_lt_i16_e32 vcc_lo, 6, v17
	s_cbranch_vccz .LBB8_1758
; %bb.1757:
	s_mov_b32 s0, 0
	global_store_b64 v[0:1], v[12:13], off
.LBB8_1758:
	s_and_not1_b32 vcc_lo, exec_lo, s0
	s_cbranch_vccnz .LBB8_1760
; %bb.1759:
	s_waitcnt vmcnt(0)
	v_cvt_f32_f64_e32 v2, v[12:13]
	global_store_b32 v[0:1], v2, off
.LBB8_1760:
	s_mov_b32 s0, 0
.LBB8_1761:
	s_delay_alu instid0(SALU_CYCLE_1)
	s_and_not1_b32 vcc_lo, exec_lo, s0
	s_cbranch_vccnz .LBB8_1763
; %bb.1762:
	s_waitcnt vmcnt(0)
	v_cvt_f32_f64_e32 v2, v[12:13]
	s_delay_alu instid0(VALU_DEP_1)
	v_cvt_f16_f32_e32 v2, v2
	global_store_b16 v[0:1], v2, off
.LBB8_1763:
	s_mov_b32 s0, 0
.LBB8_1764:
	s_delay_alu instid0(SALU_CYCLE_1)
	s_and_not1_b32 vcc_lo, exec_lo, s0
	s_cbranch_vccnz .LBB8_1780
; %bb.1765:
	v_cmp_gt_i16_e32 vcc_lo, 2, v17
	s_mov_b32 s0, -1
	s_cbranch_vccnz .LBB8_1775
; %bb.1766:
	v_cmp_gt_i16_e32 vcc_lo, 3, v17
	s_cbranch_vccnz .LBB8_1772
; %bb.1767:
	v_cmp_lt_i16_e32 vcc_lo, 3, v17
	s_cbranch_vccz .LBB8_1769
; %bb.1768:
	s_waitcnt vmcnt(0)
	v_trunc_f64_e32 v[2:3], v[12:13]
	s_mov_b32 s0, 0
	s_delay_alu instid0(VALU_DEP_1) | instskip(NEXT) | instid1(VALU_DEP_1)
	v_ldexp_f64 v[4:5], v[2:3], 0xffffffe0
	v_floor_f64_e32 v[4:5], v[4:5]
	s_delay_alu instid0(VALU_DEP_1) | instskip(SKIP_1) | instid1(VALU_DEP_2)
	v_fma_f64 v[2:3], 0xc1f00000, v[4:5], v[2:3]
	v_cvt_i32_f64_e32 v4, v[4:5]
	v_cvt_u32_f64_e32 v3, v[2:3]
	global_store_b64 v[0:1], v[3:4], off
.LBB8_1769:
	s_and_not1_b32 vcc_lo, exec_lo, s0
	s_cbranch_vccnz .LBB8_1771
; %bb.1770:
	s_waitcnt vmcnt(0)
	v_cvt_i32_f64_e32 v2, v[12:13]
	global_store_b32 v[0:1], v2, off
.LBB8_1771:
	s_mov_b32 s0, 0
.LBB8_1772:
	s_delay_alu instid0(SALU_CYCLE_1)
	s_and_not1_b32 vcc_lo, exec_lo, s0
	s_cbranch_vccnz .LBB8_1774
; %bb.1773:
	s_waitcnt vmcnt(0)
	v_cvt_i32_f64_e32 v2, v[12:13]
	global_store_b16 v[0:1], v2, off
.LBB8_1774:
	s_mov_b32 s0, 0
.LBB8_1775:
	s_delay_alu instid0(SALU_CYCLE_1)
	s_and_not1_b32 vcc_lo, exec_lo, s0
	s_cbranch_vccnz .LBB8_1780
; %bb.1776:
	v_cmp_lt_i16_e32 vcc_lo, 0, v17
	s_mov_b32 s0, -1
	s_cbranch_vccz .LBB8_1778
; %bb.1777:
	s_waitcnt vmcnt(0)
	v_cvt_i32_f64_e32 v2, v[12:13]
	s_mov_b32 s0, 0
	global_store_b8 v[0:1], v2, off
.LBB8_1778:
	s_and_not1_b32 vcc_lo, exec_lo, s0
	s_cbranch_vccnz .LBB8_1780
; %bb.1779:
	s_waitcnt vmcnt(0)
	v_trunc_f64_e32 v[2:3], v[12:13]
	s_delay_alu instid0(VALU_DEP_1) | instskip(NEXT) | instid1(VALU_DEP_1)
	v_ldexp_f64 v[4:5], v[2:3], 0xffffffe0
	v_floor_f64_e32 v[4:5], v[4:5]
	s_delay_alu instid0(VALU_DEP_1) | instskip(NEXT) | instid1(VALU_DEP_1)
	v_fma_f64 v[2:3], 0xc1f00000, v[4:5], v[2:3]
	v_cvt_u32_f64_e32 v2, v[2:3]
	global_store_b8 v[0:1], v2, off
	s_nop 0
	s_sendmsg sendmsg(MSG_DEALLOC_VGPRS)
	s_endpgm
.LBB8_1780:
	s_nop 0
	s_sendmsg sendmsg(MSG_DEALLOC_VGPRS)
	s_endpgm
.LBB8_1781:
	s_mov_b32 s0, -1
	s_mov_b32 s3, 0
.LBB8_1782:
	s_and_b32 vcc_lo, exec_lo, s0
	s_cbranch_vccz .LBB8_1821
; %bb.1783:
	v_cmp_gt_i16_e32 vcc_lo, 5, v17
	s_mov_b32 s0, -1
	s_cbranch_vccnz .LBB8_1804
; %bb.1784:
	v_cmp_gt_i16_e32 vcc_lo, 8, v17
	s_cbranch_vccnz .LBB8_1794
; %bb.1785:
	v_cmp_gt_i16_e32 vcc_lo, 9, v17
	s_cbranch_vccnz .LBB8_1791
; %bb.1786:
	v_cmp_lt_i16_e32 vcc_lo, 9, v17
	s_cbranch_vccz .LBB8_1788
; %bb.1787:
	v_mov_b32_e32 v2, 0
	s_mov_b32 s0, 0
	s_delay_alu instid0(VALU_DEP_1)
	v_mov_b32_e32 v3, v2
	global_store_b128 v[6:7], v[0:3], off
.LBB8_1788:
	s_and_not1_b32 vcc_lo, exec_lo, s0
	s_cbranch_vccnz .LBB8_1790
; %bb.1789:
	v_cvt_f32_f64_e32 v2, v[0:1]
	v_mov_b32_e32 v3, 0
	global_store_b64 v[6:7], v[2:3], off
.LBB8_1790:
	s_mov_b32 s0, 0
.LBB8_1791:
	s_delay_alu instid0(SALU_CYCLE_1)
	s_and_not1_b32 vcc_lo, exec_lo, s0
	s_cbranch_vccnz .LBB8_1793
; %bb.1792:
	v_cvt_f32_f64_e32 v2, v[0:1]
	s_delay_alu instid0(VALU_DEP_1) | instskip(NEXT) | instid1(VALU_DEP_1)
	v_cvt_f16_f32_e32 v2, v2
	v_and_b32_e32 v2, 0xffff, v2
	global_store_b32 v[6:7], v2, off
.LBB8_1793:
	s_mov_b32 s0, 0
.LBB8_1794:
	s_delay_alu instid0(SALU_CYCLE_1)
	s_and_not1_b32 vcc_lo, exec_lo, s0
	s_cbranch_vccnz .LBB8_1803
; %bb.1795:
	v_cmp_gt_i16_e32 vcc_lo, 6, v17
	s_mov_b32 s0, -1
	s_cbranch_vccnz .LBB8_1801
; %bb.1796:
	v_cmp_lt_i16_e32 vcc_lo, 6, v17
	s_cbranch_vccz .LBB8_1798
; %bb.1797:
	s_mov_b32 s0, 0
	global_store_b64 v[6:7], v[0:1], off
.LBB8_1798:
	s_and_not1_b32 vcc_lo, exec_lo, s0
	s_cbranch_vccnz .LBB8_1800
; %bb.1799:
	v_cvt_f32_f64_e32 v2, v[0:1]
	global_store_b32 v[6:7], v2, off
.LBB8_1800:
	s_mov_b32 s0, 0
.LBB8_1801:
	s_delay_alu instid0(SALU_CYCLE_1)
	s_and_not1_b32 vcc_lo, exec_lo, s0
	s_cbranch_vccnz .LBB8_1803
; %bb.1802:
	v_cvt_f32_f64_e32 v2, v[0:1]
	s_delay_alu instid0(VALU_DEP_1)
	v_cvt_f16_f32_e32 v2, v2
	global_store_b16 v[6:7], v2, off
.LBB8_1803:
	s_mov_b32 s0, 0
.LBB8_1804:
	s_delay_alu instid0(SALU_CYCLE_1)
	s_and_not1_b32 vcc_lo, exec_lo, s0
	s_cbranch_vccnz .LBB8_1820
; %bb.1805:
	v_cmp_gt_i16_e32 vcc_lo, 2, v17
	s_mov_b32 s0, -1
	s_cbranch_vccnz .LBB8_1815
; %bb.1806:
	v_cmp_gt_i16_e32 vcc_lo, 3, v17
	s_cbranch_vccnz .LBB8_1812
; %bb.1807:
	v_cmp_lt_i16_e32 vcc_lo, 3, v17
	s_cbranch_vccz .LBB8_1809
; %bb.1808:
	v_trunc_f64_e32 v[2:3], v[0:1]
	s_mov_b32 s0, 0
	s_delay_alu instid0(VALU_DEP_1) | instskip(NEXT) | instid1(VALU_DEP_1)
	v_ldexp_f64 v[14:15], v[2:3], 0xffffffe0
	v_floor_f64_e32 v[14:15], v[14:15]
	s_delay_alu instid0(VALU_DEP_1) | instskip(SKIP_1) | instid1(VALU_DEP_2)
	v_fma_f64 v[2:3], 0xc1f00000, v[14:15], v[2:3]
	v_cvt_i32_f64_e32 v15, v[14:15]
	v_cvt_u32_f64_e32 v14, v[2:3]
	global_store_b64 v[6:7], v[14:15], off
.LBB8_1809:
	s_and_not1_b32 vcc_lo, exec_lo, s0
	s_cbranch_vccnz .LBB8_1811
; %bb.1810:
	v_cvt_i32_f64_e32 v2, v[0:1]
	global_store_b32 v[6:7], v2, off
.LBB8_1811:
	s_mov_b32 s0, 0
.LBB8_1812:
	s_delay_alu instid0(SALU_CYCLE_1)
	s_and_not1_b32 vcc_lo, exec_lo, s0
	s_cbranch_vccnz .LBB8_1814
; %bb.1813:
	v_cvt_i32_f64_e32 v2, v[0:1]
	global_store_b16 v[6:7], v2, off
.LBB8_1814:
	s_mov_b32 s0, 0
.LBB8_1815:
	s_delay_alu instid0(SALU_CYCLE_1)
	s_and_not1_b32 vcc_lo, exec_lo, s0
	s_cbranch_vccnz .LBB8_1820
; %bb.1816:
	v_cmp_lt_i16_e32 vcc_lo, 0, v17
	s_mov_b32 s0, -1
	s_cbranch_vccz .LBB8_1818
; %bb.1817:
	v_cvt_i32_f64_e32 v2, v[0:1]
	s_mov_b32 s0, 0
	global_store_b8 v[6:7], v2, off
.LBB8_1818:
	s_and_not1_b32 vcc_lo, exec_lo, s0
	s_cbranch_vccnz .LBB8_1820
; %bb.1819:
	v_trunc_f64_e32 v[0:1], v[0:1]
	s_delay_alu instid0(VALU_DEP_1) | instskip(NEXT) | instid1(VALU_DEP_1)
	v_ldexp_f64 v[2:3], v[0:1], 0xffffffe0
	v_floor_f64_e32 v[2:3], v[2:3]
	s_delay_alu instid0(VALU_DEP_1) | instskip(NEXT) | instid1(VALU_DEP_1)
	v_fma_f64 v[0:1], 0xc1f00000, v[2:3], v[0:1]
	v_cvt_u32_f64_e32 v0, v[0:1]
	global_store_b8 v[6:7], v0, off
.LBB8_1820:
	s_mov_b32 s3, -1
.LBB8_1821:
	s_delay_alu instid0(SALU_CYCLE_1)
	s_and_not1_b32 vcc_lo, exec_lo, s3
	s_cbranch_vccnz .LBB8_2136
; %bb.1822:
	s_lshl_b32 s1, s2, 7
	v_cmp_gt_i16_e32 vcc_lo, 11, v17
	v_add_nc_u32_e32 v2, s1, v10
	s_delay_alu instid0(VALU_DEP_1) | instskip(SKIP_1) | instid1(VALU_DEP_1)
	v_ashrrev_i32_e32 v1, 31, v2
	v_add_co_u32 v0, s0, s4, v2
	v_add_co_ci_u32_e64 v1, s0, s5, v1, s0
	s_cbranch_vccnz .LBB8_1900
; %bb.1823:
	v_cmp_lt_i16_e32 vcc_lo, 25, v17
	s_mov_b32 s6, -1
	s_mov_b32 s2, 0
	s_mov_b32 s3, 0
	;; [unrolled: 1-line block ×3, first 2 shown]
	s_cbranch_vccz .LBB8_1856
; %bb.1824:
	v_cmp_lt_i16_e32 vcc_lo, 28, v17
	s_cbranch_vccz .LBB8_1839
; %bb.1825:
	v_cmp_lt_i16_e32 vcc_lo, 43, v17
	;; [unrolled: 3-line block ×3, first 2 shown]
	s_cbranch_vccz .LBB8_1829
; %bb.1827:
	v_cmp_eq_u16_e32 vcc_lo, 46, v17
	s_mov_b32 s0, -1
	s_mov_b32 s6, 0
	s_cbranch_vccz .LBB8_1829
; %bb.1828:
	v_cvt_f32_f64_e32 v3, v[4:5]
	s_mov_b32 s0, 0
	s_mov_b32 s3, -1
	s_delay_alu instid0(VALU_DEP_1) | instskip(SKIP_1) | instid1(VALU_DEP_2)
	v_bfe_u32 v6, v3, 16, 1
	v_cmp_o_f32_e32 vcc_lo, v3, v3
	v_add3_u32 v6, v3, v6, 0x7fff
	s_delay_alu instid0(VALU_DEP_1) | instskip(NEXT) | instid1(VALU_DEP_1)
	v_lshrrev_b32_e32 v6, 16, v6
	v_cndmask_b32_e32 v3, 0x7fc0, v6, vcc_lo
	global_store_b32 v[0:1], v3, off
.LBB8_1829:
	s_and_b32 vcc_lo, exec_lo, s6
	s_cbranch_vccz .LBB8_1834
; %bb.1830:
	v_cmp_eq_u16_e32 vcc_lo, 44, v17
	s_mov_b32 s0, -1
	s_cbranch_vccz .LBB8_1834
; %bb.1831:
	v_cvt_f32_f64_e32 v3, v[4:5]
	v_mov_b32_e32 v6, 0xff
	s_mov_b32 s3, exec_lo
	s_delay_alu instid0(VALU_DEP_2) | instskip(NEXT) | instid1(VALU_DEP_1)
	v_bfe_u32 v7, v3, 23, 8
	v_cmpx_ne_u32_e32 0xff, v7
; %bb.1832:
	v_and_b32_e32 v6, 0x400000, v3
	v_and_or_b32 v7, 0x3fffff, v3, v7
	v_lshrrev_b32_e32 v3, 23, v3
	s_delay_alu instid0(VALU_DEP_3) | instskip(NEXT) | instid1(VALU_DEP_3)
	v_cmp_ne_u32_e32 vcc_lo, 0, v6
	v_cmp_ne_u32_e64 s0, 0, v7
	s_delay_alu instid0(VALU_DEP_1) | instskip(NEXT) | instid1(SALU_CYCLE_1)
	s_and_b32 s0, vcc_lo, s0
	v_cndmask_b32_e64 v6, 0, 1, s0
	s_delay_alu instid0(VALU_DEP_1)
	v_add_nc_u32_e32 v6, v3, v6
; %bb.1833:
	s_or_b32 exec_lo, exec_lo, s3
	s_mov_b32 s0, 0
	s_mov_b32 s3, -1
	global_store_b8 v[0:1], v6, off
.LBB8_1834:
	s_mov_b32 s6, 0
.LBB8_1835:
	s_delay_alu instid0(SALU_CYCLE_1)
	s_and_b32 vcc_lo, exec_lo, s6
	s_cbranch_vccz .LBB8_1838
; %bb.1836:
	v_cmp_eq_u16_e32 vcc_lo, 29, v17
	s_mov_b32 s0, -1
	s_cbranch_vccz .LBB8_1838
; %bb.1837:
	v_trunc_f64_e32 v[6:7], v[4:5]
	s_mov_b32 s0, 0
	s_mov_b32 s3, -1
	s_delay_alu instid0(VALU_DEP_1) | instskip(NEXT) | instid1(VALU_DEP_1)
	v_ldexp_f64 v[10:11], v[6:7], 0xffffffe0
	v_floor_f64_e32 v[10:11], v[10:11]
	s_delay_alu instid0(VALU_DEP_1) | instskip(SKIP_1) | instid1(VALU_DEP_2)
	v_fma_f64 v[6:7], 0xc1f00000, v[10:11], v[6:7]
	v_cvt_u32_f64_e32 v11, v[10:11]
	v_cvt_u32_f64_e32 v10, v[6:7]
	global_store_b64 v[0:1], v[10:11], off
.LBB8_1838:
	s_mov_b32 s6, 0
.LBB8_1839:
	s_delay_alu instid0(SALU_CYCLE_1)
	s_and_b32 vcc_lo, exec_lo, s6
	s_cbranch_vccz .LBB8_1855
; %bb.1840:
	v_cmp_gt_i16_e32 vcc_lo, 27, v17
	s_mov_b32 s3, -1
	s_cbranch_vccnz .LBB8_1846
; %bb.1841:
	v_cvt_u32_f64_e32 v3, v[4:5]
	v_cmp_lt_i16_e32 vcc_lo, 27, v17
	s_cbranch_vccz .LBB8_1843
; %bb.1842:
	s_mov_b32 s3, 0
	global_store_b32 v[0:1], v3, off
.LBB8_1843:
	s_and_not1_b32 vcc_lo, exec_lo, s3
	s_cbranch_vccnz .LBB8_1845
; %bb.1844:
	global_store_b16 v[0:1], v3, off
.LBB8_1845:
	s_mov_b32 s3, 0
.LBB8_1846:
	s_delay_alu instid0(SALU_CYCLE_1)
	s_and_not1_b32 vcc_lo, exec_lo, s3
	s_cbranch_vccnz .LBB8_1854
; %bb.1847:
	v_cvt_f32_f64_e32 v3, v[4:5]
	v_mov_b32_e32 v7, 0x80
	s_mov_b32 s3, exec_lo
	s_delay_alu instid0(VALU_DEP_2) | instskip(NEXT) | instid1(VALU_DEP_1)
	v_and_b32_e32 v6, 0x7fffffff, v3
	v_cmpx_gt_u32_e32 0x43800000, v6
	s_cbranch_execz .LBB8_1853
; %bb.1848:
	v_cmp_lt_u32_e32 vcc_lo, 0x3bffffff, v6
	s_mov_b32 s6, 0
                                        ; implicit-def: $vgpr6
	s_and_saveexec_b32 s7, vcc_lo
	s_delay_alu instid0(SALU_CYCLE_1)
	s_xor_b32 s7, exec_lo, s7
	s_cbranch_execz .LBB8_2148
; %bb.1849:
	v_bfe_u32 v6, v3, 20, 1
	s_mov_b32 s6, exec_lo
	s_delay_alu instid0(VALU_DEP_1) | instskip(NEXT) | instid1(VALU_DEP_1)
	v_add3_u32 v6, v3, v6, 0x487ffff
	v_lshrrev_b32_e32 v6, 20, v6
	s_or_saveexec_b32 s7, s7
                                        ; implicit-def: $sgpr11
	s_delay_alu instid0(SALU_CYCLE_1)
	s_xor_b32 exec_lo, exec_lo, s7
	s_cbranch_execnz .LBB8_2149
.LBB8_1850:
	s_or_b32 exec_lo, exec_lo, s7
	v_mov_b32_e32 v7, s11
	s_and_saveexec_b32 s7, s6
.LBB8_1851:
	v_lshrrev_b32_e32 v3, 24, v3
	s_delay_alu instid0(VALU_DEP_1)
	v_and_or_b32 v7, 0x80, v3, v6
.LBB8_1852:
	s_or_b32 exec_lo, exec_lo, s7
.LBB8_1853:
	s_delay_alu instid0(SALU_CYCLE_1)
	s_or_b32 exec_lo, exec_lo, s3
	global_store_b8 v[0:1], v7, off
.LBB8_1854:
	s_mov_b32 s3, -1
.LBB8_1855:
	s_mov_b32 s6, 0
.LBB8_1856:
	s_delay_alu instid0(SALU_CYCLE_1)
	s_and_b32 vcc_lo, exec_lo, s6
	s_cbranch_vccz .LBB8_1896
; %bb.1857:
	v_cmp_lt_i16_e32 vcc_lo, 22, v17
	s_mov_b32 s2, -1
	s_cbranch_vccz .LBB8_1889
; %bb.1858:
	v_cmp_gt_i16_e32 vcc_lo, 24, v17
	s_cbranch_vccnz .LBB8_1878
; %bb.1859:
	v_cmp_lt_i16_e32 vcc_lo, 24, v17
	s_cbranch_vccz .LBB8_1867
; %bb.1860:
	v_cvt_f32_f64_e32 v3, v[4:5]
	v_mov_b32_e32 v7, 0x80
	s_mov_b32 s2, exec_lo
	s_delay_alu instid0(VALU_DEP_2) | instskip(NEXT) | instid1(VALU_DEP_1)
	v_and_b32_e32 v6, 0x7fffffff, v3
	v_cmpx_gt_u32_e32 0x47800000, v6
	s_cbranch_execz .LBB8_1866
; %bb.1861:
	v_cmp_lt_u32_e32 vcc_lo, 0x37ffffff, v6
	s_mov_b32 s3, 0
                                        ; implicit-def: $vgpr6
	s_and_saveexec_b32 s6, vcc_lo
	s_delay_alu instid0(SALU_CYCLE_1)
	s_xor_b32 s6, exec_lo, s6
	s_cbranch_execz .LBB8_2154
; %bb.1862:
	v_bfe_u32 v6, v3, 21, 1
	s_mov_b32 s3, exec_lo
	s_delay_alu instid0(VALU_DEP_1) | instskip(NEXT) | instid1(VALU_DEP_1)
	v_add3_u32 v6, v3, v6, 0x88fffff
	v_lshrrev_b32_e32 v6, 21, v6
	s_or_saveexec_b32 s6, s6
                                        ; implicit-def: $sgpr7
	s_delay_alu instid0(SALU_CYCLE_1)
	s_xor_b32 exec_lo, exec_lo, s6
	s_cbranch_execnz .LBB8_2155
.LBB8_1863:
	s_or_b32 exec_lo, exec_lo, s6
	v_mov_b32_e32 v7, s7
	s_and_saveexec_b32 s6, s3
.LBB8_1864:
	v_lshrrev_b32_e32 v3, 24, v3
	s_delay_alu instid0(VALU_DEP_1)
	v_and_or_b32 v7, 0x80, v3, v6
.LBB8_1865:
	s_or_b32 exec_lo, exec_lo, s6
.LBB8_1866:
	s_delay_alu instid0(SALU_CYCLE_1)
	s_or_b32 exec_lo, exec_lo, s2
	s_mov_b32 s2, 0
	global_store_b8 v[0:1], v7, off
.LBB8_1867:
	s_and_b32 vcc_lo, exec_lo, s2
	s_cbranch_vccz .LBB8_1877
; %bb.1868:
	v_cvt_f32_f64_e32 v3, v[4:5]
	s_mov_b32 s2, exec_lo
                                        ; implicit-def: $vgpr6
	s_delay_alu instid0(VALU_DEP_1) | instskip(NEXT) | instid1(VALU_DEP_1)
	v_and_b32_e32 v7, 0x7fffffff, v3
	v_cmpx_gt_u32_e32 0x43f00000, v7
	s_xor_b32 s2, exec_lo, s2
	s_cbranch_execz .LBB8_1874
; %bb.1869:
	s_mov_b32 s3, exec_lo
                                        ; implicit-def: $vgpr6
	v_cmpx_lt_u32_e32 0x3c7fffff, v7
	s_xor_b32 s3, exec_lo, s3
; %bb.1870:
	v_bfe_u32 v6, v3, 20, 1
	s_delay_alu instid0(VALU_DEP_1) | instskip(NEXT) | instid1(VALU_DEP_1)
	v_add3_u32 v6, v3, v6, 0x407ffff
	v_and_b32_e32 v7, 0xff00000, v6
	v_lshrrev_b32_e32 v6, 20, v6
	s_delay_alu instid0(VALU_DEP_2) | instskip(NEXT) | instid1(VALU_DEP_2)
	v_cmp_ne_u32_e32 vcc_lo, 0x7f00000, v7
	v_cndmask_b32_e32 v6, 0x7e, v6, vcc_lo
; %bb.1871:
	s_and_not1_saveexec_b32 s3, s3
; %bb.1872:
	v_add_f32_e64 v6, 0x46800000, |v3|
; %bb.1873:
	s_or_b32 exec_lo, exec_lo, s3
                                        ; implicit-def: $vgpr7
.LBB8_1874:
	s_and_not1_saveexec_b32 s2, s2
; %bb.1875:
	v_mov_b32_e32 v6, 0x7f
	v_cmp_lt_u32_e32 vcc_lo, 0x7f800000, v7
	s_delay_alu instid0(VALU_DEP_2)
	v_cndmask_b32_e32 v6, 0x7e, v6, vcc_lo
; %bb.1876:
	s_or_b32 exec_lo, exec_lo, s2
	v_lshrrev_b32_e32 v3, 24, v3
	s_delay_alu instid0(VALU_DEP_1)
	v_and_or_b32 v3, 0x80, v3, v6
	global_store_b8 v[0:1], v3, off
.LBB8_1877:
	s_mov_b32 s2, 0
.LBB8_1878:
	s_delay_alu instid0(SALU_CYCLE_1)
	s_and_not1_b32 vcc_lo, exec_lo, s2
	s_cbranch_vccnz .LBB8_1888
; %bb.1879:
	v_cvt_f32_f64_e32 v3, v[4:5]
	s_mov_b32 s2, exec_lo
                                        ; implicit-def: $vgpr6
	s_delay_alu instid0(VALU_DEP_1) | instskip(NEXT) | instid1(VALU_DEP_1)
	v_and_b32_e32 v7, 0x7fffffff, v3
	v_cmpx_gt_u32_e32 0x47800000, v7
	s_xor_b32 s2, exec_lo, s2
	s_cbranch_execz .LBB8_1885
; %bb.1880:
	s_mov_b32 s3, exec_lo
                                        ; implicit-def: $vgpr6
	v_cmpx_lt_u32_e32 0x387fffff, v7
	s_xor_b32 s3, exec_lo, s3
; %bb.1881:
	v_bfe_u32 v6, v3, 21, 1
	s_delay_alu instid0(VALU_DEP_1) | instskip(NEXT) | instid1(VALU_DEP_1)
	v_add3_u32 v6, v3, v6, 0x80fffff
	v_lshrrev_b32_e32 v6, 21, v6
; %bb.1882:
	s_and_not1_saveexec_b32 s3, s3
; %bb.1883:
	v_add_f32_e64 v6, 0x43000000, |v3|
; %bb.1884:
	s_or_b32 exec_lo, exec_lo, s3
                                        ; implicit-def: $vgpr7
.LBB8_1885:
	s_and_not1_saveexec_b32 s2, s2
; %bb.1886:
	v_mov_b32_e32 v6, 0x7f
	v_cmp_lt_u32_e32 vcc_lo, 0x7f800000, v7
	s_delay_alu instid0(VALU_DEP_2)
	v_cndmask_b32_e32 v6, 0x7c, v6, vcc_lo
; %bb.1887:
	s_or_b32 exec_lo, exec_lo, s2
	v_lshrrev_b32_e32 v3, 24, v3
	s_delay_alu instid0(VALU_DEP_1)
	v_and_or_b32 v3, 0x80, v3, v6
	global_store_b8 v[0:1], v3, off
.LBB8_1888:
	s_mov_b32 s2, 0
	s_mov_b32 s3, -1
.LBB8_1889:
	s_and_not1_b32 vcc_lo, exec_lo, s2
	s_mov_b32 s2, 0
	s_cbranch_vccnz .LBB8_1896
; %bb.1890:
	v_cmp_lt_i16_e32 vcc_lo, 14, v17
	s_mov_b32 s2, -1
	s_cbranch_vccz .LBB8_1894
; %bb.1891:
	v_cmp_eq_u16_e32 vcc_lo, 15, v17
	s_mov_b32 s0, -1
	s_cbranch_vccz .LBB8_1893
; %bb.1892:
	v_cvt_f32_f64_e32 v3, v[4:5]
	s_mov_b32 s0, 0
	s_mov_b32 s3, -1
	s_delay_alu instid0(VALU_DEP_1) | instskip(SKIP_1) | instid1(VALU_DEP_2)
	v_bfe_u32 v6, v3, 16, 1
	v_cmp_o_f32_e32 vcc_lo, v3, v3
	v_add3_u32 v6, v3, v6, 0x7fff
	s_delay_alu instid0(VALU_DEP_1) | instskip(NEXT) | instid1(VALU_DEP_1)
	v_lshrrev_b32_e32 v6, 16, v6
	v_cndmask_b32_e32 v3, 0x7fc0, v6, vcc_lo
	global_store_b16 v[0:1], v3, off
.LBB8_1893:
	s_mov_b32 s2, 0
.LBB8_1894:
	s_delay_alu instid0(SALU_CYCLE_1)
	s_and_b32 vcc_lo, exec_lo, s2
	s_mov_b32 s2, 0
	s_cbranch_vccz .LBB8_1896
; %bb.1895:
	v_cmp_ne_u16_e64 s0, 11, v17
	s_mov_b32 s2, -1
.LBB8_1896:
	s_delay_alu instid0(VALU_DEP_1)
	s_and_b32 vcc_lo, exec_lo, s0
	s_cbranch_vccnz .LBB8_2152
; %bb.1897:
	s_and_not1_b32 vcc_lo, exec_lo, s2
	s_cbranch_vccnz .LBB8_1899
.LBB8_1898:
	v_cmp_neq_f64_e32 vcc_lo, 0, v[4:5]
	s_mov_b32 s3, -1
	v_cndmask_b32_e64 v3, 0, 1, vcc_lo
	global_store_b8 v[0:1], v3, off
.LBB8_1899:
	s_mov_b32 s0, 0
	s_branch .LBB8_1901
.LBB8_1900:
	s_mov_b32 s0, -1
	s_mov_b32 s3, 0
.LBB8_1901:
	s_and_b32 vcc_lo, exec_lo, s0
	s_cbranch_vccz .LBB8_1940
; %bb.1902:
	v_cmp_gt_i16_e32 vcc_lo, 5, v17
	s_mov_b32 s0, -1
	s_cbranch_vccnz .LBB8_1923
; %bb.1903:
	v_cmp_gt_i16_e32 vcc_lo, 8, v17
	s_cbranch_vccnz .LBB8_1913
; %bb.1904:
	v_cmp_gt_i16_e32 vcc_lo, 9, v17
	s_cbranch_vccnz .LBB8_1910
; %bb.1905:
	v_cmp_lt_i16_e32 vcc_lo, 9, v17
	s_cbranch_vccz .LBB8_1907
; %bb.1906:
	v_mov_b32_e32 v6, 0
	s_mov_b32 s0, 0
	s_delay_alu instid0(VALU_DEP_1)
	v_mov_b32_e32 v7, v6
	global_store_b128 v[0:1], v[4:7], off
.LBB8_1907:
	s_and_not1_b32 vcc_lo, exec_lo, s0
	s_cbranch_vccnz .LBB8_1909
; %bb.1908:
	v_cvt_f32_f64_e32 v6, v[4:5]
	v_mov_b32_e32 v7, 0
	global_store_b64 v[0:1], v[6:7], off
.LBB8_1909:
	s_mov_b32 s0, 0
.LBB8_1910:
	s_delay_alu instid0(SALU_CYCLE_1)
	s_and_not1_b32 vcc_lo, exec_lo, s0
	s_cbranch_vccnz .LBB8_1912
; %bb.1911:
	v_cvt_f32_f64_e32 v3, v[4:5]
	s_delay_alu instid0(VALU_DEP_1) | instskip(NEXT) | instid1(VALU_DEP_1)
	v_cvt_f16_f32_e32 v3, v3
	v_and_b32_e32 v3, 0xffff, v3
	global_store_b32 v[0:1], v3, off
.LBB8_1912:
	s_mov_b32 s0, 0
.LBB8_1913:
	s_delay_alu instid0(SALU_CYCLE_1)
	s_and_not1_b32 vcc_lo, exec_lo, s0
	s_cbranch_vccnz .LBB8_1922
; %bb.1914:
	v_cmp_gt_i16_e32 vcc_lo, 6, v17
	s_mov_b32 s0, -1
	s_cbranch_vccnz .LBB8_1920
; %bb.1915:
	v_cmp_lt_i16_e32 vcc_lo, 6, v17
	s_cbranch_vccz .LBB8_1917
; %bb.1916:
	s_mov_b32 s0, 0
	global_store_b64 v[0:1], v[4:5], off
.LBB8_1917:
	s_and_not1_b32 vcc_lo, exec_lo, s0
	s_cbranch_vccnz .LBB8_1919
; %bb.1918:
	v_cvt_f32_f64_e32 v3, v[4:5]
	global_store_b32 v[0:1], v3, off
.LBB8_1919:
	s_mov_b32 s0, 0
.LBB8_1920:
	s_delay_alu instid0(SALU_CYCLE_1)
	s_and_not1_b32 vcc_lo, exec_lo, s0
	s_cbranch_vccnz .LBB8_1922
; %bb.1921:
	v_cvt_f32_f64_e32 v3, v[4:5]
	s_delay_alu instid0(VALU_DEP_1)
	v_cvt_f16_f32_e32 v3, v3
	global_store_b16 v[0:1], v3, off
.LBB8_1922:
	s_mov_b32 s0, 0
.LBB8_1923:
	s_delay_alu instid0(SALU_CYCLE_1)
	s_and_not1_b32 vcc_lo, exec_lo, s0
	s_cbranch_vccnz .LBB8_1939
; %bb.1924:
	v_cmp_gt_i16_e32 vcc_lo, 2, v17
	s_mov_b32 s0, -1
	s_cbranch_vccnz .LBB8_1934
; %bb.1925:
	v_cmp_gt_i16_e32 vcc_lo, 3, v17
	s_cbranch_vccnz .LBB8_1931
; %bb.1926:
	v_cmp_lt_i16_e32 vcc_lo, 3, v17
	s_cbranch_vccz .LBB8_1928
; %bb.1927:
	v_trunc_f64_e32 v[6:7], v[4:5]
	s_mov_b32 s0, 0
	s_delay_alu instid0(VALU_DEP_1) | instskip(NEXT) | instid1(VALU_DEP_1)
	v_ldexp_f64 v[10:11], v[6:7], 0xffffffe0
	v_floor_f64_e32 v[10:11], v[10:11]
	s_delay_alu instid0(VALU_DEP_1) | instskip(SKIP_1) | instid1(VALU_DEP_2)
	v_fma_f64 v[6:7], 0xc1f00000, v[10:11], v[6:7]
	v_cvt_i32_f64_e32 v11, v[10:11]
	v_cvt_u32_f64_e32 v10, v[6:7]
	global_store_b64 v[0:1], v[10:11], off
.LBB8_1928:
	s_and_not1_b32 vcc_lo, exec_lo, s0
	s_cbranch_vccnz .LBB8_1930
; %bb.1929:
	v_cvt_i32_f64_e32 v3, v[4:5]
	global_store_b32 v[0:1], v3, off
.LBB8_1930:
	s_mov_b32 s0, 0
.LBB8_1931:
	s_delay_alu instid0(SALU_CYCLE_1)
	s_and_not1_b32 vcc_lo, exec_lo, s0
	s_cbranch_vccnz .LBB8_1933
; %bb.1932:
	v_cvt_i32_f64_e32 v3, v[4:5]
	global_store_b16 v[0:1], v3, off
.LBB8_1933:
	s_mov_b32 s0, 0
.LBB8_1934:
	s_delay_alu instid0(SALU_CYCLE_1)
	s_and_not1_b32 vcc_lo, exec_lo, s0
	s_cbranch_vccnz .LBB8_1939
; %bb.1935:
	v_cmp_lt_i16_e32 vcc_lo, 0, v17
	s_mov_b32 s0, -1
	s_cbranch_vccz .LBB8_1937
; %bb.1936:
	v_cvt_i32_f64_e32 v3, v[4:5]
	s_mov_b32 s0, 0
	global_store_b8 v[0:1], v3, off
.LBB8_1937:
	s_and_not1_b32 vcc_lo, exec_lo, s0
	s_cbranch_vccnz .LBB8_1939
; %bb.1938:
	v_trunc_f64_e32 v[3:4], v[4:5]
	s_delay_alu instid0(VALU_DEP_1) | instskip(NEXT) | instid1(VALU_DEP_1)
	v_ldexp_f64 v[5:6], v[3:4], 0xffffffe0
	v_floor_f64_e32 v[5:6], v[5:6]
	s_delay_alu instid0(VALU_DEP_1) | instskip(NEXT) | instid1(VALU_DEP_1)
	v_fma_f64 v[3:4], 0xc1f00000, v[5:6], v[3:4]
	v_cvt_u32_f64_e32 v3, v[3:4]
	global_store_b8 v[0:1], v3, off
.LBB8_1939:
	s_mov_b32 s3, -1
.LBB8_1940:
	s_delay_alu instid0(SALU_CYCLE_1)
	s_and_not1_b32 vcc_lo, exec_lo, s3
	s_cbranch_vccnz .LBB8_2136
; %bb.1941:
	v_add_nc_u32_e32 v2, s1, v2
	v_cmp_gt_i16_e32 vcc_lo, 11, v17
	s_delay_alu instid0(VALU_DEP_2) | instskip(SKIP_1) | instid1(VALU_DEP_1)
	v_ashrrev_i32_e32 v1, 31, v2
	v_add_co_u32 v0, s0, s4, v2
	v_add_co_ci_u32_e64 v1, s0, s5, v1, s0
	s_cbranch_vccnz .LBB8_2019
; %bb.1942:
	v_cmp_lt_i16_e32 vcc_lo, 25, v17
	s_mov_b32 s6, -1
	s_mov_b32 s2, 0
	s_mov_b32 s3, 0
	;; [unrolled: 1-line block ×3, first 2 shown]
	s_cbranch_vccz .LBB8_1975
; %bb.1943:
	v_cmp_lt_i16_e32 vcc_lo, 28, v17
	s_cbranch_vccz .LBB8_1958
; %bb.1944:
	v_cmp_lt_i16_e32 vcc_lo, 43, v17
	;; [unrolled: 3-line block ×3, first 2 shown]
	s_cbranch_vccz .LBB8_1948
; %bb.1946:
	v_cmp_eq_u16_e32 vcc_lo, 46, v17
	s_mov_b32 s0, -1
	s_mov_b32 s6, 0
	s_cbranch_vccz .LBB8_1948
; %bb.1947:
	v_cvt_f32_f64_e32 v3, v[8:9]
	s_mov_b32 s0, 0
	s_mov_b32 s3, -1
	s_delay_alu instid0(VALU_DEP_1) | instskip(SKIP_1) | instid1(VALU_DEP_2)
	v_bfe_u32 v4, v3, 16, 1
	v_cmp_o_f32_e32 vcc_lo, v3, v3
	v_add3_u32 v4, v3, v4, 0x7fff
	s_delay_alu instid0(VALU_DEP_1) | instskip(NEXT) | instid1(VALU_DEP_1)
	v_lshrrev_b32_e32 v4, 16, v4
	v_cndmask_b32_e32 v3, 0x7fc0, v4, vcc_lo
	global_store_b32 v[0:1], v3, off
.LBB8_1948:
	s_and_b32 vcc_lo, exec_lo, s6
	s_cbranch_vccz .LBB8_1953
; %bb.1949:
	v_cmp_eq_u16_e32 vcc_lo, 44, v17
	s_mov_b32 s0, -1
	s_cbranch_vccz .LBB8_1953
; %bb.1950:
	v_cvt_f32_f64_e32 v3, v[8:9]
	v_mov_b32_e32 v4, 0xff
	s_mov_b32 s3, exec_lo
	s_delay_alu instid0(VALU_DEP_2) | instskip(NEXT) | instid1(VALU_DEP_1)
	v_bfe_u32 v5, v3, 23, 8
	v_cmpx_ne_u32_e32 0xff, v5
; %bb.1951:
	v_and_b32_e32 v4, 0x400000, v3
	v_and_or_b32 v5, 0x3fffff, v3, v5
	v_lshrrev_b32_e32 v3, 23, v3
	s_delay_alu instid0(VALU_DEP_3) | instskip(NEXT) | instid1(VALU_DEP_3)
	v_cmp_ne_u32_e32 vcc_lo, 0, v4
	v_cmp_ne_u32_e64 s0, 0, v5
	s_delay_alu instid0(VALU_DEP_1) | instskip(NEXT) | instid1(SALU_CYCLE_1)
	s_and_b32 s0, vcc_lo, s0
	v_cndmask_b32_e64 v4, 0, 1, s0
	s_delay_alu instid0(VALU_DEP_1)
	v_add_nc_u32_e32 v4, v3, v4
; %bb.1952:
	s_or_b32 exec_lo, exec_lo, s3
	s_mov_b32 s0, 0
	s_mov_b32 s3, -1
	global_store_b8 v[0:1], v4, off
.LBB8_1953:
	s_mov_b32 s6, 0
.LBB8_1954:
	s_delay_alu instid0(SALU_CYCLE_1)
	s_and_b32 vcc_lo, exec_lo, s6
	s_cbranch_vccz .LBB8_1957
; %bb.1955:
	v_cmp_eq_u16_e32 vcc_lo, 29, v17
	s_mov_b32 s0, -1
	s_cbranch_vccz .LBB8_1957
; %bb.1956:
	v_trunc_f64_e32 v[3:4], v[8:9]
	s_mov_b32 s0, 0
	s_mov_b32 s3, -1
	s_delay_alu instid0(VALU_DEP_1) | instskip(NEXT) | instid1(VALU_DEP_1)
	v_ldexp_f64 v[5:6], v[3:4], 0xffffffe0
	v_floor_f64_e32 v[5:6], v[5:6]
	s_delay_alu instid0(VALU_DEP_1) | instskip(SKIP_1) | instid1(VALU_DEP_2)
	v_fma_f64 v[3:4], 0xc1f00000, v[5:6], v[3:4]
	v_cvt_u32_f64_e32 v5, v[5:6]
	v_cvt_u32_f64_e32 v4, v[3:4]
	global_store_b64 v[0:1], v[4:5], off
.LBB8_1957:
	s_mov_b32 s6, 0
.LBB8_1958:
	s_delay_alu instid0(SALU_CYCLE_1)
	s_and_b32 vcc_lo, exec_lo, s6
	s_cbranch_vccz .LBB8_1974
; %bb.1959:
	v_cmp_gt_i16_e32 vcc_lo, 27, v17
	s_mov_b32 s3, -1
	s_cbranch_vccnz .LBB8_1965
; %bb.1960:
	v_cvt_u32_f64_e32 v3, v[8:9]
	v_cmp_lt_i16_e32 vcc_lo, 27, v17
	s_cbranch_vccz .LBB8_1962
; %bb.1961:
	s_mov_b32 s3, 0
	global_store_b32 v[0:1], v3, off
.LBB8_1962:
	s_and_not1_b32 vcc_lo, exec_lo, s3
	s_cbranch_vccnz .LBB8_1964
; %bb.1963:
	global_store_b16 v[0:1], v3, off
.LBB8_1964:
	s_mov_b32 s3, 0
.LBB8_1965:
	s_delay_alu instid0(SALU_CYCLE_1)
	s_and_not1_b32 vcc_lo, exec_lo, s3
	s_cbranch_vccnz .LBB8_1973
; %bb.1966:
	v_cvt_f32_f64_e32 v3, v[8:9]
	v_mov_b32_e32 v5, 0x80
	s_mov_b32 s3, exec_lo
	s_delay_alu instid0(VALU_DEP_2) | instskip(NEXT) | instid1(VALU_DEP_1)
	v_and_b32_e32 v4, 0x7fffffff, v3
	v_cmpx_gt_u32_e32 0x43800000, v4
	s_cbranch_execz .LBB8_1972
; %bb.1967:
	v_cmp_lt_u32_e32 vcc_lo, 0x3bffffff, v4
	s_mov_b32 s6, 0
                                        ; implicit-def: $vgpr4
	s_and_saveexec_b32 s7, vcc_lo
	s_delay_alu instid0(SALU_CYCLE_1)
	s_xor_b32 s7, exec_lo, s7
	s_cbranch_execz .LBB8_2156
; %bb.1968:
	v_bfe_u32 v4, v3, 20, 1
	s_mov_b32 s6, exec_lo
	s_delay_alu instid0(VALU_DEP_1) | instskip(NEXT) | instid1(VALU_DEP_1)
	v_add3_u32 v4, v3, v4, 0x487ffff
	v_lshrrev_b32_e32 v4, 20, v4
	s_or_saveexec_b32 s7, s7
                                        ; implicit-def: $sgpr11
	s_delay_alu instid0(SALU_CYCLE_1)
	s_xor_b32 exec_lo, exec_lo, s7
	s_cbranch_execnz .LBB8_2157
.LBB8_1969:
	s_or_b32 exec_lo, exec_lo, s7
	v_mov_b32_e32 v5, s11
	s_and_saveexec_b32 s7, s6
.LBB8_1970:
	v_lshrrev_b32_e32 v3, 24, v3
	s_delay_alu instid0(VALU_DEP_1)
	v_and_or_b32 v5, 0x80, v3, v4
.LBB8_1971:
	s_or_b32 exec_lo, exec_lo, s7
.LBB8_1972:
	s_delay_alu instid0(SALU_CYCLE_1)
	s_or_b32 exec_lo, exec_lo, s3
	global_store_b8 v[0:1], v5, off
.LBB8_1973:
	s_mov_b32 s3, -1
.LBB8_1974:
	s_mov_b32 s6, 0
.LBB8_1975:
	s_delay_alu instid0(SALU_CYCLE_1)
	s_and_b32 vcc_lo, exec_lo, s6
	s_cbranch_vccz .LBB8_2015
; %bb.1976:
	v_cmp_lt_i16_e32 vcc_lo, 22, v17
	s_mov_b32 s2, -1
	s_cbranch_vccz .LBB8_2008
; %bb.1977:
	v_cmp_gt_i16_e32 vcc_lo, 24, v17
	s_cbranch_vccnz .LBB8_1997
; %bb.1978:
	v_cmp_lt_i16_e32 vcc_lo, 24, v17
	s_cbranch_vccz .LBB8_1986
; %bb.1979:
	v_cvt_f32_f64_e32 v3, v[8:9]
	v_mov_b32_e32 v5, 0x80
	s_mov_b32 s2, exec_lo
	s_delay_alu instid0(VALU_DEP_2) | instskip(NEXT) | instid1(VALU_DEP_1)
	v_and_b32_e32 v4, 0x7fffffff, v3
	v_cmpx_gt_u32_e32 0x47800000, v4
	s_cbranch_execz .LBB8_1985
; %bb.1980:
	v_cmp_lt_u32_e32 vcc_lo, 0x37ffffff, v4
	s_mov_b32 s3, 0
                                        ; implicit-def: $vgpr4
	s_and_saveexec_b32 s6, vcc_lo
	s_delay_alu instid0(SALU_CYCLE_1)
	s_xor_b32 s6, exec_lo, s6
	s_cbranch_execz .LBB8_2162
; %bb.1981:
	v_bfe_u32 v4, v3, 21, 1
	s_mov_b32 s3, exec_lo
	s_delay_alu instid0(VALU_DEP_1) | instskip(NEXT) | instid1(VALU_DEP_1)
	v_add3_u32 v4, v3, v4, 0x88fffff
	v_lshrrev_b32_e32 v4, 21, v4
	s_or_saveexec_b32 s6, s6
                                        ; implicit-def: $sgpr7
	s_delay_alu instid0(SALU_CYCLE_1)
	s_xor_b32 exec_lo, exec_lo, s6
	s_cbranch_execnz .LBB8_2163
.LBB8_1982:
	s_or_b32 exec_lo, exec_lo, s6
	v_mov_b32_e32 v5, s7
	s_and_saveexec_b32 s6, s3
.LBB8_1983:
	v_lshrrev_b32_e32 v3, 24, v3
	s_delay_alu instid0(VALU_DEP_1)
	v_and_or_b32 v5, 0x80, v3, v4
.LBB8_1984:
	s_or_b32 exec_lo, exec_lo, s6
.LBB8_1985:
	s_delay_alu instid0(SALU_CYCLE_1)
	s_or_b32 exec_lo, exec_lo, s2
	s_mov_b32 s2, 0
	global_store_b8 v[0:1], v5, off
.LBB8_1986:
	s_and_b32 vcc_lo, exec_lo, s2
	s_cbranch_vccz .LBB8_1996
; %bb.1987:
	v_cvt_f32_f64_e32 v3, v[8:9]
	s_mov_b32 s2, exec_lo
                                        ; implicit-def: $vgpr4
	s_delay_alu instid0(VALU_DEP_1) | instskip(NEXT) | instid1(VALU_DEP_1)
	v_and_b32_e32 v5, 0x7fffffff, v3
	v_cmpx_gt_u32_e32 0x43f00000, v5
	s_xor_b32 s2, exec_lo, s2
	s_cbranch_execz .LBB8_1993
; %bb.1988:
	s_mov_b32 s3, exec_lo
                                        ; implicit-def: $vgpr4
	v_cmpx_lt_u32_e32 0x3c7fffff, v5
	s_xor_b32 s3, exec_lo, s3
; %bb.1989:
	v_bfe_u32 v4, v3, 20, 1
	s_delay_alu instid0(VALU_DEP_1) | instskip(NEXT) | instid1(VALU_DEP_1)
	v_add3_u32 v4, v3, v4, 0x407ffff
	v_and_b32_e32 v5, 0xff00000, v4
	v_lshrrev_b32_e32 v4, 20, v4
	s_delay_alu instid0(VALU_DEP_2) | instskip(NEXT) | instid1(VALU_DEP_2)
	v_cmp_ne_u32_e32 vcc_lo, 0x7f00000, v5
	v_cndmask_b32_e32 v4, 0x7e, v4, vcc_lo
; %bb.1990:
	s_and_not1_saveexec_b32 s3, s3
; %bb.1991:
	v_add_f32_e64 v4, 0x46800000, |v3|
; %bb.1992:
	s_or_b32 exec_lo, exec_lo, s3
                                        ; implicit-def: $vgpr5
.LBB8_1993:
	s_and_not1_saveexec_b32 s2, s2
; %bb.1994:
	v_mov_b32_e32 v4, 0x7f
	v_cmp_lt_u32_e32 vcc_lo, 0x7f800000, v5
	s_delay_alu instid0(VALU_DEP_2)
	v_cndmask_b32_e32 v4, 0x7e, v4, vcc_lo
; %bb.1995:
	s_or_b32 exec_lo, exec_lo, s2
	v_lshrrev_b32_e32 v3, 24, v3
	s_delay_alu instid0(VALU_DEP_1)
	v_and_or_b32 v3, 0x80, v3, v4
	global_store_b8 v[0:1], v3, off
.LBB8_1996:
	s_mov_b32 s2, 0
.LBB8_1997:
	s_delay_alu instid0(SALU_CYCLE_1)
	s_and_not1_b32 vcc_lo, exec_lo, s2
	s_cbranch_vccnz .LBB8_2007
; %bb.1998:
	v_cvt_f32_f64_e32 v3, v[8:9]
	s_mov_b32 s2, exec_lo
                                        ; implicit-def: $vgpr4
	s_delay_alu instid0(VALU_DEP_1) | instskip(NEXT) | instid1(VALU_DEP_1)
	v_and_b32_e32 v5, 0x7fffffff, v3
	v_cmpx_gt_u32_e32 0x47800000, v5
	s_xor_b32 s2, exec_lo, s2
	s_cbranch_execz .LBB8_2004
; %bb.1999:
	s_mov_b32 s3, exec_lo
                                        ; implicit-def: $vgpr4
	v_cmpx_lt_u32_e32 0x387fffff, v5
	s_xor_b32 s3, exec_lo, s3
; %bb.2000:
	v_bfe_u32 v4, v3, 21, 1
	s_delay_alu instid0(VALU_DEP_1) | instskip(NEXT) | instid1(VALU_DEP_1)
	v_add3_u32 v4, v3, v4, 0x80fffff
	v_lshrrev_b32_e32 v4, 21, v4
; %bb.2001:
	s_and_not1_saveexec_b32 s3, s3
; %bb.2002:
	v_add_f32_e64 v4, 0x43000000, |v3|
; %bb.2003:
	s_or_b32 exec_lo, exec_lo, s3
                                        ; implicit-def: $vgpr5
.LBB8_2004:
	s_and_not1_saveexec_b32 s2, s2
; %bb.2005:
	v_mov_b32_e32 v4, 0x7f
	v_cmp_lt_u32_e32 vcc_lo, 0x7f800000, v5
	s_delay_alu instid0(VALU_DEP_2)
	v_cndmask_b32_e32 v4, 0x7c, v4, vcc_lo
; %bb.2006:
	s_or_b32 exec_lo, exec_lo, s2
	v_lshrrev_b32_e32 v3, 24, v3
	s_delay_alu instid0(VALU_DEP_1)
	v_and_or_b32 v3, 0x80, v3, v4
	global_store_b8 v[0:1], v3, off
.LBB8_2007:
	s_mov_b32 s2, 0
	s_mov_b32 s3, -1
.LBB8_2008:
	s_and_not1_b32 vcc_lo, exec_lo, s2
	s_mov_b32 s2, 0
	s_cbranch_vccnz .LBB8_2015
; %bb.2009:
	v_cmp_lt_i16_e32 vcc_lo, 14, v17
	s_mov_b32 s2, -1
	s_cbranch_vccz .LBB8_2013
; %bb.2010:
	v_cmp_eq_u16_e32 vcc_lo, 15, v17
	s_mov_b32 s0, -1
	s_cbranch_vccz .LBB8_2012
; %bb.2011:
	v_cvt_f32_f64_e32 v3, v[8:9]
	s_mov_b32 s0, 0
	s_mov_b32 s3, -1
	s_delay_alu instid0(VALU_DEP_1) | instskip(SKIP_1) | instid1(VALU_DEP_2)
	v_bfe_u32 v4, v3, 16, 1
	v_cmp_o_f32_e32 vcc_lo, v3, v3
	v_add3_u32 v4, v3, v4, 0x7fff
	s_delay_alu instid0(VALU_DEP_1) | instskip(NEXT) | instid1(VALU_DEP_1)
	v_lshrrev_b32_e32 v4, 16, v4
	v_cndmask_b32_e32 v3, 0x7fc0, v4, vcc_lo
	global_store_b16 v[0:1], v3, off
.LBB8_2012:
	s_mov_b32 s2, 0
.LBB8_2013:
	s_delay_alu instid0(SALU_CYCLE_1)
	s_and_b32 vcc_lo, exec_lo, s2
	s_mov_b32 s2, 0
	s_cbranch_vccz .LBB8_2015
; %bb.2014:
	v_cmp_ne_u16_e64 s0, 11, v17
	s_mov_b32 s2, -1
.LBB8_2015:
	s_delay_alu instid0(VALU_DEP_1)
	s_and_b32 vcc_lo, exec_lo, s0
	s_cbranch_vccnz .LBB8_2160
; %bb.2016:
	s_and_not1_b32 vcc_lo, exec_lo, s2
	s_cbranch_vccnz .LBB8_2018
.LBB8_2017:
	v_cmp_neq_f64_e32 vcc_lo, 0, v[8:9]
	s_mov_b32 s3, -1
	v_cndmask_b32_e64 v3, 0, 1, vcc_lo
	global_store_b8 v[0:1], v3, off
.LBB8_2018:
	s_mov_b32 s0, 0
	s_branch .LBB8_2020
.LBB8_2019:
	s_mov_b32 s0, -1
	s_mov_b32 s3, 0
.LBB8_2020:
	s_and_b32 vcc_lo, exec_lo, s0
	s_cbranch_vccz .LBB8_2059
; %bb.2021:
	v_cmp_gt_i16_e32 vcc_lo, 5, v17
	s_mov_b32 s0, -1
	s_cbranch_vccnz .LBB8_2042
; %bb.2022:
	v_cmp_gt_i16_e32 vcc_lo, 8, v17
	s_cbranch_vccnz .LBB8_2032
; %bb.2023:
	v_cmp_gt_i16_e32 vcc_lo, 9, v17
	s_cbranch_vccnz .LBB8_2029
; %bb.2024:
	v_cmp_lt_i16_e32 vcc_lo, 9, v17
	s_cbranch_vccz .LBB8_2026
; %bb.2025:
	v_mov_b32_e32 v10, 0
	s_mov_b32 s0, 0
	s_delay_alu instid0(VALU_DEP_1)
	v_mov_b32_e32 v11, v10
	global_store_b128 v[0:1], v[8:11], off
.LBB8_2026:
	s_and_not1_b32 vcc_lo, exec_lo, s0
	s_cbranch_vccnz .LBB8_2028
; %bb.2027:
	v_cvt_f32_f64_e32 v3, v[8:9]
	v_mov_b32_e32 v4, 0
	global_store_b64 v[0:1], v[3:4], off
.LBB8_2028:
	s_mov_b32 s0, 0
.LBB8_2029:
	s_delay_alu instid0(SALU_CYCLE_1)
	s_and_not1_b32 vcc_lo, exec_lo, s0
	s_cbranch_vccnz .LBB8_2031
; %bb.2030:
	v_cvt_f32_f64_e32 v3, v[8:9]
	s_delay_alu instid0(VALU_DEP_1) | instskip(NEXT) | instid1(VALU_DEP_1)
	v_cvt_f16_f32_e32 v3, v3
	v_and_b32_e32 v3, 0xffff, v3
	global_store_b32 v[0:1], v3, off
.LBB8_2031:
	s_mov_b32 s0, 0
.LBB8_2032:
	s_delay_alu instid0(SALU_CYCLE_1)
	s_and_not1_b32 vcc_lo, exec_lo, s0
	s_cbranch_vccnz .LBB8_2041
; %bb.2033:
	v_cmp_gt_i16_e32 vcc_lo, 6, v17
	s_mov_b32 s0, -1
	s_cbranch_vccnz .LBB8_2039
; %bb.2034:
	v_cmp_lt_i16_e32 vcc_lo, 6, v17
	s_cbranch_vccz .LBB8_2036
; %bb.2035:
	s_mov_b32 s0, 0
	global_store_b64 v[0:1], v[8:9], off
.LBB8_2036:
	s_and_not1_b32 vcc_lo, exec_lo, s0
	s_cbranch_vccnz .LBB8_2038
; %bb.2037:
	v_cvt_f32_f64_e32 v3, v[8:9]
	global_store_b32 v[0:1], v3, off
.LBB8_2038:
	s_mov_b32 s0, 0
.LBB8_2039:
	s_delay_alu instid0(SALU_CYCLE_1)
	s_and_not1_b32 vcc_lo, exec_lo, s0
	s_cbranch_vccnz .LBB8_2041
; %bb.2040:
	v_cvt_f32_f64_e32 v3, v[8:9]
	s_delay_alu instid0(VALU_DEP_1)
	v_cvt_f16_f32_e32 v3, v3
	global_store_b16 v[0:1], v3, off
.LBB8_2041:
	s_mov_b32 s0, 0
.LBB8_2042:
	s_delay_alu instid0(SALU_CYCLE_1)
	s_and_not1_b32 vcc_lo, exec_lo, s0
	s_cbranch_vccnz .LBB8_2058
; %bb.2043:
	v_cmp_gt_i16_e32 vcc_lo, 2, v17
	s_mov_b32 s0, -1
	s_cbranch_vccnz .LBB8_2053
; %bb.2044:
	v_cmp_gt_i16_e32 vcc_lo, 3, v17
	s_cbranch_vccnz .LBB8_2050
; %bb.2045:
	v_cmp_lt_i16_e32 vcc_lo, 3, v17
	s_cbranch_vccz .LBB8_2047
; %bb.2046:
	v_trunc_f64_e32 v[3:4], v[8:9]
	s_mov_b32 s0, 0
	s_delay_alu instid0(VALU_DEP_1) | instskip(NEXT) | instid1(VALU_DEP_1)
	v_ldexp_f64 v[5:6], v[3:4], 0xffffffe0
	v_floor_f64_e32 v[5:6], v[5:6]
	s_delay_alu instid0(VALU_DEP_1) | instskip(SKIP_1) | instid1(VALU_DEP_2)
	v_fma_f64 v[3:4], 0xc1f00000, v[5:6], v[3:4]
	v_cvt_i32_f64_e32 v5, v[5:6]
	v_cvt_u32_f64_e32 v4, v[3:4]
	global_store_b64 v[0:1], v[4:5], off
.LBB8_2047:
	s_and_not1_b32 vcc_lo, exec_lo, s0
	s_cbranch_vccnz .LBB8_2049
; %bb.2048:
	v_cvt_i32_f64_e32 v3, v[8:9]
	global_store_b32 v[0:1], v3, off
.LBB8_2049:
	s_mov_b32 s0, 0
.LBB8_2050:
	s_delay_alu instid0(SALU_CYCLE_1)
	s_and_not1_b32 vcc_lo, exec_lo, s0
	s_cbranch_vccnz .LBB8_2052
; %bb.2051:
	v_cvt_i32_f64_e32 v3, v[8:9]
	global_store_b16 v[0:1], v3, off
.LBB8_2052:
	s_mov_b32 s0, 0
.LBB8_2053:
	s_delay_alu instid0(SALU_CYCLE_1)
	s_and_not1_b32 vcc_lo, exec_lo, s0
	s_cbranch_vccnz .LBB8_2058
; %bb.2054:
	v_cmp_lt_i16_e32 vcc_lo, 0, v17
	s_mov_b32 s0, -1
	s_cbranch_vccz .LBB8_2056
; %bb.2055:
	v_cvt_i32_f64_e32 v3, v[8:9]
	s_mov_b32 s0, 0
	global_store_b8 v[0:1], v3, off
.LBB8_2056:
	s_and_not1_b32 vcc_lo, exec_lo, s0
	s_cbranch_vccnz .LBB8_2058
; %bb.2057:
	v_trunc_f64_e32 v[3:4], v[8:9]
	s_delay_alu instid0(VALU_DEP_1) | instskip(NEXT) | instid1(VALU_DEP_1)
	v_ldexp_f64 v[5:6], v[3:4], 0xffffffe0
	v_floor_f64_e32 v[5:6], v[5:6]
	s_delay_alu instid0(VALU_DEP_1) | instskip(NEXT) | instid1(VALU_DEP_1)
	v_fma_f64 v[3:4], 0xc1f00000, v[5:6], v[3:4]
	v_cvt_u32_f64_e32 v3, v[3:4]
	global_store_b8 v[0:1], v3, off
.LBB8_2058:
	s_mov_b32 s3, -1
.LBB8_2059:
	s_delay_alu instid0(SALU_CYCLE_1)
	s_and_not1_b32 vcc_lo, exec_lo, s3
	s_cbranch_vccnz .LBB8_2136
; %bb.2060:
	v_add_nc_u32_e32 v0, s1, v2
	v_cmp_gt_i16_e32 vcc_lo, 11, v17
	s_delay_alu instid0(VALU_DEP_2) | instskip(SKIP_1) | instid1(VALU_DEP_1)
	v_ashrrev_i32_e32 v1, 31, v0
	v_add_co_u32 v0, s0, s4, v0
	v_add_co_ci_u32_e64 v1, s0, s5, v1, s0
	s_cbranch_vccnz .LBB8_2137
; %bb.2061:
	v_cmp_lt_i16_e32 vcc_lo, 25, v17
	s_mov_b32 s2, -1
	s_mov_b32 s1, 0
	s_mov_b32 s0, 0
	s_cbranch_vccz .LBB8_2094
; %bb.2062:
	v_cmp_lt_i16_e32 vcc_lo, 28, v17
	s_cbranch_vccz .LBB8_2078
; %bb.2063:
	v_cmp_lt_i16_e32 vcc_lo, 43, v17
	;; [unrolled: 3-line block ×3, first 2 shown]
	s_cbranch_vccz .LBB8_2068
; %bb.2065:
	v_cmp_eq_u16_e32 vcc_lo, 46, v17
	s_mov_b32 s0, -1
	s_cbranch_vccz .LBB8_2067
; %bb.2066:
	v_cvt_f32_f64_e32 v2, v[12:13]
	s_mov_b32 s0, 0
	s_delay_alu instid0(VALU_DEP_1) | instskip(SKIP_1) | instid1(VALU_DEP_2)
	v_bfe_u32 v3, v2, 16, 1
	v_cmp_o_f32_e32 vcc_lo, v2, v2
	v_add3_u32 v3, v2, v3, 0x7fff
	s_delay_alu instid0(VALU_DEP_1) | instskip(NEXT) | instid1(VALU_DEP_1)
	v_lshrrev_b32_e32 v3, 16, v3
	v_cndmask_b32_e32 v2, 0x7fc0, v3, vcc_lo
	global_store_b32 v[0:1], v2, off
.LBB8_2067:
	s_mov_b32 s2, 0
.LBB8_2068:
	s_delay_alu instid0(SALU_CYCLE_1)
	s_and_b32 vcc_lo, exec_lo, s2
	s_cbranch_vccz .LBB8_2073
; %bb.2069:
	v_cmp_eq_u16_e32 vcc_lo, 44, v17
	s_mov_b32 s0, -1
	s_cbranch_vccz .LBB8_2073
; %bb.2070:
	v_cvt_f32_f64_e32 v2, v[12:13]
	v_mov_b32_e32 v3, 0xff
	s_mov_b32 s2, exec_lo
	s_delay_alu instid0(VALU_DEP_2) | instskip(NEXT) | instid1(VALU_DEP_1)
	v_bfe_u32 v4, v2, 23, 8
	v_cmpx_ne_u32_e32 0xff, v4
; %bb.2071:
	v_and_b32_e32 v3, 0x400000, v2
	v_and_or_b32 v4, 0x3fffff, v2, v4
	v_lshrrev_b32_e32 v2, 23, v2
	s_delay_alu instid0(VALU_DEP_3) | instskip(NEXT) | instid1(VALU_DEP_3)
	v_cmp_ne_u32_e32 vcc_lo, 0, v3
	v_cmp_ne_u32_e64 s0, 0, v4
	s_delay_alu instid0(VALU_DEP_1) | instskip(NEXT) | instid1(SALU_CYCLE_1)
	s_and_b32 s0, vcc_lo, s0
	v_cndmask_b32_e64 v3, 0, 1, s0
	s_delay_alu instid0(VALU_DEP_1)
	v_add_nc_u32_e32 v3, v2, v3
; %bb.2072:
	s_or_b32 exec_lo, exec_lo, s2
	s_mov_b32 s0, 0
	global_store_b8 v[0:1], v3, off
.LBB8_2073:
	s_mov_b32 s2, 0
.LBB8_2074:
	s_delay_alu instid0(SALU_CYCLE_1)
	s_and_b32 vcc_lo, exec_lo, s2
	s_cbranch_vccz .LBB8_2077
; %bb.2075:
	v_cmp_eq_u16_e32 vcc_lo, 29, v17
	s_mov_b32 s0, -1
	s_cbranch_vccz .LBB8_2077
; %bb.2076:
	v_trunc_f64_e32 v[2:3], v[12:13]
	s_mov_b32 s0, 0
	s_delay_alu instid0(VALU_DEP_1) | instskip(NEXT) | instid1(VALU_DEP_1)
	v_ldexp_f64 v[4:5], v[2:3], 0xffffffe0
	v_floor_f64_e32 v[4:5], v[4:5]
	s_delay_alu instid0(VALU_DEP_1) | instskip(SKIP_1) | instid1(VALU_DEP_2)
	v_fma_f64 v[2:3], 0xc1f00000, v[4:5], v[2:3]
	v_cvt_u32_f64_e32 v4, v[4:5]
	v_cvt_u32_f64_e32 v3, v[2:3]
	global_store_b64 v[0:1], v[3:4], off
.LBB8_2077:
	s_mov_b32 s2, 0
.LBB8_2078:
	s_delay_alu instid0(SALU_CYCLE_1)
	s_and_b32 vcc_lo, exec_lo, s2
	s_cbranch_vccz .LBB8_2093
; %bb.2079:
	v_cmp_gt_i16_e32 vcc_lo, 27, v17
	s_mov_b32 s2, -1
	s_cbranch_vccnz .LBB8_2085
; %bb.2080:
	v_cvt_u32_f64_e32 v2, v[12:13]
	v_cmp_lt_i16_e32 vcc_lo, 27, v17
	s_cbranch_vccz .LBB8_2082
; %bb.2081:
	s_mov_b32 s2, 0
	global_store_b32 v[0:1], v2, off
.LBB8_2082:
	s_and_not1_b32 vcc_lo, exec_lo, s2
	s_cbranch_vccnz .LBB8_2084
; %bb.2083:
	global_store_b16 v[0:1], v2, off
.LBB8_2084:
	s_mov_b32 s2, 0
.LBB8_2085:
	s_delay_alu instid0(SALU_CYCLE_1)
	s_and_not1_b32 vcc_lo, exec_lo, s2
	s_cbranch_vccnz .LBB8_2093
; %bb.2086:
	v_cvt_f32_f64_e32 v2, v[12:13]
	v_mov_b32_e32 v4, 0x80
	s_mov_b32 s2, exec_lo
	s_delay_alu instid0(VALU_DEP_2) | instskip(NEXT) | instid1(VALU_DEP_1)
	v_and_b32_e32 v3, 0x7fffffff, v2
	v_cmpx_gt_u32_e32 0x43800000, v3
	s_cbranch_execz .LBB8_2092
; %bb.2087:
	v_cmp_lt_u32_e32 vcc_lo, 0x3bffffff, v3
	s_mov_b32 s3, 0
                                        ; implicit-def: $vgpr3
	s_and_saveexec_b32 s4, vcc_lo
	s_delay_alu instid0(SALU_CYCLE_1)
	s_xor_b32 s4, exec_lo, s4
	s_cbranch_execz .LBB8_2164
; %bb.2088:
	v_bfe_u32 v3, v2, 20, 1
	s_mov_b32 s3, exec_lo
	s_delay_alu instid0(VALU_DEP_1) | instskip(NEXT) | instid1(VALU_DEP_1)
	v_add3_u32 v3, v2, v3, 0x487ffff
	v_lshrrev_b32_e32 v3, 20, v3
	s_or_saveexec_b32 s4, s4
                                        ; implicit-def: $sgpr5
	s_delay_alu instid0(SALU_CYCLE_1)
	s_xor_b32 exec_lo, exec_lo, s4
	s_cbranch_execnz .LBB8_2165
.LBB8_2089:
	s_or_b32 exec_lo, exec_lo, s4
	v_mov_b32_e32 v4, s5
	s_and_saveexec_b32 s4, s3
.LBB8_2090:
	v_lshrrev_b32_e32 v2, 24, v2
	s_delay_alu instid0(VALU_DEP_1)
	v_and_or_b32 v4, 0x80, v2, v3
.LBB8_2091:
	s_or_b32 exec_lo, exec_lo, s4
.LBB8_2092:
	s_delay_alu instid0(SALU_CYCLE_1)
	s_or_b32 exec_lo, exec_lo, s2
	global_store_b8 v[0:1], v4, off
.LBB8_2093:
	s_mov_b32 s2, 0
.LBB8_2094:
	s_delay_alu instid0(SALU_CYCLE_1)
	s_and_b32 vcc_lo, exec_lo, s2
	s_cbranch_vccz .LBB8_2134
; %bb.2095:
	v_cmp_lt_i16_e32 vcc_lo, 22, v17
	s_mov_b32 s1, -1
	s_cbranch_vccz .LBB8_2127
; %bb.2096:
	v_cmp_gt_i16_e32 vcc_lo, 24, v17
	s_cbranch_vccnz .LBB8_2116
; %bb.2097:
	v_cmp_lt_i16_e32 vcc_lo, 24, v17
	s_cbranch_vccz .LBB8_2105
; %bb.2098:
	v_cvt_f32_f64_e32 v2, v[12:13]
	v_mov_b32_e32 v4, 0x80
	s_mov_b32 s1, exec_lo
	s_delay_alu instid0(VALU_DEP_2) | instskip(NEXT) | instid1(VALU_DEP_1)
	v_and_b32_e32 v3, 0x7fffffff, v2
	v_cmpx_gt_u32_e32 0x47800000, v3
	s_cbranch_execz .LBB8_2104
; %bb.2099:
	v_cmp_lt_u32_e32 vcc_lo, 0x37ffffff, v3
	s_mov_b32 s2, 0
                                        ; implicit-def: $vgpr3
	s_and_saveexec_b32 s3, vcc_lo
	s_delay_alu instid0(SALU_CYCLE_1)
	s_xor_b32 s3, exec_lo, s3
	s_cbranch_execz .LBB8_2170
; %bb.2100:
	v_bfe_u32 v3, v2, 21, 1
	s_mov_b32 s2, exec_lo
	s_delay_alu instid0(VALU_DEP_1) | instskip(NEXT) | instid1(VALU_DEP_1)
	v_add3_u32 v3, v2, v3, 0x88fffff
	v_lshrrev_b32_e32 v3, 21, v3
	s_or_saveexec_b32 s3, s3
                                        ; implicit-def: $sgpr4
	s_delay_alu instid0(SALU_CYCLE_1)
	s_xor_b32 exec_lo, exec_lo, s3
	s_cbranch_execnz .LBB8_2171
.LBB8_2101:
	s_or_b32 exec_lo, exec_lo, s3
	v_mov_b32_e32 v4, s4
	s_and_saveexec_b32 s3, s2
.LBB8_2102:
	v_lshrrev_b32_e32 v2, 24, v2
	s_delay_alu instid0(VALU_DEP_1)
	v_and_or_b32 v4, 0x80, v2, v3
.LBB8_2103:
	s_or_b32 exec_lo, exec_lo, s3
.LBB8_2104:
	s_delay_alu instid0(SALU_CYCLE_1)
	s_or_b32 exec_lo, exec_lo, s1
	s_mov_b32 s1, 0
	global_store_b8 v[0:1], v4, off
.LBB8_2105:
	s_and_b32 vcc_lo, exec_lo, s1
	s_cbranch_vccz .LBB8_2115
; %bb.2106:
	v_cvt_f32_f64_e32 v2, v[12:13]
	s_mov_b32 s1, exec_lo
                                        ; implicit-def: $vgpr3
	s_delay_alu instid0(VALU_DEP_1) | instskip(NEXT) | instid1(VALU_DEP_1)
	v_and_b32_e32 v4, 0x7fffffff, v2
	v_cmpx_gt_u32_e32 0x43f00000, v4
	s_xor_b32 s1, exec_lo, s1
	s_cbranch_execz .LBB8_2112
; %bb.2107:
	s_mov_b32 s2, exec_lo
                                        ; implicit-def: $vgpr3
	v_cmpx_lt_u32_e32 0x3c7fffff, v4
	s_xor_b32 s2, exec_lo, s2
; %bb.2108:
	v_bfe_u32 v3, v2, 20, 1
	s_delay_alu instid0(VALU_DEP_1) | instskip(NEXT) | instid1(VALU_DEP_1)
	v_add3_u32 v3, v2, v3, 0x407ffff
	v_and_b32_e32 v4, 0xff00000, v3
	v_lshrrev_b32_e32 v3, 20, v3
	s_delay_alu instid0(VALU_DEP_2) | instskip(NEXT) | instid1(VALU_DEP_2)
	v_cmp_ne_u32_e32 vcc_lo, 0x7f00000, v4
	v_cndmask_b32_e32 v3, 0x7e, v3, vcc_lo
; %bb.2109:
	s_and_not1_saveexec_b32 s2, s2
; %bb.2110:
	v_add_f32_e64 v3, 0x46800000, |v2|
; %bb.2111:
	s_or_b32 exec_lo, exec_lo, s2
                                        ; implicit-def: $vgpr4
.LBB8_2112:
	s_and_not1_saveexec_b32 s1, s1
; %bb.2113:
	v_mov_b32_e32 v3, 0x7f
	v_cmp_lt_u32_e32 vcc_lo, 0x7f800000, v4
	s_delay_alu instid0(VALU_DEP_2)
	v_cndmask_b32_e32 v3, 0x7e, v3, vcc_lo
; %bb.2114:
	s_or_b32 exec_lo, exec_lo, s1
	v_lshrrev_b32_e32 v2, 24, v2
	s_delay_alu instid0(VALU_DEP_1)
	v_and_or_b32 v2, 0x80, v2, v3
	global_store_b8 v[0:1], v2, off
.LBB8_2115:
	s_mov_b32 s1, 0
.LBB8_2116:
	s_delay_alu instid0(SALU_CYCLE_1)
	s_and_not1_b32 vcc_lo, exec_lo, s1
	s_cbranch_vccnz .LBB8_2126
; %bb.2117:
	v_cvt_f32_f64_e32 v2, v[12:13]
	s_mov_b32 s1, exec_lo
                                        ; implicit-def: $vgpr3
	s_delay_alu instid0(VALU_DEP_1) | instskip(NEXT) | instid1(VALU_DEP_1)
	v_and_b32_e32 v4, 0x7fffffff, v2
	v_cmpx_gt_u32_e32 0x47800000, v4
	s_xor_b32 s1, exec_lo, s1
	s_cbranch_execz .LBB8_2123
; %bb.2118:
	s_mov_b32 s2, exec_lo
                                        ; implicit-def: $vgpr3
	v_cmpx_lt_u32_e32 0x387fffff, v4
	s_xor_b32 s2, exec_lo, s2
; %bb.2119:
	v_bfe_u32 v3, v2, 21, 1
	s_delay_alu instid0(VALU_DEP_1) | instskip(NEXT) | instid1(VALU_DEP_1)
	v_add3_u32 v3, v2, v3, 0x80fffff
	v_lshrrev_b32_e32 v3, 21, v3
; %bb.2120:
	s_and_not1_saveexec_b32 s2, s2
; %bb.2121:
	v_add_f32_e64 v3, 0x43000000, |v2|
; %bb.2122:
	s_or_b32 exec_lo, exec_lo, s2
                                        ; implicit-def: $vgpr4
.LBB8_2123:
	s_and_not1_saveexec_b32 s1, s1
; %bb.2124:
	v_mov_b32_e32 v3, 0x7f
	v_cmp_lt_u32_e32 vcc_lo, 0x7f800000, v4
	s_delay_alu instid0(VALU_DEP_2)
	v_cndmask_b32_e32 v3, 0x7c, v3, vcc_lo
; %bb.2125:
	s_or_b32 exec_lo, exec_lo, s1
	v_lshrrev_b32_e32 v2, 24, v2
	s_delay_alu instid0(VALU_DEP_1)
	v_and_or_b32 v2, 0x80, v2, v3
	global_store_b8 v[0:1], v2, off
.LBB8_2126:
	s_mov_b32 s1, 0
.LBB8_2127:
	s_delay_alu instid0(SALU_CYCLE_1)
	s_and_not1_b32 vcc_lo, exec_lo, s1
	s_mov_b32 s1, 0
	s_cbranch_vccnz .LBB8_2134
; %bb.2128:
	v_cmp_lt_i16_e32 vcc_lo, 14, v17
	s_mov_b32 s1, -1
	s_cbranch_vccz .LBB8_2132
; %bb.2129:
	v_cmp_eq_u16_e32 vcc_lo, 15, v17
	s_mov_b32 s0, -1
	s_cbranch_vccz .LBB8_2131
; %bb.2130:
	v_cvt_f32_f64_e32 v2, v[12:13]
	s_mov_b32 s0, 0
	s_delay_alu instid0(VALU_DEP_1) | instskip(SKIP_1) | instid1(VALU_DEP_2)
	v_bfe_u32 v3, v2, 16, 1
	v_cmp_o_f32_e32 vcc_lo, v2, v2
	v_add3_u32 v3, v2, v3, 0x7fff
	s_delay_alu instid0(VALU_DEP_1) | instskip(NEXT) | instid1(VALU_DEP_1)
	v_lshrrev_b32_e32 v3, 16, v3
	v_cndmask_b32_e32 v2, 0x7fc0, v3, vcc_lo
	global_store_b16 v[0:1], v2, off
.LBB8_2131:
	s_mov_b32 s1, 0
.LBB8_2132:
	s_delay_alu instid0(SALU_CYCLE_1)
	s_and_b32 vcc_lo, exec_lo, s1
	s_mov_b32 s1, 0
	s_cbranch_vccz .LBB8_2134
; %bb.2133:
	v_cmp_ne_u16_e64 s0, 11, v17
	s_mov_b32 s1, -1
.LBB8_2134:
	s_delay_alu instid0(VALU_DEP_1)
	s_and_b32 vcc_lo, exec_lo, s0
	s_cbranch_vccnz .LBB8_2168
.LBB8_2135:
	s_mov_b32 s0, 0
	s_branch .LBB8_1737
.LBB8_2136:
	s_mov_b32 s0, 0
	s_mov_b32 s1, 0
                                        ; implicit-def: $vgpr17
                                        ; implicit-def: $vgpr0_vgpr1
	s_branch .LBB8_1737
.LBB8_2137:
	s_mov_b32 s1, 0
	s_mov_b32 s0, -1
	s_branch .LBB8_1737
.LBB8_2138:
	s_cbranch_execnz .LBB8_2142
; %bb.2139:
	s_or_b32 s8, s8, exec_lo
                                        ; implicit-def: $vgpr2_vgpr3
	s_cbranch_execz .LBB8_1594
	s_branch .LBB8_1595
.LBB8_2140:
	s_or_saveexec_b32 s7, s7
                                        ; implicit-def: $sgpr11
	s_delay_alu instid0(SALU_CYCLE_1)
	s_xor_b32 exec_lo, exec_lo, s7
	s_cbranch_execz .LBB8_1686
.LBB8_2141:
	v_add_f32_e64 v3, 0x46000000, |v2|
	s_and_not1_b32 s6, s6, exec_lo
	s_mov_b32 s11, 0
	s_delay_alu instid0(VALU_DEP_1) | instskip(NEXT) | instid1(VALU_DEP_1)
	v_and_b32_e32 v3, 0xff, v3
	v_cmp_ne_u32_e32 vcc_lo, 0, v3
	s_and_b32 s12, vcc_lo, exec_lo
	s_delay_alu instid0(SALU_CYCLE_1)
	s_or_b32 s6, s6, s12
	s_or_b32 exec_lo, exec_lo, s7
	v_mov_b32_e32 v11, s11
	s_and_saveexec_b32 s7, s6
	s_cbranch_execnz .LBB8_1687
	s_branch .LBB8_1688
.LBB8_2142:
	s_trap 2
	s_sendmsg_rtn_b32 s0, sendmsg(MSG_RTN_GET_DOORBELL)
	s_mov_b32 ttmp2, m0
	s_waitcnt lgkmcnt(0)
	s_and_b32 s0, s0, 0x3ff
	s_delay_alu instid0(SALU_CYCLE_1) | instskip(NEXT) | instid1(SALU_CYCLE_1)
	s_bitset1_b32 s0, 10
	s_mov_b32 m0, s0
	s_sendmsg sendmsg(MSG_INTERRUPT)
	s_mov_b32 m0, ttmp2
.LBB8_2143:                             ; =>This Inner Loop Header: Depth=1
	s_sethalt 5
	s_branch .LBB8_2143
.LBB8_2144:
	s_cbranch_execnz .LBB8_2150
; %bb.2145:
	s_or_b32 s8, s8, exec_lo
	s_cbranch_execz .LBB8_1734
	s_branch .LBB8_1735
.LBB8_2146:
	s_or_saveexec_b32 s6, s6
                                        ; implicit-def: $sgpr7
	s_delay_alu instid0(SALU_CYCLE_1)
	s_xor_b32 exec_lo, exec_lo, s6
	s_cbranch_execz .LBB8_1699
.LBB8_2147:
	v_add_f32_e64 v3, 0x42800000, |v2|
	s_and_not1_b32 s3, s3, exec_lo
	s_mov_b32 s7, 0
	s_delay_alu instid0(VALU_DEP_1) | instskip(NEXT) | instid1(VALU_DEP_1)
	v_and_b32_e32 v3, 0xff, v3
	v_cmp_ne_u32_e32 vcc_lo, 0, v3
	s_and_b32 s11, vcc_lo, exec_lo
	s_delay_alu instid0(SALU_CYCLE_1)
	s_or_b32 s3, s3, s11
	s_or_b32 exec_lo, exec_lo, s6
	v_mov_b32_e32 v11, s7
	s_and_saveexec_b32 s6, s3
	s_cbranch_execnz .LBB8_1700
	s_branch .LBB8_1701
.LBB8_2148:
	s_or_saveexec_b32 s7, s7
                                        ; implicit-def: $sgpr11
	s_delay_alu instid0(SALU_CYCLE_1)
	s_xor_b32 exec_lo, exec_lo, s7
	s_cbranch_execz .LBB8_1850
.LBB8_2149:
	v_add_f32_e64 v6, 0x46000000, |v3|
	s_and_not1_b32 s6, s6, exec_lo
	s_mov_b32 s11, 0
	s_delay_alu instid0(VALU_DEP_1) | instskip(NEXT) | instid1(VALU_DEP_1)
	v_and_b32_e32 v6, 0xff, v6
	v_cmp_ne_u32_e32 vcc_lo, 0, v6
	s_and_b32 s12, vcc_lo, exec_lo
	s_delay_alu instid0(SALU_CYCLE_1)
	s_or_b32 s6, s6, s12
	s_or_b32 exec_lo, exec_lo, s7
	v_mov_b32_e32 v7, s11
	s_and_saveexec_b32 s7, s6
	s_cbranch_execnz .LBB8_1851
	s_branch .LBB8_1852
.LBB8_2150:
	s_trap 2
	s_sendmsg_rtn_b32 s0, sendmsg(MSG_RTN_GET_DOORBELL)
	s_mov_b32 ttmp2, m0
	s_waitcnt lgkmcnt(0)
	s_and_b32 s0, s0, 0x3ff
	s_delay_alu instid0(SALU_CYCLE_1) | instskip(NEXT) | instid1(SALU_CYCLE_1)
	s_bitset1_b32 s0, 10
	s_mov_b32 m0, s0
	s_sendmsg sendmsg(MSG_INTERRUPT)
	s_mov_b32 m0, ttmp2
.LBB8_2151:                             ; =>This Inner Loop Header: Depth=1
	s_sethalt 5
	s_branch .LBB8_2151
.LBB8_2152:
	s_cbranch_execnz .LBB8_2158
; %bb.2153:
	s_or_b32 s8, s8, exec_lo
	s_cbranch_execz .LBB8_1898
	s_branch .LBB8_1899
.LBB8_2154:
	s_or_saveexec_b32 s6, s6
                                        ; implicit-def: $sgpr7
	s_delay_alu instid0(SALU_CYCLE_1)
	s_xor_b32 exec_lo, exec_lo, s6
	s_cbranch_execz .LBB8_1863
.LBB8_2155:
	v_add_f32_e64 v6, 0x42800000, |v3|
	s_and_not1_b32 s3, s3, exec_lo
	s_mov_b32 s7, 0
	s_delay_alu instid0(VALU_DEP_1) | instskip(NEXT) | instid1(VALU_DEP_1)
	v_and_b32_e32 v6, 0xff, v6
	v_cmp_ne_u32_e32 vcc_lo, 0, v6
	s_and_b32 s11, vcc_lo, exec_lo
	s_delay_alu instid0(SALU_CYCLE_1)
	s_or_b32 s3, s3, s11
	s_or_b32 exec_lo, exec_lo, s6
	v_mov_b32_e32 v7, s7
	s_and_saveexec_b32 s6, s3
	s_cbranch_execnz .LBB8_1864
	s_branch .LBB8_1865
.LBB8_2156:
	s_or_saveexec_b32 s7, s7
                                        ; implicit-def: $sgpr11
	s_delay_alu instid0(SALU_CYCLE_1)
	s_xor_b32 exec_lo, exec_lo, s7
	s_cbranch_execz .LBB8_1969
.LBB8_2157:
	v_add_f32_e64 v4, 0x46000000, |v3|
	s_and_not1_b32 s6, s6, exec_lo
	s_mov_b32 s11, 0
	s_delay_alu instid0(VALU_DEP_1) | instskip(NEXT) | instid1(VALU_DEP_1)
	v_and_b32_e32 v4, 0xff, v4
	v_cmp_ne_u32_e32 vcc_lo, 0, v4
	s_and_b32 s12, vcc_lo, exec_lo
	s_delay_alu instid0(SALU_CYCLE_1)
	s_or_b32 s6, s6, s12
	s_or_b32 exec_lo, exec_lo, s7
	v_mov_b32_e32 v5, s11
	s_and_saveexec_b32 s7, s6
	s_cbranch_execnz .LBB8_1970
	s_branch .LBB8_1971
.LBB8_2158:
	s_trap 2
	s_sendmsg_rtn_b32 s0, sendmsg(MSG_RTN_GET_DOORBELL)
	s_mov_b32 ttmp2, m0
	s_waitcnt lgkmcnt(0)
	s_and_b32 s0, s0, 0x3ff
	s_delay_alu instid0(SALU_CYCLE_1) | instskip(NEXT) | instid1(SALU_CYCLE_1)
	s_bitset1_b32 s0, 10
	s_mov_b32 m0, s0
	s_sendmsg sendmsg(MSG_INTERRUPT)
	s_mov_b32 m0, ttmp2
.LBB8_2159:                             ; =>This Inner Loop Header: Depth=1
	s_sethalt 5
	s_branch .LBB8_2159
.LBB8_2160:
	s_cbranch_execnz .LBB8_2166
; %bb.2161:
	s_or_b32 s8, s8, exec_lo
	s_cbranch_execz .LBB8_2017
	s_branch .LBB8_2018
.LBB8_2162:
	s_or_saveexec_b32 s6, s6
                                        ; implicit-def: $sgpr7
	s_delay_alu instid0(SALU_CYCLE_1)
	s_xor_b32 exec_lo, exec_lo, s6
	s_cbranch_execz .LBB8_1982
.LBB8_2163:
	v_add_f32_e64 v4, 0x42800000, |v3|
	s_and_not1_b32 s3, s3, exec_lo
	s_mov_b32 s7, 0
	s_delay_alu instid0(VALU_DEP_1) | instskip(NEXT) | instid1(VALU_DEP_1)
	v_and_b32_e32 v4, 0xff, v4
	v_cmp_ne_u32_e32 vcc_lo, 0, v4
	s_and_b32 s11, vcc_lo, exec_lo
	s_delay_alu instid0(SALU_CYCLE_1)
	s_or_b32 s3, s3, s11
	s_or_b32 exec_lo, exec_lo, s6
	v_mov_b32_e32 v5, s7
	s_and_saveexec_b32 s6, s3
	s_cbranch_execnz .LBB8_1983
	s_branch .LBB8_1984
.LBB8_2164:
	s_or_saveexec_b32 s4, s4
                                        ; implicit-def: $sgpr5
	s_delay_alu instid0(SALU_CYCLE_1)
	s_xor_b32 exec_lo, exec_lo, s4
	s_cbranch_execz .LBB8_2089
.LBB8_2165:
	v_add_f32_e64 v3, 0x46000000, |v2|
	s_and_not1_b32 s3, s3, exec_lo
	s_mov_b32 s5, 0
	s_delay_alu instid0(VALU_DEP_1) | instskip(NEXT) | instid1(VALU_DEP_1)
	v_and_b32_e32 v3, 0xff, v3
	v_cmp_ne_u32_e32 vcc_lo, 0, v3
	s_and_b32 s6, vcc_lo, exec_lo
	s_delay_alu instid0(SALU_CYCLE_1)
	s_or_b32 s3, s3, s6
	s_or_b32 exec_lo, exec_lo, s4
	v_mov_b32_e32 v4, s5
	s_and_saveexec_b32 s4, s3
	s_cbranch_execnz .LBB8_2090
	s_branch .LBB8_2091
.LBB8_2166:
	s_trap 2
	s_sendmsg_rtn_b32 s0, sendmsg(MSG_RTN_GET_DOORBELL)
	s_mov_b32 ttmp2, m0
	s_waitcnt lgkmcnt(0)
	s_and_b32 s0, s0, 0x3ff
	s_delay_alu instid0(SALU_CYCLE_1) | instskip(NEXT) | instid1(SALU_CYCLE_1)
	s_bitset1_b32 s0, 10
	s_mov_b32 m0, s0
	s_sendmsg sendmsg(MSG_INTERRUPT)
	s_mov_b32 m0, ttmp2
.LBB8_2167:                             ; =>This Inner Loop Header: Depth=1
	s_sethalt 5
	s_branch .LBB8_2167
.LBB8_2168:
	s_cbranch_execnz .LBB8_2172
; %bb.2169:
	s_mov_b32 s1, 0
	s_or_b32 s8, s8, exec_lo
	s_branch .LBB8_2135
.LBB8_2170:
	s_or_saveexec_b32 s3, s3
                                        ; implicit-def: $sgpr4
	s_delay_alu instid0(SALU_CYCLE_1)
	s_xor_b32 exec_lo, exec_lo, s3
	s_cbranch_execz .LBB8_2101
.LBB8_2171:
	v_add_f32_e64 v3, 0x42800000, |v2|
	s_and_not1_b32 s2, s2, exec_lo
	s_mov_b32 s4, 0
	s_delay_alu instid0(VALU_DEP_1) | instskip(NEXT) | instid1(VALU_DEP_1)
	v_and_b32_e32 v3, 0xff, v3
	v_cmp_ne_u32_e32 vcc_lo, 0, v3
	s_and_b32 s5, vcc_lo, exec_lo
	s_delay_alu instid0(SALU_CYCLE_1)
	s_or_b32 s2, s2, s5
	s_or_b32 exec_lo, exec_lo, s3
	v_mov_b32_e32 v4, s4
	s_and_saveexec_b32 s3, s2
	s_cbranch_execnz .LBB8_2102
	s_branch .LBB8_2103
.LBB8_2172:
	s_trap 2
	s_sendmsg_rtn_b32 s0, sendmsg(MSG_RTN_GET_DOORBELL)
	s_mov_b32 ttmp2, m0
	s_waitcnt lgkmcnt(0)
	s_and_b32 s0, s0, 0x3ff
	s_delay_alu instid0(SALU_CYCLE_1) | instskip(NEXT) | instid1(SALU_CYCLE_1)
	s_bitset1_b32 s0, 10
	s_mov_b32 m0, s0
	s_sendmsg sendmsg(MSG_INTERRUPT)
	s_mov_b32 m0, ttmp2
.LBB8_2173:                             ; =>This Inner Loop Header: Depth=1
	s_sethalt 5
	s_branch .LBB8_2173
	.section	.rodata,"a",@progbits
	.p2align	6, 0x0
	.amdhsa_kernel _ZN2at6native32elementwise_kernel_manual_unrollILi128ELi4EZNS0_15gpu_kernel_implIZZZNS0_12_GLOBAL__N_130modified_bessel_i1_kernel_cudaERNS_18TensorIteratorBaseEENKUlvE_clEvENKUlvE_clEvEUldE_EEvS5_RKT_EUlibE_EEviT1_
		.amdhsa_group_segment_fixed_size 0
		.amdhsa_private_segment_fixed_size 0
		.amdhsa_kernarg_size 40
		.amdhsa_user_sgpr_count 15
		.amdhsa_user_sgpr_dispatch_ptr 0
		.amdhsa_user_sgpr_queue_ptr 0
		.amdhsa_user_sgpr_kernarg_segment_ptr 1
		.amdhsa_user_sgpr_dispatch_id 0
		.amdhsa_user_sgpr_private_segment_size 0
		.amdhsa_wavefront_size32 1
		.amdhsa_uses_dynamic_stack 0
		.amdhsa_enable_private_segment 0
		.amdhsa_system_sgpr_workgroup_id_x 1
		.amdhsa_system_sgpr_workgroup_id_y 0
		.amdhsa_system_sgpr_workgroup_id_z 0
		.amdhsa_system_sgpr_workgroup_info 0
		.amdhsa_system_vgpr_workitem_id 0
		.amdhsa_next_free_vgpr 23
		.amdhsa_next_free_sgpr 26
		.amdhsa_reserve_vcc 1
		.amdhsa_float_round_mode_32 0
		.amdhsa_float_round_mode_16_64 0
		.amdhsa_float_denorm_mode_32 3
		.amdhsa_float_denorm_mode_16_64 3
		.amdhsa_dx10_clamp 1
		.amdhsa_ieee_mode 1
		.amdhsa_fp16_overflow 0
		.amdhsa_workgroup_processor_mode 1
		.amdhsa_memory_ordered 1
		.amdhsa_forward_progress 0
		.amdhsa_shared_vgpr_count 0
		.amdhsa_exception_fp_ieee_invalid_op 0
		.amdhsa_exception_fp_denorm_src 0
		.amdhsa_exception_fp_ieee_div_zero 0
		.amdhsa_exception_fp_ieee_overflow 0
		.amdhsa_exception_fp_ieee_underflow 0
		.amdhsa_exception_fp_ieee_inexact 0
		.amdhsa_exception_int_div_zero 0
	.end_amdhsa_kernel
	.section	.text._ZN2at6native32elementwise_kernel_manual_unrollILi128ELi4EZNS0_15gpu_kernel_implIZZZNS0_12_GLOBAL__N_130modified_bessel_i1_kernel_cudaERNS_18TensorIteratorBaseEENKUlvE_clEvENKUlvE_clEvEUldE_EEvS5_RKT_EUlibE_EEviT1_,"axG",@progbits,_ZN2at6native32elementwise_kernel_manual_unrollILi128ELi4EZNS0_15gpu_kernel_implIZZZNS0_12_GLOBAL__N_130modified_bessel_i1_kernel_cudaERNS_18TensorIteratorBaseEENKUlvE_clEvENKUlvE_clEvEUldE_EEvS5_RKT_EUlibE_EEviT1_,comdat
.Lfunc_end8:
	.size	_ZN2at6native32elementwise_kernel_manual_unrollILi128ELi4EZNS0_15gpu_kernel_implIZZZNS0_12_GLOBAL__N_130modified_bessel_i1_kernel_cudaERNS_18TensorIteratorBaseEENKUlvE_clEvENKUlvE_clEvEUldE_EEvS5_RKT_EUlibE_EEviT1_, .Lfunc_end8-_ZN2at6native32elementwise_kernel_manual_unrollILi128ELi4EZNS0_15gpu_kernel_implIZZZNS0_12_GLOBAL__N_130modified_bessel_i1_kernel_cudaERNS_18TensorIteratorBaseEENKUlvE_clEvENKUlvE_clEvEUldE_EEvS5_RKT_EUlibE_EEviT1_
                                        ; -- End function
	.section	.AMDGPU.csdata,"",@progbits
; Kernel info:
; codeLenInByte = 67776
; NumSgprs: 28
; NumVgprs: 23
; ScratchSize: 0
; MemoryBound: 1
; FloatMode: 240
; IeeeMode: 1
; LDSByteSize: 0 bytes/workgroup (compile time only)
; SGPRBlocks: 3
; VGPRBlocks: 2
; NumSGPRsForWavesPerEU: 28
; NumVGPRsForWavesPerEU: 23
; Occupancy: 16
; WaveLimiterHint : 0
; COMPUTE_PGM_RSRC2:SCRATCH_EN: 0
; COMPUTE_PGM_RSRC2:USER_SGPR: 15
; COMPUTE_PGM_RSRC2:TRAP_HANDLER: 0
; COMPUTE_PGM_RSRC2:TGID_X_EN: 1
; COMPUTE_PGM_RSRC2:TGID_Y_EN: 0
; COMPUTE_PGM_RSRC2:TGID_Z_EN: 0
; COMPUTE_PGM_RSRC2:TIDIG_COMP_CNT: 0
	.section	.text._ZN2at6native32elementwise_kernel_manual_unrollILi128ELi4EZNS0_15gpu_kernel_implIZZZNS0_12_GLOBAL__N_130modified_bessel_i1_kernel_cudaERNS_18TensorIteratorBaseEENKUlvE_clEvENKUlvE_clEvEUldE_EEvS5_RKT_EUlibE0_EEviT1_,"axG",@progbits,_ZN2at6native32elementwise_kernel_manual_unrollILi128ELi4EZNS0_15gpu_kernel_implIZZZNS0_12_GLOBAL__N_130modified_bessel_i1_kernel_cudaERNS_18TensorIteratorBaseEENKUlvE_clEvENKUlvE_clEvEUldE_EEvS5_RKT_EUlibE0_EEviT1_,comdat
	.globl	_ZN2at6native32elementwise_kernel_manual_unrollILi128ELi4EZNS0_15gpu_kernel_implIZZZNS0_12_GLOBAL__N_130modified_bessel_i1_kernel_cudaERNS_18TensorIteratorBaseEENKUlvE_clEvENKUlvE_clEvEUldE_EEvS5_RKT_EUlibE0_EEviT1_ ; -- Begin function _ZN2at6native32elementwise_kernel_manual_unrollILi128ELi4EZNS0_15gpu_kernel_implIZZZNS0_12_GLOBAL__N_130modified_bessel_i1_kernel_cudaERNS_18TensorIteratorBaseEENKUlvE_clEvENKUlvE_clEvEUldE_EEvS5_RKT_EUlibE0_EEviT1_
	.p2align	8
	.type	_ZN2at6native32elementwise_kernel_manual_unrollILi128ELi4EZNS0_15gpu_kernel_implIZZZNS0_12_GLOBAL__N_130modified_bessel_i1_kernel_cudaERNS_18TensorIteratorBaseEENKUlvE_clEvENKUlvE_clEvEUldE_EEvS5_RKT_EUlibE0_EEviT1_,@function
_ZN2at6native32elementwise_kernel_manual_unrollILi128ELi4EZNS0_15gpu_kernel_implIZZZNS0_12_GLOBAL__N_130modified_bessel_i1_kernel_cudaERNS_18TensorIteratorBaseEENKUlvE_clEvENKUlvE_clEvEUldE_EEvS5_RKT_EUlibE0_EEviT1_: ; @_ZN2at6native32elementwise_kernel_manual_unrollILi128ELi4EZNS0_15gpu_kernel_implIZZZNS0_12_GLOBAL__N_130modified_bessel_i1_kernel_cudaERNS_18TensorIteratorBaseEENKUlvE_clEvENKUlvE_clEvEUldE_EEvS5_RKT_EUlibE0_EEviT1_
; %bb.0:
	s_clause 0x1
	s_load_b32 s24, s[0:1], 0x8
	s_load_b32 s30, s[0:1], 0x0
	v_lshl_or_b32 v14, s15, 9, v0
	s_or_b32 s16, s0, 8
	s_mov_b32 s3, -1
	s_mov_b32 s26, 0
	s_mov_b32 s17, s1
	v_or_b32_e32 v5, 0x180, v14
	s_mov_b32 s8, 0
	s_mov_b32 s2, exec_lo
	s_waitcnt lgkmcnt(0)
	s_add_i32 s25, s24, -1
	s_delay_alu instid0(SALU_CYCLE_1)
	s_cmp_gt_u32 s25, 1
	s_cselect_b32 s27, -1, 0
	v_cmpx_le_i32_e64 s30, v5
	s_xor_b32 s28, exec_lo, s2
	s_cbranch_execz .LBB9_1124
; %bb.1:
	v_mov_b32_e32 v0, 0
	s_clause 0x3
	s_load_b128 s[12:15], s[16:17], 0x4
	s_load_b64 s[18:19], s[16:17], 0x14
	s_load_b128 s[8:11], s[16:17], 0xc4
	s_load_b128 s[4:7], s[16:17], 0x148
	s_cmp_lg_u32 s24, 0
	s_mov_b32 s37, 0
	s_cselect_b32 s33, -1, 0
	global_load_u16 v11, v0, s[16:17] offset:345
	s_add_u32 s20, s16, 0xc4
	s_addc_u32 s21, s17, 0
	s_min_u32 s31, s25, 15
	s_cmp_gt_u32 s24, 1
	s_mov_b32 s35, 0
	s_cselect_b32 s29, -1, 0
	s_mov_b32 s34, 0
	s_mov_b32 s36, exec_lo
	s_waitcnt vmcnt(0)
	v_lshrrev_b16 v12, 8, v11
	v_cmpx_gt_i32_e64 s30, v14
	s_cbranch_execz .LBB9_275
; %bb.2:
	s_and_not1_b32 vcc_lo, exec_lo, s27
	s_cbranch_vccnz .LBB9_7
; %bb.3:
	v_mov_b32_e32 v2, 0
	v_mov_b32_e32 v0, 0
	s_and_not1_b32 vcc_lo, exec_lo, s33
	s_cbranch_vccnz .LBB9_12
; %bb.4:
	v_mov_b32_e32 v2, 0
	s_add_i32 s38, s31, 1
	s_cmp_eq_u32 s25, 2
	s_cbranch_scc1 .LBB9_8
; %bb.5:
	v_dual_mov_b32 v0, 0 :: v_dual_mov_b32 v1, v14
	v_mov_b32_e32 v2, 0
	s_and_b32 s35, s38, 28
	s_mov_b32 s39, 0
	s_mov_b64 s[2:3], s[20:21]
	s_mov_b64 s[22:23], s[16:17]
.LBB9_6:                                ; =>This Inner Loop Header: Depth=1
	s_clause 0x1
	s_load_b256 s[40:47], s[22:23], 0x4
	s_load_b128 s[56:59], s[22:23], 0x24
	s_load_b256 s[48:55], s[2:3], 0x0
	s_add_u32 s22, s22, 48
	s_addc_u32 s23, s23, 0
	s_add_i32 s39, s39, 4
	s_add_u32 s2, s2, 32
	s_addc_u32 s3, s3, 0
	s_cmp_lg_u32 s35, s39
	s_waitcnt lgkmcnt(0)
	v_mul_hi_u32 v3, s41, v1
	s_delay_alu instid0(VALU_DEP_1) | instskip(NEXT) | instid1(VALU_DEP_1)
	v_add_nc_u32_e32 v3, v1, v3
	v_lshrrev_b32_e32 v3, s42, v3
	s_delay_alu instid0(VALU_DEP_1) | instskip(SKIP_1) | instid1(VALU_DEP_2)
	v_mul_hi_u32 v4, s44, v3
	v_mul_lo_u32 v6, v3, s40
	v_add_nc_u32_e32 v4, v3, v4
	s_delay_alu instid0(VALU_DEP_2) | instskip(NEXT) | instid1(VALU_DEP_2)
	v_sub_nc_u32_e32 v1, v1, v6
	v_lshrrev_b32_e32 v4, s45, v4
	s_delay_alu instid0(VALU_DEP_2) | instskip(SKIP_1) | instid1(VALU_DEP_3)
	v_mul_lo_u32 v6, v1, s48
	v_mul_lo_u32 v8, v1, s49
	v_mul_hi_u32 v5, s47, v4
	s_delay_alu instid0(VALU_DEP_1) | instskip(NEXT) | instid1(VALU_DEP_1)
	v_add_nc_u32_e32 v5, v4, v5
	v_lshrrev_b32_e32 v5, s56, v5
	s_delay_alu instid0(VALU_DEP_1) | instskip(SKIP_1) | instid1(VALU_DEP_2)
	v_mul_hi_u32 v7, s58, v5
	v_mul_lo_u32 v9, v5, s46
	v_add_nc_u32_e32 v1, v5, v7
	v_mul_lo_u32 v7, v4, s43
	s_delay_alu instid0(VALU_DEP_3) | instskip(NEXT) | instid1(VALU_DEP_3)
	v_sub_nc_u32_e32 v4, v4, v9
	v_lshrrev_b32_e32 v1, s59, v1
	s_delay_alu instid0(VALU_DEP_2) | instskip(SKIP_2) | instid1(VALU_DEP_4)
	v_mul_lo_u32 v9, v4, s52
	v_mul_lo_u32 v4, v4, s53
	v_sub_nc_u32_e32 v3, v3, v7
	v_mul_lo_u32 v10, v1, s57
	s_delay_alu instid0(VALU_DEP_2) | instskip(SKIP_1) | instid1(VALU_DEP_3)
	v_mul_lo_u32 v7, v3, s50
	v_mul_lo_u32 v3, v3, s51
	v_sub_nc_u32_e32 v5, v5, v10
	s_delay_alu instid0(VALU_DEP_3) | instskip(NEXT) | instid1(VALU_DEP_2)
	v_add3_u32 v2, v6, v2, v7
	v_mul_lo_u32 v10, v5, s54
	v_mul_lo_u32 v5, v5, s55
	v_add3_u32 v0, v8, v0, v3
	s_delay_alu instid0(VALU_DEP_3) | instskip(NEXT) | instid1(VALU_DEP_2)
	v_add3_u32 v2, v9, v2, v10
	v_add3_u32 v0, v4, v0, v5
	s_cbranch_scc1 .LBB9_6
	s_branch .LBB9_9
.LBB9_7:
	s_mov_b32 s34, -1
                                        ; implicit-def: $vgpr2
                                        ; implicit-def: $vgpr0
	s_branch .LBB9_12
.LBB9_8:
	v_dual_mov_b32 v1, v14 :: v_dual_mov_b32 v0, 0
.LBB9_9:
	s_and_b32 s38, s38, 3
	s_delay_alu instid0(SALU_CYCLE_1)
	s_cmp_eq_u32 s38, 0
	s_cbranch_scc1 .LBB9_12
; %bb.10:
	s_lshl_b32 s2, s35, 3
	s_mul_i32 s22, s35, 12
	s_add_u32 s2, s2, s16
	s_addc_u32 s3, s17, 0
	s_add_u32 s2, s2, 0xc4
	s_addc_u32 s3, s3, 0
	;; [unrolled: 2-line block ×3, first 2 shown]
	.p2align	6
.LBB9_11:                               ; =>This Inner Loop Header: Depth=1
	s_clause 0x1
	s_load_b64 s[40:41], s[22:23], 0x4
	s_load_b32 s35, s[22:23], 0xc
	s_load_b64 s[42:43], s[2:3], 0x0
	s_add_u32 s22, s22, 12
	s_addc_u32 s23, s23, 0
	s_add_u32 s2, s2, 8
	s_addc_u32 s3, s3, 0
	s_add_i32 s38, s38, -1
	s_delay_alu instid0(SALU_CYCLE_1) | instskip(SKIP_2) | instid1(VALU_DEP_1)
	s_cmp_lg_u32 s38, 0
	s_waitcnt lgkmcnt(0)
	v_mul_hi_u32 v3, s41, v1
	v_add_nc_u32_e32 v3, v1, v3
	s_delay_alu instid0(VALU_DEP_1) | instskip(NEXT) | instid1(VALU_DEP_1)
	v_lshrrev_b32_e32 v6, s35, v3
	v_mul_lo_u32 v3, v6, s40
	s_delay_alu instid0(VALU_DEP_1) | instskip(NEXT) | instid1(VALU_DEP_1)
	v_sub_nc_u32_e32 v1, v1, v3
	v_mad_u64_u32 v[3:4], null, v1, s42, v[2:3]
	v_mad_u64_u32 v[4:5], null, v1, s43, v[0:1]
	s_delay_alu instid0(VALU_DEP_2) | instskip(NEXT) | instid1(VALU_DEP_2)
	v_dual_mov_b32 v1, v6 :: v_dual_mov_b32 v2, v3
	v_mov_b32_e32 v0, v4
	s_cbranch_scc1 .LBB9_11
.LBB9_12:
	s_and_not1_b32 vcc_lo, exec_lo, s34
	s_cbranch_vccnz .LBB9_15
; %bb.13:
	s_waitcnt lgkmcnt(0)
	v_mul_hi_u32 v0, s13, v14
	s_and_not1_b32 vcc_lo, exec_lo, s29
	s_delay_alu instid0(VALU_DEP_1) | instskip(NEXT) | instid1(VALU_DEP_1)
	v_add_nc_u32_e32 v0, v14, v0
	v_lshrrev_b32_e32 v1, s14, v0
	s_delay_alu instid0(VALU_DEP_1) | instskip(NEXT) | instid1(VALU_DEP_1)
	v_mul_lo_u32 v0, v1, s12
	v_sub_nc_u32_e32 v0, v14, v0
	s_delay_alu instid0(VALU_DEP_1)
	v_mul_lo_u32 v2, v0, s8
	v_mul_lo_u32 v0, v0, s9
	s_cbranch_vccnz .LBB9_15
; %bb.14:
	v_mul_hi_u32 v3, s18, v1
	s_delay_alu instid0(VALU_DEP_1) | instskip(NEXT) | instid1(VALU_DEP_1)
	v_add_nc_u32_e32 v3, v1, v3
	v_lshrrev_b32_e32 v3, s19, v3
	s_delay_alu instid0(VALU_DEP_1) | instskip(NEXT) | instid1(VALU_DEP_1)
	v_mul_lo_u32 v3, v3, s15
	v_sub_nc_u32_e32 v5, v1, v3
	s_delay_alu instid0(VALU_DEP_1) | instskip(SKIP_1) | instid1(VALU_DEP_2)
	v_mad_u64_u32 v[3:4], null, v5, s10, v[2:3]
	v_mad_u64_u32 v[1:2], null, v5, s11, v[0:1]
	v_mov_b32_e32 v2, v3
	s_delay_alu instid0(VALU_DEP_2)
	v_mov_b32_e32 v0, v1
.LBB9_15:
	v_cmp_gt_i16_e32 vcc_lo, 11, v12
	s_waitcnt lgkmcnt(0)
	s_delay_alu instid0(VALU_DEP_2) | instskip(NEXT) | instid1(VALU_DEP_1)
	v_add_co_u32 v0, s2, s6, v0
	v_add_co_ci_u32_e64 v1, null, s7, 0, s2
	s_mov_b32 s22, 0
	s_cbranch_vccnz .LBB9_22
; %bb.16:
	v_cmp_lt_i16_e32 vcc_lo, 25, v12
	s_cbranch_vccz .LBB9_153
; %bb.17:
	v_cmp_lt_i16_e32 vcc_lo, 28, v12
	s_cbranch_vccz .LBB9_154
; %bb.18:
	v_cmp_lt_i16_e32 vcc_lo, 43, v12
	s_cbranch_vccz .LBB9_155
; %bb.19:
	v_cmp_lt_i16_e32 vcc_lo, 45, v12
	s_cbranch_vccz .LBB9_156
; %bb.20:
	v_cmp_eq_u16_e32 vcc_lo, 46, v12
	s_mov_b32 s3, 0
	s_cbranch_vccz .LBB9_157
; %bb.21:
	global_load_b32 v3, v[0:1], off
	s_mov_b32 s2, -1
	s_waitcnt vmcnt(0)
	v_lshlrev_b32_e32 v3, 16, v3
	s_delay_alu instid0(VALU_DEP_1)
	v_cvt_f64_f32_e32 v[3:4], v3
	s_branch .LBB9_159
.LBB9_22:
	s_mov_b32 s2, 0
                                        ; implicit-def: $vgpr3_vgpr4
	s_cbranch_execnz .LBB9_225
.LBB9_23:
	s_and_not1_b32 vcc_lo, exec_lo, s2
	s_cbranch_vccnz .LBB9_272
.LBB9_24:
	s_waitcnt vmcnt(0)
	s_delay_alu instid0(VALU_DEP_1) | instskip(NEXT) | instid1(VALU_DEP_1)
	v_cmp_ge_f64_e64 s2, 0x40200000, |v[3:4]|
                                        ; implicit-def: $vgpr0_vgpr1
	s_and_saveexec_b32 s3, s2
	s_delay_alu instid0(SALU_CYCLE_1)
	s_xor_b32 s2, exec_lo, s3
	s_cbranch_execz .LBB9_30
; %bb.25:
	v_fma_f64 v[0:1], |v[3:4]|, 0.5, -2.0
	s_mov_b32 s34, 0xc38a0576
	s_mov_b32 s35, 0xbc7857d0
	;; [unrolled: 1-line block ×4, first 2 shown]
	s_mov_b32 s3, exec_lo
	s_delay_alu instid0(VALU_DEP_1) | instskip(SKIP_3) | instid1(VALU_DEP_1)
	v_fma_f64 v[5:6], v[0:1], s[38:39], s[34:35]
	s_mov_b32 s39, 0xbc499f2a
	s_mov_b32 s34, 0xe593bfac
	;; [unrolled: 1-line block ×3, first 2 shown]
	v_fma_f64 v[7:8], v[0:1], v[5:6], s[38:39]
	s_delay_alu instid0(VALU_DEP_1) | instskip(SKIP_2) | instid1(VALU_DEP_1)
	v_add_f64 v[7:8], v[7:8], s[34:35]
	s_mov_b32 s34, 0x7e0d1573
	s_mov_b32 s35, 0xbcd3eaaa
	v_fma_f64 v[5:6], v[0:1], v[7:8], -v[5:6]
	s_delay_alu instid0(VALU_DEP_1) | instskip(SKIP_2) | instid1(VALU_DEP_1)
	v_add_f64 v[5:6], v[5:6], s[34:35]
	s_mov_b32 s34, 0x615290c
	s_mov_b32 s35, 0x3d011d7f
	v_fma_f64 v[7:8], v[0:1], v[5:6], -v[7:8]
	;; [unrolled: 5-line block ×26, first 2 shown]
	s_delay_alu instid0(VALU_DEP_1) | instskip(NEXT) | instid1(VALU_DEP_1)
	v_add_f64 v[0:1], v[0:1], s[34:35]
	v_add_f64 v[5:6], v[0:1], -v[7:8]
                                        ; implicit-def: $vgpr0_vgpr1
	v_cmpx_ngt_f64_e32 0, v[3:4]
	s_xor_b32 s3, exec_lo, s3
	s_cbranch_execz .LBB9_27
; %bb.26:
	s_mov_b32 s34, 0x652b82fe
	s_mov_b32 s35, 0x3ff71547
	;; [unrolled: 1-line block ×3, first 2 shown]
	v_mul_f64 v[0:1], |v[3:4]|, s[34:35]
	s_mov_b32 s34, 0xfefa39ef
	s_mov_b32 s35, 0xbfe62e42
	;; [unrolled: 1-line block ×3, first 2 shown]
	s_delay_alu instid0(VALU_DEP_3) | instskip(SKIP_1) | instid1(VALU_DEP_3)
	v_mul_f64 v[5:6], v[5:6], 0.5
	v_cmp_nlt_f64_e64 vcc_lo, 0x40900000, |v[3:4]|
	v_rndne_f64_e32 v[0:1], v[0:1]
	s_delay_alu instid0(VALU_DEP_1) | instskip(SKIP_4) | instid1(VALU_DEP_3)
	v_fma_f64 v[7:8], v[0:1], s[34:35], |v[3:4]|
	s_mov_b32 s34, 0x3b39803f
	s_mov_b32 s35, 0xbc7abc9e
	v_cvt_i32_f64_e32 v13, v[0:1]
	v_mul_f64 v[3:4], |v[3:4]|, v[5:6]
                                        ; implicit-def: $vgpr5_vgpr6
	v_fma_f64 v[7:8], v[0:1], s[34:35], v[7:8]
	s_mov_b32 s34, 0xfca7ab0c
	s_mov_b32 s35, 0x3e928af3
	s_delay_alu instid0(VALU_DEP_1) | instid1(SALU_CYCLE_1)
	v_fma_f64 v[9:10], v[7:8], s[38:39], s[34:35]
	s_mov_b32 s34, 0x623fde64
	s_mov_b32 s35, 0x3ec71dee
	s_delay_alu instid0(VALU_DEP_1) | instid1(SALU_CYCLE_1)
	;; [unrolled: 4-line block ×9, first 2 shown]
	v_fma_f64 v[9:10], v[7:8], v[9:10], s[34:35]
	s_delay_alu instid0(VALU_DEP_1) | instskip(NEXT) | instid1(VALU_DEP_1)
	v_fma_f64 v[9:10], v[7:8], v[9:10], 1.0
	v_fma_f64 v[0:1], v[7:8], v[9:10], 1.0
	s_delay_alu instid0(VALU_DEP_1) | instskip(NEXT) | instid1(VALU_DEP_1)
	v_ldexp_f64 v[0:1], v[0:1], v13
	v_cndmask_b32_e32 v1, 0x7ff00000, v1, vcc_lo
	s_delay_alu instid0(VALU_DEP_2) | instskip(NEXT) | instid1(VALU_DEP_1)
	v_cndmask_b32_e32 v0, 0, v0, vcc_lo
	v_mul_f64 v[0:1], v[0:1], v[3:4]
                                        ; implicit-def: $vgpr3_vgpr4
.LBB9_27:
	s_and_not1_saveexec_b32 s3, s3
	s_cbranch_execz .LBB9_29
; %bb.28:
	s_mov_b32 s34, 0x652b82fe
	s_mov_b32 s35, 0x3ff71547
	;; [unrolled: 1-line block ×3, first 2 shown]
	v_mul_f64 v[0:1], |v[3:4]|, s[34:35]
	s_mov_b32 s34, 0xfefa39ef
	s_mov_b32 s35, 0xbfe62e42
	;; [unrolled: 1-line block ×3, first 2 shown]
	s_delay_alu instid0(VALU_DEP_3) | instskip(SKIP_1) | instid1(VALU_DEP_3)
	v_mul_f64 v[5:6], v[5:6], -0.5
	v_cmp_nlt_f64_e64 vcc_lo, 0x40900000, |v[3:4]|
	v_rndne_f64_e32 v[0:1], v[0:1]
	s_delay_alu instid0(VALU_DEP_1) | instskip(SKIP_4) | instid1(VALU_DEP_3)
	v_fma_f64 v[7:8], v[0:1], s[34:35], |v[3:4]|
	s_mov_b32 s34, 0x3b39803f
	s_mov_b32 s35, 0xbc7abc9e
	v_cvt_i32_f64_e32 v13, v[0:1]
	v_mul_f64 v[3:4], |v[3:4]|, v[5:6]
	v_fma_f64 v[7:8], v[0:1], s[34:35], v[7:8]
	s_mov_b32 s34, 0xfca7ab0c
	s_mov_b32 s35, 0x3e928af3
	s_delay_alu instid0(VALU_DEP_1) | instid1(SALU_CYCLE_1)
	v_fma_f64 v[9:10], v[7:8], s[38:39], s[34:35]
	s_mov_b32 s34, 0x623fde64
	s_mov_b32 s35, 0x3ec71dee
	s_delay_alu instid0(VALU_DEP_1) | instid1(SALU_CYCLE_1)
	;; [unrolled: 4-line block ×9, first 2 shown]
	v_fma_f64 v[9:10], v[7:8], v[9:10], s[34:35]
	s_delay_alu instid0(VALU_DEP_1) | instskip(NEXT) | instid1(VALU_DEP_1)
	v_fma_f64 v[9:10], v[7:8], v[9:10], 1.0
	v_fma_f64 v[0:1], v[7:8], v[9:10], 1.0
	s_delay_alu instid0(VALU_DEP_1) | instskip(NEXT) | instid1(VALU_DEP_1)
	v_ldexp_f64 v[0:1], v[0:1], v13
	v_cndmask_b32_e32 v1, 0x7ff00000, v1, vcc_lo
	s_delay_alu instid0(VALU_DEP_2) | instskip(NEXT) | instid1(VALU_DEP_1)
	v_cndmask_b32_e32 v0, 0, v0, vcc_lo
	v_mul_f64 v[0:1], v[0:1], v[3:4]
.LBB9_29:
	s_or_b32 exec_lo, exec_lo, s3
                                        ; implicit-def: $vgpr3_vgpr4
.LBB9_30:
	s_and_not1_saveexec_b32 s2, s2
	s_cbranch_execz .LBB9_36
; %bb.31:
	v_dual_mov_b32 v0, v3 :: v_dual_and_b32 v1, 0x7fffffff, v4
	s_mov_b32 s34, 0xea87b950
	s_mov_b32 s35, 0x3c545b8a
	;; [unrolled: 1-line block ×4, first 2 shown]
	v_div_scale_f64 v[5:6], null, v[0:1], v[0:1], 0x40400000
	v_div_scale_f64 v[0:1], vcc_lo, 0x40400000, v[0:1], 0x40400000
	s_mov_b32 s40, 0x94bb46c1
	s_mov_b32 s41, 0xbe5c4153
	s_mov_b32 s3, exec_lo
	s_delay_alu instid0(VALU_DEP_2) | instskip(SKIP_2) | instid1(VALU_DEP_1)
	v_rcp_f64_e32 v[7:8], v[5:6]
	s_waitcnt_depctr 0xfff
	v_fma_f64 v[9:10], -v[5:6], v[7:8], 1.0
	v_fma_f64 v[7:8], v[7:8], v[9:10], v[7:8]
	s_delay_alu instid0(VALU_DEP_1) | instskip(NEXT) | instid1(VALU_DEP_1)
	v_fma_f64 v[9:10], -v[5:6], v[7:8], 1.0
	v_fma_f64 v[7:8], v[7:8], v[9:10], v[7:8]
	s_delay_alu instid0(VALU_DEP_1) | instskip(NEXT) | instid1(VALU_DEP_1)
	v_mul_f64 v[9:10], v[0:1], v[7:8]
	v_fma_f64 v[0:1], -v[5:6], v[9:10], v[0:1]
	s_delay_alu instid0(VALU_DEP_1) | instskip(NEXT) | instid1(VALU_DEP_1)
	v_div_fmas_f64 v[0:1], v[0:1], v[7:8], v[9:10]
	v_div_fixup_f64 v[0:1], v[0:1], |v[3:4]|, 0x40400000
	s_delay_alu instid0(VALU_DEP_1) | instskip(NEXT) | instid1(VALU_DEP_1)
	v_add_f64 v[0:1], v[0:1], -2.0
	v_fma_f64 v[5:6], v[0:1], s[38:39], s[34:35]
	s_mov_b32 s39, 0xbc61556d
	s_mov_b32 s34, 0xb2532277
	;; [unrolled: 1-line block ×3, first 2 shown]
	s_delay_alu instid0(VALU_DEP_1) | instskip(SKIP_2) | instid1(VALU_DEP_1)
	v_fma_f64 v[7:8], v[0:1], v[5:6], s[38:39]
	s_mov_b32 s38, 0x5423dd80
	s_mov_b32 s39, 0xbe0334ca
	v_add_f64 v[7:8], v[7:8], s[34:35]
	s_mov_b32 s34, 0x9c773320
	s_mov_b32 s35, 0xbc82806c
	s_delay_alu instid0(VALU_DEP_1) | instskip(NEXT) | instid1(VALU_DEP_1)
	v_fma_f64 v[5:6], v[0:1], v[7:8], -v[5:6]
	v_add_f64 v[5:6], v[5:6], s[34:35]
	s_mov_b32 s34, 0xfceb588a
	s_mov_b32 s35, 0x3cb55915
	s_delay_alu instid0(VALU_DEP_1) | instskip(NEXT) | instid1(VALU_DEP_1)
	v_fma_f64 v[7:8], v[0:1], v[5:6], -v[7:8]
	;; [unrolled: 5-line block ×14, first 2 shown]
	v_add_f64 v[7:8], v[7:8], s[34:35]
	s_mov_b32 s34, 0x652b82fe
	s_mov_b32 s35, 0x3ff71547
	s_delay_alu instid0(SALU_CYCLE_1) | instskip(SKIP_2) | instid1(VALU_DEP_2)
	v_mul_f64 v[9:10], |v[3:4]|, s[34:35]
	s_mov_b32 s34, 0xfefa39ef
	s_mov_b32 s35, 0xbfe62e42
	v_fma_f64 v[5:6], v[0:1], v[7:8], -v[5:6]
	s_delay_alu instid0(VALU_DEP_2) | instskip(NEXT) | instid1(VALU_DEP_2)
	v_rndne_f64_e32 v[15:16], v[9:10]
	v_add_f64 v[5:6], v[5:6], s[38:39]
	s_mov_b32 s38, 0x9ad53528
	s_mov_b32 s39, 0xbe30790b
	s_delay_alu instid0(VALU_DEP_2) | instskip(SKIP_3) | instid1(VALU_DEP_3)
	v_fma_f64 v[9:10], v[15:16], s[34:35], |v[3:4]|
	s_mov_b32 s34, 0x3b39803f
	s_mov_b32 s35, 0xbc7abc9e
	v_cvt_i32_f64_e32 v13, v[15:16]
	v_fma_f64 v[7:8], v[0:1], v[5:6], -v[7:8]
	s_delay_alu instid0(VALU_DEP_3) | instskip(SKIP_2) | instid1(VALU_DEP_2)
	v_fma_f64 v[9:10], v[15:16], s[34:35], v[9:10]
	s_mov_b32 s34, 0xfca7ab0c
	s_mov_b32 s35, 0x3e928af3
	v_add_f64 v[7:8], v[7:8], s[38:39]
	s_mov_b32 s38, 0x6a5dcb37
	s_mov_b32 s39, 0x3e5ade15
	s_delay_alu instid0(VALU_DEP_2) | instid1(SALU_CYCLE_1)
	v_fma_f64 v[17:18], v[9:10], s[38:39], s[34:35]
	s_mov_b32 s34, 0x623fde64
	s_mov_b32 s35, 0x3ec71dee
	;; [unrolled: 1-line block ×4, first 2 shown]
	s_delay_alu instid0(VALU_DEP_2) | instskip(NEXT) | instid1(VALU_DEP_2)
	v_fma_f64 v[5:6], v[0:1], v[7:8], -v[5:6]
	v_fma_f64 v[17:18], v[9:10], v[17:18], s[34:35]
	s_mov_b32 s34, 0x7c89e6b0
	s_mov_b32 s35, 0x3efa0199
	s_delay_alu instid0(VALU_DEP_2) | instskip(NEXT) | instid1(VALU_DEP_2)
	v_add_f64 v[5:6], v[5:6], s[40:41]
	v_fma_f64 v[17:18], v[9:10], v[17:18], s[34:35]
	s_mov_b32 s34, 0x14761f6e
	s_mov_b32 s35, 0x3f2a01a0
	s_delay_alu instid0(VALU_DEP_2) | instskip(NEXT) | instid1(VALU_DEP_2)
	v_fma_f64 v[7:8], v[0:1], v[5:6], -v[7:8]
	v_fma_f64 v[17:18], v[9:10], v[17:18], s[34:35]
	s_mov_b32 s34, 0x1852b7b0
	s_mov_b32 s35, 0x3f56c16c
	s_delay_alu instid0(VALU_DEP_2) | instskip(SKIP_2) | instid1(VALU_DEP_2)
	v_add_f64 v[7:8], v[7:8], s[38:39]
	s_mov_b32 s38, 0x49ca0373
	s_mov_b32 s39, 0xbed048df
	v_fma_f64 v[17:18], v[9:10], v[17:18], s[34:35]
	s_mov_b32 s34, 0x11122322
	s_mov_b32 s35, 0x3f811111
	s_delay_alu instid0(VALU_DEP_2) | instskip(NEXT) | instid1(VALU_DEP_1)
	v_fma_f64 v[5:6], v[0:1], v[7:8], -v[5:6]
	v_add_f64 v[19:20], v[5:6], s[38:39]
	s_delay_alu instid0(VALU_DEP_3) | instskip(SKIP_4) | instid1(VALU_DEP_2)
	v_fma_f64 v[5:6], v[9:10], v[17:18], s[34:35]
	s_mov_b32 s34, 0x555502a1
	s_mov_b32 s38, 0x804aa9a6
	;; [unrolled: 1-line block ×4, first 2 shown]
	v_fma_f64 v[7:8], v[0:1], v[19:20], -v[7:8]
	s_delay_alu instid0(VALU_DEP_2) | instskip(SKIP_2) | instid1(VALU_DEP_2)
	v_fma_f64 v[17:18], v[9:10], v[5:6], s[34:35]
	s_mov_b32 s34, 0x55555511
	s_mov_b32 s35, 0x3fc55555
	v_add_f64 v[5:6], v[7:8], s[38:39]
	s_delay_alu instid0(VALU_DEP_2) | instskip(SKIP_4) | instid1(VALU_DEP_2)
	v_fma_f64 v[7:8], v[9:10], v[17:18], s[34:35]
	s_mov_b32 s34, 11
	s_mov_b32 s38, 0x53fcdb4c
	;; [unrolled: 1-line block ×4, first 2 shown]
	v_fma_f64 v[17:18], v[0:1], v[5:6], -v[19:20]
	s_delay_alu instid0(VALU_DEP_2) | instskip(SKIP_2) | instid1(VALU_DEP_2)
	v_fma_f64 v[7:8], v[9:10], v[7:8], s[34:35]
	s_mov_b32 s34, 0xb55b1514
	s_mov_b32 s35, 0x3fe8ea18
	v_add_f64 v[17:18], v[17:18], s[38:39]
	s_delay_alu instid0(VALU_DEP_2) | instskip(NEXT) | instid1(VALU_DEP_2)
	v_fma_f64 v[7:8], v[9:10], v[7:8], 1.0
	v_fma_f64 v[0:1], v[0:1], v[17:18], -v[5:6]
	s_delay_alu instid0(VALU_DEP_2) | instskip(NEXT) | instid1(VALU_DEP_2)
	v_fma_f64 v[7:8], v[9:10], v[7:8], 1.0
	v_add_f64 v[9:10], v[0:1], s[34:35]
                                        ; implicit-def: $vgpr0_vgpr1
	v_cmpx_ngt_f64_e32 0, v[3:4]
	s_xor_b32 s3, exec_lo, s3
	s_cbranch_execz .LBB9_33
; %bb.32:
	v_cmp_gt_f64_e64 s23, 0x10000000, |v[3:4]|
	s_delay_alu instid0(VALU_DEP_4) | instskip(SKIP_2) | instid1(VALU_DEP_4)
	v_ldexp_f64 v[7:8], v[7:8], v13
	v_cmp_nlt_f64_e64 vcc_lo, 0x40900000, |v[3:4]|
	v_add_f64 v[5:6], v[9:10], -v[5:6]
                                        ; implicit-def: $vgpr13
	v_cndmask_b32_e64 v0, 0, 1, s23
	v_cndmask_b32_e64 v9, 0, 0xffffff80, s23
	v_cndmask_b32_e32 v8, 0x7ff00000, v8, vcc_lo
	s_delay_alu instid0(VALU_DEP_4) | instskip(NEXT) | instid1(VALU_DEP_4)
	v_mul_f64 v[5:6], v[5:6], 0.5
	v_dual_cndmask_b32 v7, 0, v7 :: v_dual_lshlrev_b32 v0, 8, v0
	s_delay_alu instid0(VALU_DEP_1) | instskip(NEXT) | instid1(VALU_DEP_2)
	v_ldexp_f64 v[0:1], |v[3:4]|, v0
	v_mul_f64 v[5:6], v[7:8], v[5:6]
	s_delay_alu instid0(VALU_DEP_2) | instskip(SKIP_4) | instid1(VALU_DEP_1)
	v_rsq_f64_e32 v[15:16], v[0:1]
	v_cmp_class_f64_e64 vcc_lo, v[0:1], 0x260
	s_waitcnt_depctr 0xfff
	v_mul_f64 v[17:18], v[0:1], v[15:16]
	v_mul_f64 v[15:16], v[15:16], 0.5
	v_fma_f64 v[19:20], -v[15:16], v[17:18], 0.5
	s_delay_alu instid0(VALU_DEP_1) | instskip(SKIP_1) | instid1(VALU_DEP_2)
	v_fma_f64 v[17:18], v[17:18], v[19:20], v[17:18]
	v_fma_f64 v[15:16], v[15:16], v[19:20], v[15:16]
	v_fma_f64 v[19:20], -v[17:18], v[17:18], v[0:1]
	s_delay_alu instid0(VALU_DEP_1) | instskip(NEXT) | instid1(VALU_DEP_1)
	v_fma_f64 v[17:18], v[19:20], v[15:16], v[17:18]
	v_fma_f64 v[19:20], -v[17:18], v[17:18], v[0:1]
	s_delay_alu instid0(VALU_DEP_1) | instskip(NEXT) | instid1(VALU_DEP_1)
	v_fma_f64 v[3:4], v[19:20], v[15:16], v[17:18]
	v_ldexp_f64 v[3:4], v[3:4], v9
	s_delay_alu instid0(VALU_DEP_1) | instskip(NEXT) | instid1(VALU_DEP_1)
	v_dual_cndmask_b32 v1, v4, v1 :: v_dual_cndmask_b32 v0, v3, v0
	v_div_scale_f64 v[3:4], null, v[0:1], v[0:1], v[5:6]
	s_delay_alu instid0(VALU_DEP_1) | instskip(SKIP_2) | instid1(VALU_DEP_1)
	v_rcp_f64_e32 v[7:8], v[3:4]
	s_waitcnt_depctr 0xfff
	v_fma_f64 v[9:10], -v[3:4], v[7:8], 1.0
	v_fma_f64 v[7:8], v[7:8], v[9:10], v[7:8]
	s_delay_alu instid0(VALU_DEP_1) | instskip(NEXT) | instid1(VALU_DEP_1)
	v_fma_f64 v[9:10], -v[3:4], v[7:8], 1.0
	v_fma_f64 v[7:8], v[7:8], v[9:10], v[7:8]
	v_div_scale_f64 v[9:10], vcc_lo, v[5:6], v[0:1], v[5:6]
	s_delay_alu instid0(VALU_DEP_1) | instskip(NEXT) | instid1(VALU_DEP_1)
	v_mul_f64 v[15:16], v[9:10], v[7:8]
	v_fma_f64 v[3:4], -v[3:4], v[15:16], v[9:10]
                                        ; implicit-def: $vgpr9_vgpr10
	s_delay_alu instid0(VALU_DEP_1) | instskip(NEXT) | instid1(VALU_DEP_1)
	v_div_fmas_f64 v[3:4], v[3:4], v[7:8], v[15:16]
                                        ; implicit-def: $vgpr7_vgpr8
	v_div_fixup_f64 v[0:1], v[3:4], v[0:1], v[5:6]
                                        ; implicit-def: $vgpr5_vgpr6
                                        ; implicit-def: $vgpr3_vgpr4
.LBB9_33:
	s_and_not1_saveexec_b32 s3, s3
	s_cbranch_execz .LBB9_35
; %bb.34:
	v_cmp_gt_f64_e64 s23, 0x10000000, |v[3:4]|
	s_delay_alu instid0(VALU_DEP_4) | instskip(SKIP_2) | instid1(VALU_DEP_4)
	v_ldexp_f64 v[7:8], -v[7:8], v13
	v_cmp_nlt_f64_e64 vcc_lo, 0x40900000, |v[3:4]|
	v_add_f64 v[5:6], v[9:10], -v[5:6]
	v_cndmask_b32_e64 v0, 0, 1, s23
	v_cndmask_b32_e64 v9, 0, 0xffffff80, s23
	v_cndmask_b32_e32 v8, 0xfff00000, v8, vcc_lo
	s_delay_alu instid0(VALU_DEP_4) | instskip(NEXT) | instid1(VALU_DEP_4)
	v_mul_f64 v[5:6], v[5:6], 0.5
	v_dual_cndmask_b32 v7, 0, v7 :: v_dual_lshlrev_b32 v0, 8, v0
	s_delay_alu instid0(VALU_DEP_1) | instskip(NEXT) | instid1(VALU_DEP_2)
	v_ldexp_f64 v[0:1], |v[3:4]|, v0
	v_mul_f64 v[5:6], v[7:8], v[5:6]
	s_delay_alu instid0(VALU_DEP_2) | instskip(SKIP_4) | instid1(VALU_DEP_1)
	v_rsq_f64_e32 v[15:16], v[0:1]
	v_cmp_class_f64_e64 vcc_lo, v[0:1], 0x260
	s_waitcnt_depctr 0xfff
	v_mul_f64 v[17:18], v[0:1], v[15:16]
	v_mul_f64 v[15:16], v[15:16], 0.5
	v_fma_f64 v[19:20], -v[15:16], v[17:18], 0.5
	s_delay_alu instid0(VALU_DEP_1) | instskip(SKIP_1) | instid1(VALU_DEP_2)
	v_fma_f64 v[17:18], v[17:18], v[19:20], v[17:18]
	v_fma_f64 v[15:16], v[15:16], v[19:20], v[15:16]
	v_fma_f64 v[19:20], -v[17:18], v[17:18], v[0:1]
	s_delay_alu instid0(VALU_DEP_1) | instskip(NEXT) | instid1(VALU_DEP_1)
	v_fma_f64 v[17:18], v[19:20], v[15:16], v[17:18]
	v_fma_f64 v[19:20], -v[17:18], v[17:18], v[0:1]
	s_delay_alu instid0(VALU_DEP_1) | instskip(NEXT) | instid1(VALU_DEP_1)
	v_fma_f64 v[3:4], v[19:20], v[15:16], v[17:18]
	v_ldexp_f64 v[3:4], v[3:4], v9
	s_delay_alu instid0(VALU_DEP_1) | instskip(NEXT) | instid1(VALU_DEP_1)
	v_dual_cndmask_b32 v1, v4, v1 :: v_dual_cndmask_b32 v0, v3, v0
	v_div_scale_f64 v[3:4], null, v[0:1], v[0:1], v[5:6]
	s_delay_alu instid0(VALU_DEP_1) | instskip(SKIP_2) | instid1(VALU_DEP_1)
	v_rcp_f64_e32 v[7:8], v[3:4]
	s_waitcnt_depctr 0xfff
	v_fma_f64 v[9:10], -v[3:4], v[7:8], 1.0
	v_fma_f64 v[7:8], v[7:8], v[9:10], v[7:8]
	s_delay_alu instid0(VALU_DEP_1) | instskip(NEXT) | instid1(VALU_DEP_1)
	v_fma_f64 v[9:10], -v[3:4], v[7:8], 1.0
	v_fma_f64 v[7:8], v[7:8], v[9:10], v[7:8]
	v_div_scale_f64 v[9:10], vcc_lo, v[5:6], v[0:1], v[5:6]
	s_delay_alu instid0(VALU_DEP_1) | instskip(NEXT) | instid1(VALU_DEP_1)
	v_mul_f64 v[15:16], v[9:10], v[7:8]
	v_fma_f64 v[3:4], -v[3:4], v[15:16], v[9:10]
	s_delay_alu instid0(VALU_DEP_1) | instskip(NEXT) | instid1(VALU_DEP_1)
	v_div_fmas_f64 v[3:4], v[3:4], v[7:8], v[15:16]
	v_div_fixup_f64 v[0:1], v[3:4], v[0:1], v[5:6]
.LBB9_35:
	s_or_b32 exec_lo, exec_lo, s3
.LBB9_36:
	s_delay_alu instid0(SALU_CYCLE_1) | instskip(SKIP_2) | instid1(VALU_DEP_1)
	s_or_b32 exec_lo, exec_lo, s2
	v_and_b32_e32 v6, 0xff, v11
	v_add_co_u32 v4, s3, s4, v2
	v_add_co_ci_u32_e64 v5, null, s5, 0, s3
	s_delay_alu instid0(VALU_DEP_3)
	v_cmp_gt_i16_e32 vcc_lo, 11, v6
	s_mov_b32 s2, 0
	s_mov_b32 s23, -1
	s_mov_b32 s3, 0
	s_cbranch_vccnz .LBB9_113
; %bb.37:
	v_cmp_lt_i16_e32 vcc_lo, 25, v6
	s_cbranch_vccz .LBB9_70
; %bb.38:
	v_cmp_lt_i16_e32 vcc_lo, 28, v6
	s_cbranch_vccz .LBB9_53
	;; [unrolled: 3-line block ×4, first 2 shown]
; %bb.41:
	v_cmp_eq_u16_e32 vcc_lo, 46, v6
	s_mov_b32 s23, 0
	s_mov_b32 s2, -1
	s_cbranch_vccz .LBB9_43
; %bb.42:
	v_cvt_f32_f64_e32 v2, v[0:1]
	s_mov_b32 s3, -1
	s_mov_b32 s2, 0
	s_delay_alu instid0(VALU_DEP_1) | instskip(SKIP_1) | instid1(VALU_DEP_2)
	v_bfe_u32 v3, v2, 16, 1
	v_cmp_o_f32_e32 vcc_lo, v2, v2
	v_add3_u32 v3, v2, v3, 0x7fff
	s_delay_alu instid0(VALU_DEP_1) | instskip(NEXT) | instid1(VALU_DEP_1)
	v_lshrrev_b32_e32 v3, 16, v3
	v_cndmask_b32_e32 v2, 0x7fc0, v3, vcc_lo
	global_store_b32 v[4:5], v2, off
.LBB9_43:
	s_and_b32 vcc_lo, exec_lo, s23
	s_cbranch_vccz .LBB9_48
; %bb.44:
	v_cmp_eq_u16_e32 vcc_lo, 44, v6
	s_mov_b32 s2, -1
	s_cbranch_vccz .LBB9_48
; %bb.45:
	v_cvt_f32_f64_e32 v2, v[0:1]
	v_mov_b32_e32 v3, 0xff
	s_mov_b32 s3, exec_lo
	s_delay_alu instid0(VALU_DEP_2) | instskip(NEXT) | instid1(VALU_DEP_1)
	v_bfe_u32 v7, v2, 23, 8
	v_cmpx_ne_u32_e32 0xff, v7
; %bb.46:
	v_and_b32_e32 v3, 0x400000, v2
	v_and_or_b32 v7, 0x3fffff, v2, v7
	v_lshrrev_b32_e32 v2, 23, v2
	s_delay_alu instid0(VALU_DEP_3) | instskip(NEXT) | instid1(VALU_DEP_3)
	v_cmp_ne_u32_e32 vcc_lo, 0, v3
	v_cmp_ne_u32_e64 s2, 0, v7
	s_delay_alu instid0(VALU_DEP_1) | instskip(NEXT) | instid1(SALU_CYCLE_1)
	s_and_b32 s2, vcc_lo, s2
	v_cndmask_b32_e64 v3, 0, 1, s2
	s_delay_alu instid0(VALU_DEP_1)
	v_add_nc_u32_e32 v3, v2, v3
; %bb.47:
	s_or_b32 exec_lo, exec_lo, s3
	s_mov_b32 s3, -1
	s_mov_b32 s2, 0
	global_store_b8 v[4:5], v3, off
.LBB9_48:
	s_mov_b32 s23, 0
.LBB9_49:
	s_delay_alu instid0(SALU_CYCLE_1)
	s_and_b32 vcc_lo, exec_lo, s23
	s_cbranch_vccz .LBB9_52
; %bb.50:
	v_cmp_eq_u16_e32 vcc_lo, 29, v6
	s_mov_b32 s2, -1
	s_cbranch_vccz .LBB9_52
; %bb.51:
	v_trunc_f64_e32 v[2:3], v[0:1]
	s_mov_b32 s3, -1
	s_mov_b32 s2, 0
	s_delay_alu instid0(VALU_DEP_1) | instskip(NEXT) | instid1(VALU_DEP_1)
	v_ldexp_f64 v[7:8], v[2:3], 0xffffffe0
	v_floor_f64_e32 v[7:8], v[7:8]
	s_delay_alu instid0(VALU_DEP_1) | instskip(SKIP_1) | instid1(VALU_DEP_2)
	v_fma_f64 v[2:3], 0xc1f00000, v[7:8], v[2:3]
	v_cvt_u32_f64_e32 v8, v[7:8]
	v_cvt_u32_f64_e32 v7, v[2:3]
	global_store_b64 v[4:5], v[7:8], off
.LBB9_52:
	s_mov_b32 s23, 0
.LBB9_53:
	s_delay_alu instid0(SALU_CYCLE_1)
	s_and_b32 vcc_lo, exec_lo, s23
	s_cbranch_vccz .LBB9_69
; %bb.54:
	v_cmp_gt_i16_e32 vcc_lo, 27, v6
	s_mov_b32 s3, -1
	s_cbranch_vccnz .LBB9_60
; %bb.55:
	v_cmp_lt_i16_e32 vcc_lo, 27, v6
	s_cbranch_vccz .LBB9_57
; %bb.56:
	v_cvt_u32_f64_e32 v2, v[0:1]
	s_mov_b32 s3, 0
	global_store_b32 v[4:5], v2, off
.LBB9_57:
	s_and_not1_b32 vcc_lo, exec_lo, s3
	s_cbranch_vccnz .LBB9_59
; %bb.58:
	v_cvt_u32_f64_e32 v2, v[0:1]
	global_store_b16 v[4:5], v2, off
.LBB9_59:
	s_mov_b32 s3, 0
.LBB9_60:
	s_delay_alu instid0(SALU_CYCLE_1)
	s_and_not1_b32 vcc_lo, exec_lo, s3
	s_cbranch_vccnz .LBB9_68
; %bb.61:
	v_cvt_f32_f64_e32 v2, v[0:1]
	v_mov_b32_e32 v7, 0x80
	s_mov_b32 s3, exec_lo
	s_delay_alu instid0(VALU_DEP_2) | instskip(NEXT) | instid1(VALU_DEP_1)
	v_and_b32_e32 v3, 0x7fffffff, v2
	v_cmpx_gt_u32_e32 0x43800000, v3
	s_cbranch_execz .LBB9_67
; %bb.62:
	v_cmp_lt_u32_e32 vcc_lo, 0x3bffffff, v3
	s_mov_b32 s23, 0
                                        ; implicit-def: $vgpr3
	s_and_saveexec_b32 s34, vcc_lo
	s_delay_alu instid0(SALU_CYCLE_1)
	s_xor_b32 s34, exec_lo, s34
	s_cbranch_execz .LBB9_162
; %bb.63:
	v_bfe_u32 v3, v2, 20, 1
	s_mov_b32 s23, exec_lo
	s_delay_alu instid0(VALU_DEP_1) | instskip(NEXT) | instid1(VALU_DEP_1)
	v_add3_u32 v3, v2, v3, 0x487ffff
	v_lshrrev_b32_e32 v3, 20, v3
	s_or_saveexec_b32 s34, s34
                                        ; implicit-def: $sgpr35
	s_delay_alu instid0(SALU_CYCLE_1)
	s_xor_b32 exec_lo, exec_lo, s34
	s_cbranch_execnz .LBB9_163
.LBB9_64:
	s_or_b32 exec_lo, exec_lo, s34
	v_mov_b32_e32 v7, s35
	s_and_saveexec_b32 s34, s23
.LBB9_65:
	v_lshrrev_b32_e32 v2, 24, v2
	s_delay_alu instid0(VALU_DEP_1)
	v_and_or_b32 v7, 0x80, v2, v3
.LBB9_66:
	s_or_b32 exec_lo, exec_lo, s34
.LBB9_67:
	s_delay_alu instid0(SALU_CYCLE_1)
	s_or_b32 exec_lo, exec_lo, s3
	global_store_b8 v[4:5], v7, off
.LBB9_68:
	s_mov_b32 s3, -1
.LBB9_69:
	s_mov_b32 s23, 0
.LBB9_70:
	s_delay_alu instid0(SALU_CYCLE_1)
	s_and_b32 vcc_lo, exec_lo, s23
	s_cbranch_vccz .LBB9_111
; %bb.71:
	v_cmp_lt_i16_e32 vcc_lo, 22, v6
	s_mov_b32 s23, -1
	s_cbranch_vccz .LBB9_103
; %bb.72:
	v_cmp_gt_i16_e32 vcc_lo, 24, v6
	s_mov_b32 s3, -1
	s_cbranch_vccnz .LBB9_92
; %bb.73:
	v_cmp_lt_i16_e32 vcc_lo, 24, v6
	s_cbranch_vccz .LBB9_81
; %bb.74:
	v_cvt_f32_f64_e32 v2, v[0:1]
	v_mov_b32_e32 v7, 0x80
	s_mov_b32 s3, exec_lo
	s_delay_alu instid0(VALU_DEP_2) | instskip(NEXT) | instid1(VALU_DEP_1)
	v_and_b32_e32 v3, 0x7fffffff, v2
	v_cmpx_gt_u32_e32 0x47800000, v3
	s_cbranch_execz .LBB9_80
; %bb.75:
	v_cmp_lt_u32_e32 vcc_lo, 0x37ffffff, v3
	s_mov_b32 s23, 0
                                        ; implicit-def: $vgpr3
	s_and_saveexec_b32 s34, vcc_lo
	s_delay_alu instid0(SALU_CYCLE_1)
	s_xor_b32 s34, exec_lo, s34
	s_cbranch_execz .LBB9_365
; %bb.76:
	v_bfe_u32 v3, v2, 21, 1
	s_mov_b32 s23, exec_lo
	s_delay_alu instid0(VALU_DEP_1) | instskip(NEXT) | instid1(VALU_DEP_1)
	v_add3_u32 v3, v2, v3, 0x88fffff
	v_lshrrev_b32_e32 v3, 21, v3
	s_or_saveexec_b32 s34, s34
                                        ; implicit-def: $sgpr35
	s_delay_alu instid0(SALU_CYCLE_1)
	s_xor_b32 exec_lo, exec_lo, s34
	s_cbranch_execnz .LBB9_366
.LBB9_77:
	s_or_b32 exec_lo, exec_lo, s34
	v_mov_b32_e32 v7, s35
	s_and_saveexec_b32 s34, s23
.LBB9_78:
	v_lshrrev_b32_e32 v2, 24, v2
	s_delay_alu instid0(VALU_DEP_1)
	v_and_or_b32 v7, 0x80, v2, v3
.LBB9_79:
	s_or_b32 exec_lo, exec_lo, s34
.LBB9_80:
	s_delay_alu instid0(SALU_CYCLE_1)
	s_or_b32 exec_lo, exec_lo, s3
	s_mov_b32 s3, 0
	global_store_b8 v[4:5], v7, off
.LBB9_81:
	s_and_b32 vcc_lo, exec_lo, s3
	s_cbranch_vccz .LBB9_91
; %bb.82:
	v_cvt_f32_f64_e32 v2, v[0:1]
	s_mov_b32 s3, exec_lo
                                        ; implicit-def: $vgpr3
	s_delay_alu instid0(VALU_DEP_1) | instskip(NEXT) | instid1(VALU_DEP_1)
	v_and_b32_e32 v7, 0x7fffffff, v2
	v_cmpx_gt_u32_e32 0x43f00000, v7
	s_xor_b32 s3, exec_lo, s3
	s_cbranch_execz .LBB9_88
; %bb.83:
	s_mov_b32 s23, exec_lo
                                        ; implicit-def: $vgpr3
	v_cmpx_lt_u32_e32 0x3c7fffff, v7
	s_xor_b32 s23, exec_lo, s23
; %bb.84:
	v_bfe_u32 v3, v2, 20, 1
	s_delay_alu instid0(VALU_DEP_1) | instskip(NEXT) | instid1(VALU_DEP_1)
	v_add3_u32 v3, v2, v3, 0x407ffff
	v_and_b32_e32 v7, 0xff00000, v3
	v_lshrrev_b32_e32 v3, 20, v3
	s_delay_alu instid0(VALU_DEP_2) | instskip(NEXT) | instid1(VALU_DEP_2)
	v_cmp_ne_u32_e32 vcc_lo, 0x7f00000, v7
	v_cndmask_b32_e32 v3, 0x7e, v3, vcc_lo
; %bb.85:
	s_and_not1_saveexec_b32 s23, s23
; %bb.86:
	v_add_f32_e64 v3, 0x46800000, |v2|
; %bb.87:
	s_or_b32 exec_lo, exec_lo, s23
                                        ; implicit-def: $vgpr7
.LBB9_88:
	s_and_not1_saveexec_b32 s3, s3
; %bb.89:
	v_mov_b32_e32 v3, 0x7f
	v_cmp_lt_u32_e32 vcc_lo, 0x7f800000, v7
	s_delay_alu instid0(VALU_DEP_2)
	v_cndmask_b32_e32 v3, 0x7e, v3, vcc_lo
; %bb.90:
	s_or_b32 exec_lo, exec_lo, s3
	v_lshrrev_b32_e32 v2, 24, v2
	s_delay_alu instid0(VALU_DEP_1)
	v_and_or_b32 v2, 0x80, v2, v3
	global_store_b8 v[4:5], v2, off
.LBB9_91:
	s_mov_b32 s3, 0
.LBB9_92:
	s_delay_alu instid0(SALU_CYCLE_1)
	s_and_not1_b32 vcc_lo, exec_lo, s3
	s_cbranch_vccnz .LBB9_102
; %bb.93:
	v_cvt_f32_f64_e32 v2, v[0:1]
	s_mov_b32 s3, exec_lo
                                        ; implicit-def: $vgpr3
	s_delay_alu instid0(VALU_DEP_1) | instskip(NEXT) | instid1(VALU_DEP_1)
	v_and_b32_e32 v7, 0x7fffffff, v2
	v_cmpx_gt_u32_e32 0x47800000, v7
	s_xor_b32 s3, exec_lo, s3
	s_cbranch_execz .LBB9_99
; %bb.94:
	s_mov_b32 s23, exec_lo
                                        ; implicit-def: $vgpr3
	v_cmpx_lt_u32_e32 0x387fffff, v7
	s_xor_b32 s23, exec_lo, s23
; %bb.95:
	v_bfe_u32 v3, v2, 21, 1
	s_delay_alu instid0(VALU_DEP_1) | instskip(NEXT) | instid1(VALU_DEP_1)
	v_add3_u32 v3, v2, v3, 0x80fffff
	v_lshrrev_b32_e32 v3, 21, v3
; %bb.96:
	s_and_not1_saveexec_b32 s23, s23
; %bb.97:
	v_add_f32_e64 v3, 0x43000000, |v2|
; %bb.98:
	s_or_b32 exec_lo, exec_lo, s23
                                        ; implicit-def: $vgpr7
.LBB9_99:
	s_and_not1_saveexec_b32 s3, s3
; %bb.100:
	v_mov_b32_e32 v3, 0x7f
	v_cmp_lt_u32_e32 vcc_lo, 0x7f800000, v7
	s_delay_alu instid0(VALU_DEP_2)
	v_cndmask_b32_e32 v3, 0x7c, v3, vcc_lo
; %bb.101:
	s_or_b32 exec_lo, exec_lo, s3
	v_lshrrev_b32_e32 v2, 24, v2
	s_delay_alu instid0(VALU_DEP_1)
	v_and_or_b32 v2, 0x80, v2, v3
	global_store_b8 v[4:5], v2, off
.LBB9_102:
	s_mov_b32 s23, 0
	s_mov_b32 s3, -1
.LBB9_103:
	s_and_not1_b32 vcc_lo, exec_lo, s23
	s_cbranch_vccnz .LBB9_111
; %bb.104:
	v_cmp_lt_i16_e32 vcc_lo, 14, v6
	s_mov_b32 s23, -1
	s_cbranch_vccz .LBB9_108
; %bb.105:
	v_cmp_eq_u16_e32 vcc_lo, 15, v6
	s_mov_b32 s2, -1
	s_cbranch_vccz .LBB9_107
; %bb.106:
	v_cvt_f32_f64_e32 v2, v[0:1]
	s_mov_b32 s3, -1
	s_mov_b32 s2, 0
	s_delay_alu instid0(VALU_DEP_1) | instskip(SKIP_1) | instid1(VALU_DEP_2)
	v_bfe_u32 v3, v2, 16, 1
	v_cmp_o_f32_e32 vcc_lo, v2, v2
	v_add3_u32 v3, v2, v3, 0x7fff
	s_delay_alu instid0(VALU_DEP_1) | instskip(NEXT) | instid1(VALU_DEP_1)
	v_lshrrev_b32_e32 v3, 16, v3
	v_cndmask_b32_e32 v2, 0x7fc0, v3, vcc_lo
	global_store_b16 v[4:5], v2, off
.LBB9_107:
	s_mov_b32 s23, 0
.LBB9_108:
	s_delay_alu instid0(SALU_CYCLE_1)
	s_and_b32 vcc_lo, exec_lo, s23
	s_cbranch_vccz .LBB9_111
; %bb.109:
	v_cmp_eq_u16_e32 vcc_lo, 11, v6
	s_mov_b32 s2, -1
	s_cbranch_vccz .LBB9_111
; %bb.110:
	v_cmp_neq_f64_e32 vcc_lo, 0, v[0:1]
	s_mov_b32 s3, -1
	s_mov_b32 s2, 0
	v_cndmask_b32_e64 v2, 0, 1, vcc_lo
	global_store_b8 v[4:5], v2, off
.LBB9_111:
.LBB9_112:
	s_and_not1_b32 vcc_lo, exec_lo, s3
	s_cbranch_vccz .LBB9_152
	s_branch .LBB9_273
.LBB9_113:
	s_and_b32 vcc_lo, exec_lo, s23
	s_cbranch_vccz .LBB9_112
; %bb.114:
	v_cmp_gt_i16_e32 vcc_lo, 5, v6
	s_mov_b32 s3, -1
	s_cbranch_vccnz .LBB9_135
; %bb.115:
	v_cmp_gt_i16_e32 vcc_lo, 8, v6
	s_cbranch_vccnz .LBB9_125
; %bb.116:
	v_cmp_gt_i16_e32 vcc_lo, 9, v6
	s_cbranch_vccnz .LBB9_122
; %bb.117:
	v_cmp_lt_i16_e32 vcc_lo, 9, v6
	s_cbranch_vccz .LBB9_119
; %bb.118:
	v_mov_b32_e32 v2, 0
	s_mov_b32 s3, 0
	s_delay_alu instid0(VALU_DEP_1)
	v_mov_b32_e32 v3, v2
	global_store_b128 v[4:5], v[0:3], off
.LBB9_119:
	s_and_not1_b32 vcc_lo, exec_lo, s3
	s_cbranch_vccnz .LBB9_121
; %bb.120:
	v_cvt_f32_f64_e32 v2, v[0:1]
	v_mov_b32_e32 v3, 0
	global_store_b64 v[4:5], v[2:3], off
.LBB9_121:
	s_mov_b32 s3, 0
.LBB9_122:
	s_delay_alu instid0(SALU_CYCLE_1)
	s_and_not1_b32 vcc_lo, exec_lo, s3
	s_cbranch_vccnz .LBB9_124
; %bb.123:
	v_cvt_f32_f64_e32 v2, v[0:1]
	s_delay_alu instid0(VALU_DEP_1) | instskip(NEXT) | instid1(VALU_DEP_1)
	v_cvt_f16_f32_e32 v2, v2
	v_and_b32_e32 v2, 0xffff, v2
	global_store_b32 v[4:5], v2, off
.LBB9_124:
	s_mov_b32 s3, 0
.LBB9_125:
	s_delay_alu instid0(SALU_CYCLE_1)
	s_and_not1_b32 vcc_lo, exec_lo, s3
	s_cbranch_vccnz .LBB9_134
; %bb.126:
	v_cmp_gt_i16_e32 vcc_lo, 6, v6
	s_mov_b32 s3, -1
	s_cbranch_vccnz .LBB9_132
; %bb.127:
	v_cmp_lt_i16_e32 vcc_lo, 6, v6
	s_cbranch_vccz .LBB9_129
; %bb.128:
	s_mov_b32 s3, 0
	global_store_b64 v[4:5], v[0:1], off
.LBB9_129:
	s_and_not1_b32 vcc_lo, exec_lo, s3
	s_cbranch_vccnz .LBB9_131
; %bb.130:
	v_cvt_f32_f64_e32 v2, v[0:1]
	global_store_b32 v[4:5], v2, off
.LBB9_131:
	s_mov_b32 s3, 0
.LBB9_132:
	s_delay_alu instid0(SALU_CYCLE_1)
	s_and_not1_b32 vcc_lo, exec_lo, s3
	s_cbranch_vccnz .LBB9_134
; %bb.133:
	v_cvt_f32_f64_e32 v2, v[0:1]
	s_delay_alu instid0(VALU_DEP_1)
	v_cvt_f16_f32_e32 v2, v2
	global_store_b16 v[4:5], v2, off
.LBB9_134:
	s_mov_b32 s3, 0
.LBB9_135:
	s_delay_alu instid0(SALU_CYCLE_1)
	s_and_not1_b32 vcc_lo, exec_lo, s3
	s_cbranch_vccnz .LBB9_151
; %bb.136:
	v_cmp_gt_i16_e32 vcc_lo, 2, v6
	s_mov_b32 s3, -1
	s_cbranch_vccnz .LBB9_146
; %bb.137:
	v_cmp_gt_i16_e32 vcc_lo, 3, v6
	s_cbranch_vccnz .LBB9_143
; %bb.138:
	v_cmp_lt_i16_e32 vcc_lo, 3, v6
	s_cbranch_vccz .LBB9_140
; %bb.139:
	v_trunc_f64_e32 v[2:3], v[0:1]
	s_mov_b32 s3, 0
	s_delay_alu instid0(VALU_DEP_1) | instskip(NEXT) | instid1(VALU_DEP_1)
	v_ldexp_f64 v[7:8], v[2:3], 0xffffffe0
	v_floor_f64_e32 v[7:8], v[7:8]
	s_delay_alu instid0(VALU_DEP_1) | instskip(SKIP_1) | instid1(VALU_DEP_2)
	v_fma_f64 v[2:3], 0xc1f00000, v[7:8], v[2:3]
	v_cvt_i32_f64_e32 v8, v[7:8]
	v_cvt_u32_f64_e32 v7, v[2:3]
	global_store_b64 v[4:5], v[7:8], off
.LBB9_140:
	s_and_not1_b32 vcc_lo, exec_lo, s3
	s_cbranch_vccnz .LBB9_142
; %bb.141:
	v_cvt_i32_f64_e32 v2, v[0:1]
	global_store_b32 v[4:5], v2, off
.LBB9_142:
	s_mov_b32 s3, 0
.LBB9_143:
	s_delay_alu instid0(SALU_CYCLE_1)
	s_and_not1_b32 vcc_lo, exec_lo, s3
	s_cbranch_vccnz .LBB9_145
; %bb.144:
	v_cvt_i32_f64_e32 v2, v[0:1]
	global_store_b16 v[4:5], v2, off
.LBB9_145:
	s_mov_b32 s3, 0
.LBB9_146:
	s_delay_alu instid0(SALU_CYCLE_1)
	s_and_not1_b32 vcc_lo, exec_lo, s3
	s_cbranch_vccnz .LBB9_151
; %bb.147:
	v_cmp_lt_i16_e32 vcc_lo, 0, v6
	s_mov_b32 s3, -1
	s_cbranch_vccz .LBB9_149
; %bb.148:
	v_cvt_i32_f64_e32 v2, v[0:1]
	s_mov_b32 s3, 0
	global_store_b8 v[4:5], v2, off
.LBB9_149:
	s_and_not1_b32 vcc_lo, exec_lo, s3
	s_cbranch_vccnz .LBB9_151
; %bb.150:
	v_trunc_f64_e32 v[0:1], v[0:1]
	s_delay_alu instid0(VALU_DEP_1) | instskip(NEXT) | instid1(VALU_DEP_1)
	v_ldexp_f64 v[2:3], v[0:1], 0xffffffe0
	v_floor_f64_e32 v[2:3], v[2:3]
	s_delay_alu instid0(VALU_DEP_1) | instskip(NEXT) | instid1(VALU_DEP_1)
	v_fma_f64 v[0:1], 0xc1f00000, v[2:3], v[0:1]
	v_cvt_u32_f64_e32 v0, v[0:1]
	global_store_b8 v[4:5], v0, off
.LBB9_151:
.LBB9_152:
	v_add_nc_u32_e32 v14, 0x80, v14
	s_mov_b32 s3, -1
	s_branch .LBB9_274
.LBB9_153:
	s_mov_b32 s2, 0
                                        ; implicit-def: $vgpr3_vgpr4
	s_cbranch_execnz .LBB9_192
	s_branch .LBB9_224
.LBB9_154:
	s_mov_b32 s3, -1
	s_mov_b32 s2, 0
                                        ; implicit-def: $vgpr3_vgpr4
	s_branch .LBB9_171
.LBB9_155:
	s_mov_b32 s3, -1
	s_mov_b32 s2, 0
                                        ; implicit-def: $vgpr3_vgpr4
	s_branch .LBB9_166
.LBB9_156:
	s_mov_b32 s3, -1
	s_branch .LBB9_158
.LBB9_157:
	s_mov_b32 s22, -1
.LBB9_158:
	s_mov_b32 s2, 0
                                        ; implicit-def: $vgpr3_vgpr4
.LBB9_159:
	s_and_b32 vcc_lo, exec_lo, s3
	s_cbranch_vccz .LBB9_165
; %bb.160:
	v_cmp_eq_u16_e32 vcc_lo, 44, v12
	s_cbranch_vccz .LBB9_164
; %bb.161:
	global_load_u8 v5, v[0:1], off
	s_mov_b32 s22, 0
	s_mov_b32 s2, -1
	s_waitcnt vmcnt(0)
	v_cmp_ne_u32_e32 vcc_lo, 0xff, v5
	v_lshlrev_b32_e32 v3, 23, v5
	s_delay_alu instid0(VALU_DEP_1) | instskip(NEXT) | instid1(VALU_DEP_1)
	v_cvt_f64_f32_e32 v[3:4], v3
	v_cndmask_b32_e32 v4, 0x7ff80000, v4, vcc_lo
	s_delay_alu instid0(VALU_DEP_2) | instskip(SKIP_1) | instid1(VALU_DEP_3)
	v_cndmask_b32_e32 v3, 0x20000000, v3, vcc_lo
	v_cmp_ne_u32_e32 vcc_lo, 0, v5
	v_cndmask_b32_e32 v4, 0x38000000, v4, vcc_lo
	s_delay_alu instid0(VALU_DEP_3)
	v_cndmask_b32_e32 v3, 0, v3, vcc_lo
	s_branch .LBB9_165
.LBB9_162:
	s_or_saveexec_b32 s34, s34
                                        ; implicit-def: $sgpr35
	s_delay_alu instid0(SALU_CYCLE_1)
	s_xor_b32 exec_lo, exec_lo, s34
	s_cbranch_execz .LBB9_64
.LBB9_163:
	v_add_f32_e64 v3, 0x46000000, |v2|
	s_and_not1_b32 s23, s23, exec_lo
	s_mov_b32 s35, 0
	s_delay_alu instid0(VALU_DEP_1) | instskip(NEXT) | instid1(VALU_DEP_1)
	v_and_b32_e32 v3, 0xff, v3
	v_cmp_ne_u32_e32 vcc_lo, 0, v3
	s_and_b32 s38, vcc_lo, exec_lo
	s_delay_alu instid0(SALU_CYCLE_1)
	s_or_b32 s23, s23, s38
	s_or_b32 exec_lo, exec_lo, s34
	v_mov_b32_e32 v7, s35
	s_and_saveexec_b32 s34, s23
	s_cbranch_execnz .LBB9_65
	s_branch .LBB9_66
.LBB9_164:
	s_mov_b32 s22, -1
                                        ; implicit-def: $vgpr3_vgpr4
.LBB9_165:
	s_mov_b32 s3, 0
.LBB9_166:
	s_delay_alu instid0(SALU_CYCLE_1)
	s_and_b32 vcc_lo, exec_lo, s3
	s_cbranch_vccz .LBB9_170
; %bb.167:
	v_cmp_eq_u16_e32 vcc_lo, 29, v12
	s_cbranch_vccz .LBB9_169
; %bb.168:
	global_load_b64 v[3:4], v[0:1], off
	s_mov_b32 s2, -1
	s_mov_b32 s22, 0
	s_mov_b32 s3, 0
	s_waitcnt vmcnt(0)
	v_cvt_f64_u32_e32 v[4:5], v4
	v_cvt_f64_u32_e32 v[6:7], v3
	s_delay_alu instid0(VALU_DEP_2) | instskip(NEXT) | instid1(VALU_DEP_1)
	v_ldexp_f64 v[4:5], v[4:5], 32
	v_add_f64 v[3:4], v[4:5], v[6:7]
	s_branch .LBB9_171
.LBB9_169:
	s_mov_b32 s22, -1
                                        ; implicit-def: $vgpr3_vgpr4
.LBB9_170:
	s_mov_b32 s3, 0
.LBB9_171:
	s_delay_alu instid0(SALU_CYCLE_1)
	s_and_b32 vcc_lo, exec_lo, s3
	s_cbranch_vccz .LBB9_191
; %bb.172:
	v_cmp_gt_i16_e32 vcc_lo, 27, v12
	s_cbranch_vccnz .LBB9_175
; %bb.173:
	v_cmp_lt_i16_e32 vcc_lo, 27, v12
	s_cbranch_vccz .LBB9_176
; %bb.174:
	global_load_b32 v3, v[0:1], off
	s_mov_b32 s2, 0
	s_waitcnt vmcnt(0)
	v_cvt_f64_u32_e32 v[3:4], v3
	s_branch .LBB9_177
.LBB9_175:
	s_mov_b32 s2, -1
                                        ; implicit-def: $vgpr3_vgpr4
	s_branch .LBB9_180
.LBB9_176:
	s_mov_b32 s2, -1
                                        ; implicit-def: $vgpr3_vgpr4
.LBB9_177:
	s_delay_alu instid0(SALU_CYCLE_1)
	s_and_not1_b32 vcc_lo, exec_lo, s2
	s_cbranch_vccnz .LBB9_179
; %bb.178:
	global_load_u16 v3, v[0:1], off
	s_waitcnt vmcnt(0)
	v_cvt_f64_u32_e32 v[3:4], v3
.LBB9_179:
	s_mov_b32 s2, 0
.LBB9_180:
	s_delay_alu instid0(SALU_CYCLE_1)
	s_and_not1_b32 vcc_lo, exec_lo, s2
	s_cbranch_vccnz .LBB9_190
; %bb.181:
	global_load_u8 v5, v[0:1], off
	s_mov_b32 s23, 0
	s_mov_b32 s34, exec_lo
                                        ; implicit-def: $sgpr2_sgpr3
	s_waitcnt vmcnt(0)
	v_cmpx_lt_i16_e32 0x7f, v5
	s_xor_b32 s34, exec_lo, s34
	s_cbranch_execz .LBB9_185
; %bb.182:
	s_mov_b32 s35, -1
	s_mov_b32 s23, exec_lo
                                        ; implicit-def: $sgpr2_sgpr3
	v_cmpx_eq_u16_e32 0x80, v5
; %bb.183:
	s_mov_b32 s3, 0x7ff80000
	s_brev_b32 s2, 4
	s_xor_b32 s35, exec_lo, -1
; %bb.184:
	s_or_b32 exec_lo, exec_lo, s23
	s_delay_alu instid0(SALU_CYCLE_1)
	s_and_b32 s23, s35, exec_lo
.LBB9_185:
	s_or_saveexec_b32 s34, s34
	v_dual_mov_b32 v4, s3 :: v_dual_mov_b32 v3, s2
	s_xor_b32 exec_lo, exec_lo, s34
; %bb.186:
	v_cmp_ne_u16_e32 vcc_lo, 0, v5
	v_mov_b32_e32 v3, 0
	v_mov_b32_e32 v4, 0
	s_and_not1_b32 s2, s23, exec_lo
	s_and_b32 s3, vcc_lo, exec_lo
	s_delay_alu instid0(SALU_CYCLE_1)
	s_or_b32 s23, s2, s3
; %bb.187:
	s_or_b32 exec_lo, exec_lo, s34
	s_and_saveexec_b32 s2, s23
	s_cbranch_execz .LBB9_189
; %bb.188:
	v_and_b32_e32 v3, 0xffff, v5
	v_lshlrev_b32_e32 v5, 24, v5
	s_delay_alu instid0(VALU_DEP_2) | instskip(NEXT) | instid1(VALU_DEP_2)
	v_and_b32_e32 v4, 7, v3
	v_and_b32_e32 v5, 0x80000000, v5
	s_delay_alu instid0(VALU_DEP_2) | instskip(NEXT) | instid1(VALU_DEP_1)
	v_clz_i32_u32_e32 v6, v4
	v_min_u32_e32 v6, 32, v6
	s_delay_alu instid0(VALU_DEP_1) | instskip(SKIP_1) | instid1(VALU_DEP_2)
	v_subrev_nc_u32_e32 v7, 28, v6
	v_sub_nc_u32_e32 v6, 29, v6
	v_lshlrev_b32_e32 v7, v7, v3
	v_bfe_u32 v3, v3, 3, 4
	s_delay_alu instid0(VALU_DEP_2) | instskip(NEXT) | instid1(VALU_DEP_2)
	v_and_b32_e32 v7, 7, v7
	v_cmp_eq_u32_e32 vcc_lo, 0, v3
	s_delay_alu instid0(VALU_DEP_2) | instskip(NEXT) | instid1(VALU_DEP_1)
	v_dual_cndmask_b32 v3, v3, v6 :: v_dual_cndmask_b32 v4, v4, v7
	v_lshl_add_u32 v3, v3, 23, 0x3b800000
	s_delay_alu instid0(VALU_DEP_2) | instskip(NEXT) | instid1(VALU_DEP_1)
	v_lshlrev_b32_e32 v4, 20, v4
	v_or3_b32 v3, v5, v3, v4
	s_delay_alu instid0(VALU_DEP_1)
	v_cvt_f64_f32_e32 v[3:4], v3
.LBB9_189:
	s_or_b32 exec_lo, exec_lo, s2
.LBB9_190:
	s_mov_b32 s2, -1
.LBB9_191:
	s_branch .LBB9_224
.LBB9_192:
	v_cmp_lt_i16_e32 vcc_lo, 22, v12
	s_cbranch_vccz .LBB9_204
; %bb.193:
	v_cmp_gt_i16_e32 vcc_lo, 24, v12
	s_cbranch_vccnz .LBB9_205
; %bb.194:
	v_cmp_lt_i16_e32 vcc_lo, 24, v12
	s_cbranch_vccz .LBB9_206
; %bb.195:
	global_load_u8 v5, v[0:1], off
	s_mov_b32 s23, 0
	s_mov_b32 s34, exec_lo
                                        ; implicit-def: $sgpr2_sgpr3
	s_waitcnt vmcnt(0)
	v_cmpx_lt_i16_e32 0x7f, v5
	s_xor_b32 s34, exec_lo, s34
	s_cbranch_execz .LBB9_199
; %bb.196:
	s_mov_b32 s35, -1
	s_mov_b32 s23, exec_lo
                                        ; implicit-def: $sgpr2_sgpr3
	v_cmpx_eq_u16_e32 0x80, v5
; %bb.197:
	s_mov_b32 s3, 0x7ff80000
	s_brev_b32 s2, 4
	s_xor_b32 s35, exec_lo, -1
; %bb.198:
	s_or_b32 exec_lo, exec_lo, s23
	s_delay_alu instid0(SALU_CYCLE_1)
	s_and_b32 s23, s35, exec_lo
.LBB9_199:
	s_or_saveexec_b32 s34, s34
	v_dual_mov_b32 v4, s3 :: v_dual_mov_b32 v3, s2
	s_xor_b32 exec_lo, exec_lo, s34
; %bb.200:
	v_cmp_ne_u16_e32 vcc_lo, 0, v5
	v_mov_b32_e32 v3, 0
	v_mov_b32_e32 v4, 0
	s_and_not1_b32 s2, s23, exec_lo
	s_and_b32 s3, vcc_lo, exec_lo
	s_delay_alu instid0(SALU_CYCLE_1)
	s_or_b32 s23, s2, s3
; %bb.201:
	s_or_b32 exec_lo, exec_lo, s34
	s_and_saveexec_b32 s2, s23
	s_cbranch_execz .LBB9_203
; %bb.202:
	v_and_b32_e32 v3, 0xffff, v5
	v_lshlrev_b32_e32 v5, 24, v5
	s_delay_alu instid0(VALU_DEP_2) | instskip(NEXT) | instid1(VALU_DEP_2)
	v_and_b32_e32 v4, 3, v3
	v_and_b32_e32 v5, 0x80000000, v5
	s_delay_alu instid0(VALU_DEP_2) | instskip(NEXT) | instid1(VALU_DEP_1)
	v_clz_i32_u32_e32 v6, v4
	v_min_u32_e32 v6, 32, v6
	s_delay_alu instid0(VALU_DEP_1) | instskip(SKIP_1) | instid1(VALU_DEP_2)
	v_subrev_nc_u32_e32 v7, 29, v6
	v_sub_nc_u32_e32 v6, 30, v6
	v_lshlrev_b32_e32 v7, v7, v3
	v_bfe_u32 v3, v3, 2, 5
	s_delay_alu instid0(VALU_DEP_2) | instskip(NEXT) | instid1(VALU_DEP_2)
	v_and_b32_e32 v7, 3, v7
	v_cmp_eq_u32_e32 vcc_lo, 0, v3
	s_delay_alu instid0(VALU_DEP_2) | instskip(NEXT) | instid1(VALU_DEP_1)
	v_dual_cndmask_b32 v3, v3, v6 :: v_dual_cndmask_b32 v4, v4, v7
	v_lshl_add_u32 v3, v3, 23, 0x37800000
	s_delay_alu instid0(VALU_DEP_2) | instskip(NEXT) | instid1(VALU_DEP_1)
	v_lshlrev_b32_e32 v4, 21, v4
	v_or3_b32 v3, v5, v3, v4
	s_delay_alu instid0(VALU_DEP_1)
	v_cvt_f64_f32_e32 v[3:4], v3
.LBB9_203:
	s_or_b32 exec_lo, exec_lo, s2
	s_mov_b32 s2, 0
	s_branch .LBB9_207
.LBB9_204:
	s_mov_b32 s3, -1
                                        ; implicit-def: $vgpr3_vgpr4
	s_branch .LBB9_213
.LBB9_205:
	s_mov_b32 s2, -1
                                        ; implicit-def: $vgpr3_vgpr4
	s_branch .LBB9_210
.LBB9_206:
	s_mov_b32 s2, -1
                                        ; implicit-def: $vgpr3_vgpr4
.LBB9_207:
	s_delay_alu instid0(SALU_CYCLE_1)
	s_and_b32 vcc_lo, exec_lo, s2
	s_cbranch_vccz .LBB9_209
; %bb.208:
	global_load_u8 v3, v[0:1], off
	s_waitcnt vmcnt(0)
	v_lshlrev_b32_e32 v3, 24, v3
	s_delay_alu instid0(VALU_DEP_1) | instskip(NEXT) | instid1(VALU_DEP_1)
	v_and_b32_e32 v4, 0x7f000000, v3
	v_clz_i32_u32_e32 v5, v4
	v_add_nc_u32_e32 v7, 0x1000000, v4
	v_cmp_ne_u32_e32 vcc_lo, 0, v4
	s_delay_alu instid0(VALU_DEP_3) | instskip(NEXT) | instid1(VALU_DEP_1)
	v_min_u32_e32 v5, 32, v5
	v_sub_nc_u32_e64 v5, v5, 4 clamp
	s_delay_alu instid0(VALU_DEP_1) | instskip(SKIP_1) | instid1(VALU_DEP_2)
	v_lshlrev_b32_e32 v6, v5, v4
	v_lshlrev_b32_e32 v5, 23, v5
	v_lshrrev_b32_e32 v6, 4, v6
	s_delay_alu instid0(VALU_DEP_1) | instskip(SKIP_1) | instid1(VALU_DEP_2)
	v_sub_nc_u32_e32 v5, v6, v5
	v_ashrrev_i32_e32 v6, 8, v7
	v_add_nc_u32_e32 v5, 0x3c000000, v5
	s_delay_alu instid0(VALU_DEP_1) | instskip(NEXT) | instid1(VALU_DEP_1)
	v_and_or_b32 v5, 0x7f800000, v6, v5
	v_cndmask_b32_e32 v4, 0, v5, vcc_lo
	s_delay_alu instid0(VALU_DEP_1) | instskip(NEXT) | instid1(VALU_DEP_1)
	v_and_or_b32 v3, 0x80000000, v3, v4
	v_cvt_f64_f32_e32 v[3:4], v3
.LBB9_209:
	s_mov_b32 s2, 0
.LBB9_210:
	s_delay_alu instid0(SALU_CYCLE_1)
	s_and_not1_b32 vcc_lo, exec_lo, s2
	s_cbranch_vccnz .LBB9_212
; %bb.211:
	global_load_u8 v3, v[0:1], off
	s_waitcnt vmcnt(0)
	v_lshlrev_b32_e32 v4, 25, v3
	v_lshlrev_b16 v3, 8, v3
	s_delay_alu instid0(VALU_DEP_2) | instskip(NEXT) | instid1(VALU_DEP_2)
	v_lshrrev_b32_e32 v5, 4, v4
	v_and_or_b32 v6, 0x7f00, v3, 0.5
	v_bfe_i32 v3, v3, 0, 16
	s_delay_alu instid0(VALU_DEP_3) | instskip(NEXT) | instid1(VALU_DEP_1)
	v_or_b32_e32 v5, 0x70000000, v5
	v_dual_add_f32 v6, -0.5, v6 :: v_dual_mul_f32 v5, 0x7800000, v5
	v_cmp_gt_u32_e32 vcc_lo, 0x8000000, v4
	s_delay_alu instid0(VALU_DEP_2) | instskip(NEXT) | instid1(VALU_DEP_1)
	v_cndmask_b32_e32 v4, v5, v6, vcc_lo
	v_and_or_b32 v3, 0x80000000, v3, v4
	s_delay_alu instid0(VALU_DEP_1)
	v_cvt_f64_f32_e32 v[3:4], v3
.LBB9_212:
	s_mov_b32 s3, 0
	s_mov_b32 s2, -1
.LBB9_213:
	s_and_not1_b32 vcc_lo, exec_lo, s3
	s_cbranch_vccnz .LBB9_224
; %bb.214:
	v_cmp_lt_i16_e32 vcc_lo, 14, v12
	s_cbranch_vccz .LBB9_217
; %bb.215:
	v_cmp_eq_u16_e32 vcc_lo, 15, v12
	s_cbranch_vccz .LBB9_218
; %bb.216:
	global_load_u16 v3, v[0:1], off
	s_mov_b32 s2, -1
	s_mov_b32 s22, 0
	s_waitcnt vmcnt(0)
	v_lshlrev_b32_e32 v3, 16, v3
	s_delay_alu instid0(VALU_DEP_1)
	v_cvt_f64_f32_e32 v[3:4], v3
	s_branch .LBB9_219
.LBB9_217:
	s_mov_b32 s3, -1
                                        ; implicit-def: $vgpr3_vgpr4
	s_branch .LBB9_220
.LBB9_218:
	s_mov_b32 s22, -1
                                        ; implicit-def: $vgpr3_vgpr4
.LBB9_219:
	s_mov_b32 s3, 0
.LBB9_220:
	s_delay_alu instid0(SALU_CYCLE_1)
	s_and_b32 vcc_lo, exec_lo, s3
	s_cbranch_vccz .LBB9_224
; %bb.221:
	v_cmp_eq_u16_e32 vcc_lo, 11, v12
	s_cbranch_vccz .LBB9_223
; %bb.222:
	global_load_u8 v3, v[0:1], off
	s_mov_b32 s22, 0
	s_mov_b32 s2, -1
	s_waitcnt vmcnt(0)
	v_cmp_ne_u16_e32 vcc_lo, 0, v3
	v_mov_b32_e32 v3, 0
	v_cndmask_b32_e64 v4, 0, 0x3ff00000, vcc_lo
	s_branch .LBB9_224
.LBB9_223:
	s_mov_b32 s22, -1
                                        ; implicit-def: $vgpr3_vgpr4
.LBB9_224:
	s_branch .LBB9_23
.LBB9_225:
	v_cmp_gt_i16_e32 vcc_lo, 5, v12
	s_cbranch_vccnz .LBB9_230
; %bb.226:
	v_cmp_gt_i16_e32 vcc_lo, 8, v12
	s_cbranch_vccnz .LBB9_231
; %bb.227:
	;; [unrolled: 3-line block ×3, first 2 shown]
	v_cmp_lt_i16_e32 vcc_lo, 9, v12
	s_cbranch_vccz .LBB9_233
; %bb.229:
	global_load_b64 v[3:4], v[0:1], off
	s_mov_b32 s2, 0
	s_branch .LBB9_234
.LBB9_230:
                                        ; implicit-def: $vgpr3_vgpr4
	s_branch .LBB9_252
.LBB9_231:
	s_mov_b32 s2, -1
                                        ; implicit-def: $vgpr3_vgpr4
	s_branch .LBB9_240
.LBB9_232:
	s_mov_b32 s2, -1
                                        ; implicit-def: $vgpr3_vgpr4
	s_branch .LBB9_237
.LBB9_233:
	s_mov_b32 s2, -1
                                        ; implicit-def: $vgpr3_vgpr4
.LBB9_234:
	s_delay_alu instid0(SALU_CYCLE_1)
	s_and_not1_b32 vcc_lo, exec_lo, s2
	s_cbranch_vccnz .LBB9_236
; %bb.235:
	global_load_b32 v3, v[0:1], off
	s_waitcnt vmcnt(0)
	v_cvt_f64_f32_e32 v[3:4], v3
.LBB9_236:
	s_mov_b32 s2, 0
.LBB9_237:
	s_delay_alu instid0(SALU_CYCLE_1)
	s_and_not1_b32 vcc_lo, exec_lo, s2
	s_cbranch_vccnz .LBB9_239
; %bb.238:
	global_load_b32 v3, v[0:1], off
	s_waitcnt vmcnt(0)
	v_cvt_f32_f16_e32 v3, v3
	s_delay_alu instid0(VALU_DEP_1)
	v_cvt_f64_f32_e32 v[3:4], v3
.LBB9_239:
	s_mov_b32 s2, 0
.LBB9_240:
	s_delay_alu instid0(SALU_CYCLE_1)
	s_and_not1_b32 vcc_lo, exec_lo, s2
	s_cbranch_vccnz .LBB9_251
; %bb.241:
	v_cmp_gt_i16_e32 vcc_lo, 6, v12
	s_cbranch_vccnz .LBB9_244
; %bb.242:
	v_cmp_lt_i16_e32 vcc_lo, 6, v12
	s_cbranch_vccz .LBB9_245
; %bb.243:
	global_load_b64 v[3:4], v[0:1], off
	s_mov_b32 s2, 0
	s_branch .LBB9_246
.LBB9_244:
	s_mov_b32 s2, -1
                                        ; implicit-def: $vgpr3_vgpr4
	s_branch .LBB9_249
.LBB9_245:
	s_mov_b32 s2, -1
                                        ; implicit-def: $vgpr3_vgpr4
.LBB9_246:
	s_delay_alu instid0(SALU_CYCLE_1)
	s_and_not1_b32 vcc_lo, exec_lo, s2
	s_cbranch_vccnz .LBB9_248
; %bb.247:
	global_load_b32 v3, v[0:1], off
	s_waitcnt vmcnt(0)
	v_cvt_f64_f32_e32 v[3:4], v3
.LBB9_248:
	s_mov_b32 s2, 0
.LBB9_249:
	s_delay_alu instid0(SALU_CYCLE_1)
	s_and_not1_b32 vcc_lo, exec_lo, s2
	s_cbranch_vccnz .LBB9_251
; %bb.250:
	global_load_u16 v3, v[0:1], off
	s_waitcnt vmcnt(0)
	v_cvt_f32_f16_e32 v3, v3
	s_delay_alu instid0(VALU_DEP_1)
	v_cvt_f64_f32_e32 v[3:4], v3
.LBB9_251:
	s_cbranch_execnz .LBB9_271
.LBB9_252:
	v_cmp_gt_i16_e32 vcc_lo, 2, v12
	s_cbranch_vccnz .LBB9_256
; %bb.253:
	v_cmp_gt_i16_e32 vcc_lo, 3, v12
	s_cbranch_vccnz .LBB9_257
; %bb.254:
	v_cmp_lt_i16_e32 vcc_lo, 3, v12
	s_cbranch_vccz .LBB9_258
; %bb.255:
	global_load_b64 v[3:4], v[0:1], off
	s_mov_b32 s2, 0
	s_waitcnt vmcnt(0)
	v_cvt_f64_i32_e32 v[4:5], v4
	v_cvt_f64_u32_e32 v[6:7], v3
	s_delay_alu instid0(VALU_DEP_2) | instskip(NEXT) | instid1(VALU_DEP_1)
	v_ldexp_f64 v[4:5], v[4:5], 32
	v_add_f64 v[3:4], v[4:5], v[6:7]
	s_branch .LBB9_259
.LBB9_256:
	s_mov_b32 s2, -1
                                        ; implicit-def: $vgpr3_vgpr4
	s_branch .LBB9_265
.LBB9_257:
	s_mov_b32 s2, -1
                                        ; implicit-def: $vgpr3_vgpr4
	s_branch .LBB9_262
.LBB9_258:
	s_mov_b32 s2, -1
                                        ; implicit-def: $vgpr3_vgpr4
.LBB9_259:
	s_delay_alu instid0(SALU_CYCLE_1)
	s_and_not1_b32 vcc_lo, exec_lo, s2
	s_cbranch_vccnz .LBB9_261
; %bb.260:
	global_load_b32 v3, v[0:1], off
	s_waitcnt vmcnt(0)
	v_cvt_f64_i32_e32 v[3:4], v3
.LBB9_261:
	s_mov_b32 s2, 0
.LBB9_262:
	s_delay_alu instid0(SALU_CYCLE_1)
	s_and_not1_b32 vcc_lo, exec_lo, s2
	s_cbranch_vccnz .LBB9_264
; %bb.263:
	global_load_i16 v3, v[0:1], off
	s_waitcnt vmcnt(0)
	v_cvt_f64_i32_e32 v[3:4], v3
.LBB9_264:
	s_mov_b32 s2, 0
.LBB9_265:
	s_delay_alu instid0(SALU_CYCLE_1)
	s_and_not1_b32 vcc_lo, exec_lo, s2
	s_cbranch_vccnz .LBB9_271
; %bb.266:
	v_cmp_lt_i16_e32 vcc_lo, 0, v12
	s_mov_b32 s2, 0
	s_cbranch_vccz .LBB9_268
; %bb.267:
	global_load_i8 v3, v[0:1], off
	s_waitcnt vmcnt(0)
	v_cvt_f64_i32_e32 v[3:4], v3
	s_branch .LBB9_269
.LBB9_268:
	s_mov_b32 s2, -1
                                        ; implicit-def: $vgpr3_vgpr4
.LBB9_269:
	s_delay_alu instid0(SALU_CYCLE_1)
	s_and_not1_b32 vcc_lo, exec_lo, s2
	s_cbranch_vccnz .LBB9_271
; %bb.270:
	global_load_u8 v0, v[0:1], off
	s_waitcnt vmcnt(0)
	v_cvt_f64_u32_e32 v[3:4], v0
.LBB9_271:
	s_branch .LBB9_24
.LBB9_272:
	s_mov_b32 s2, 0
.LBB9_273:
	s_mov_b32 s3, 0
                                        ; implicit-def: $vgpr14
.LBB9_274:
	s_and_b32 s34, s2, exec_lo
	s_and_b32 s35, s22, exec_lo
	s_or_not1_b32 s3, s3, exec_lo
.LBB9_275:
	s_or_b32 exec_lo, exec_lo, s36
	s_mov_b32 s22, 0
	s_mov_b32 s2, 0
                                        ; implicit-def: $vgpr0_vgpr1
                                        ; implicit-def: $vgpr2
                                        ; implicit-def: $vgpr3_vgpr4
	s_and_saveexec_b32 s36, s3
	s_cbranch_execz .LBB9_942
; %bb.276:
	s_mov_b32 s2, -1
	s_mov_b32 s37, s35
	s_mov_b32 s38, s34
	s_mov_b32 s39, exec_lo
	v_cmpx_gt_i32_e64 s30, v14
	s_cbranch_execz .LBB9_557
; %bb.277:
	s_and_not1_b32 vcc_lo, exec_lo, s27
	s_cbranch_vccnz .LBB9_282
; %bb.278:
	v_mov_b32_e32 v2, 0
	v_mov_b32_e32 v0, 0
	s_and_not1_b32 vcc_lo, exec_lo, s33
	s_mov_b32 s37, 0
	s_cbranch_vccnz .LBB9_287
; %bb.279:
	v_mov_b32_e32 v2, 0
	s_add_i32 s40, s31, 1
	s_cmp_eq_u32 s25, 2
	s_mov_b32 s38, 0
	s_cbranch_scc1 .LBB9_283
; %bb.280:
	v_dual_mov_b32 v0, 0 :: v_dual_mov_b32 v1, v14
	v_mov_b32_e32 v2, 0
	s_and_b32 s38, s40, 28
	s_mov_b32 s41, 0
	s_mov_b64 s[2:3], s[20:21]
	s_mov_b64 s[22:23], s[16:17]
.LBB9_281:                              ; =>This Inner Loop Header: Depth=1
	s_clause 0x1
	s_load_b256 s[44:51], s[22:23], 0x4
	s_load_b128 s[60:63], s[22:23], 0x24
	s_load_b256 s[52:59], s[2:3], 0x0
	s_add_u32 s22, s22, 48
	s_addc_u32 s23, s23, 0
	s_add_i32 s41, s41, 4
	s_add_u32 s2, s2, 32
	s_addc_u32 s3, s3, 0
	s_cmp_eq_u32 s38, s41
	s_waitcnt vmcnt(0) lgkmcnt(0)
	v_mul_hi_u32 v3, s45, v1
	s_delay_alu instid0(VALU_DEP_1) | instskip(NEXT) | instid1(VALU_DEP_1)
	v_add_nc_u32_e32 v3, v1, v3
	v_lshrrev_b32_e32 v3, s46, v3
	s_delay_alu instid0(VALU_DEP_1) | instskip(SKIP_1) | instid1(VALU_DEP_2)
	v_mul_hi_u32 v4, s48, v3
	v_mul_lo_u32 v6, v3, s44
	v_add_nc_u32_e32 v4, v3, v4
	s_delay_alu instid0(VALU_DEP_2) | instskip(NEXT) | instid1(VALU_DEP_2)
	v_sub_nc_u32_e32 v1, v1, v6
	v_lshrrev_b32_e32 v4, s49, v4
	s_delay_alu instid0(VALU_DEP_2) | instskip(SKIP_1) | instid1(VALU_DEP_3)
	v_mul_lo_u32 v6, v1, s52
	v_mul_lo_u32 v8, v1, s53
	v_mul_hi_u32 v5, s51, v4
	s_delay_alu instid0(VALU_DEP_1) | instskip(NEXT) | instid1(VALU_DEP_1)
	v_add_nc_u32_e32 v5, v4, v5
	v_lshrrev_b32_e32 v5, s60, v5
	s_delay_alu instid0(VALU_DEP_1) | instskip(SKIP_1) | instid1(VALU_DEP_2)
	v_mul_hi_u32 v7, s62, v5
	v_mul_lo_u32 v9, v5, s50
	v_add_nc_u32_e32 v1, v5, v7
	v_mul_lo_u32 v7, v4, s47
	s_delay_alu instid0(VALU_DEP_3) | instskip(NEXT) | instid1(VALU_DEP_3)
	v_sub_nc_u32_e32 v4, v4, v9
	v_lshrrev_b32_e32 v1, s63, v1
	s_delay_alu instid0(VALU_DEP_2) | instskip(SKIP_2) | instid1(VALU_DEP_4)
	v_mul_lo_u32 v9, v4, s56
	v_mul_lo_u32 v4, v4, s57
	v_sub_nc_u32_e32 v3, v3, v7
	v_mul_lo_u32 v10, v1, s61
	s_delay_alu instid0(VALU_DEP_2) | instskip(SKIP_1) | instid1(VALU_DEP_3)
	v_mul_lo_u32 v7, v3, s54
	v_mul_lo_u32 v3, v3, s55
	v_sub_nc_u32_e32 v5, v5, v10
	s_delay_alu instid0(VALU_DEP_3) | instskip(NEXT) | instid1(VALU_DEP_2)
	v_add3_u32 v2, v6, v2, v7
	v_mul_lo_u32 v10, v5, s58
	v_mul_lo_u32 v5, v5, s59
	v_add3_u32 v0, v8, v0, v3
	s_delay_alu instid0(VALU_DEP_3) | instskip(NEXT) | instid1(VALU_DEP_2)
	v_add3_u32 v2, v9, v2, v10
	v_add3_u32 v0, v4, v0, v5
	s_cbranch_scc0 .LBB9_281
	s_branch .LBB9_284
.LBB9_282:
	s_mov_b32 s37, -1
                                        ; implicit-def: $vgpr2
                                        ; implicit-def: $vgpr0
	s_branch .LBB9_287
.LBB9_283:
	v_dual_mov_b32 v1, v14 :: v_dual_mov_b32 v0, 0
.LBB9_284:
	s_and_b32 s40, s40, 3
	s_delay_alu instid0(SALU_CYCLE_1)
	s_cmp_eq_u32 s40, 0
	s_cbranch_scc1 .LBB9_287
; %bb.285:
	s_lshl_b32 s2, s38, 3
	s_mul_i32 s22, s38, 12
	s_add_u32 s2, s2, s16
	s_addc_u32 s3, s17, 0
	s_add_u32 s2, s2, 0xc4
	s_addc_u32 s3, s3, 0
	;; [unrolled: 2-line block ×3, first 2 shown]
	.p2align	6
.LBB9_286:                              ; =>This Inner Loop Header: Depth=1
	s_clause 0x1
	s_load_b64 s[42:43], s[22:23], 0x4
	s_load_b32 s38, s[22:23], 0xc
	s_load_b64 s[44:45], s[2:3], 0x0
	s_add_u32 s22, s22, 12
	s_addc_u32 s23, s23, 0
	s_add_u32 s2, s2, 8
	s_addc_u32 s3, s3, 0
	s_add_i32 s40, s40, -1
	s_delay_alu instid0(SALU_CYCLE_1) | instskip(SKIP_2) | instid1(VALU_DEP_1)
	s_cmp_lg_u32 s40, 0
	s_waitcnt vmcnt(0) lgkmcnt(0)
	v_mul_hi_u32 v3, s43, v1
	v_add_nc_u32_e32 v3, v1, v3
	s_delay_alu instid0(VALU_DEP_1) | instskip(NEXT) | instid1(VALU_DEP_1)
	v_lshrrev_b32_e32 v6, s38, v3
	v_mul_lo_u32 v3, v6, s42
	s_delay_alu instid0(VALU_DEP_1) | instskip(NEXT) | instid1(VALU_DEP_1)
	v_sub_nc_u32_e32 v1, v1, v3
	v_mad_u64_u32 v[3:4], null, v1, s44, v[2:3]
	v_mad_u64_u32 v[4:5], null, v1, s45, v[0:1]
	s_delay_alu instid0(VALU_DEP_2) | instskip(NEXT) | instid1(VALU_DEP_2)
	v_dual_mov_b32 v1, v6 :: v_dual_mov_b32 v2, v3
	v_mov_b32_e32 v0, v4
	s_cbranch_scc1 .LBB9_286
.LBB9_287:
	s_and_not1_b32 vcc_lo, exec_lo, s37
	s_cbranch_vccnz .LBB9_290
; %bb.288:
	s_waitcnt lgkmcnt(0)
	v_mul_hi_u32 v0, s13, v14
	s_and_not1_b32 vcc_lo, exec_lo, s29
	s_delay_alu instid0(VALU_DEP_1) | instskip(NEXT) | instid1(VALU_DEP_1)
	v_add_nc_u32_e32 v0, v14, v0
	v_lshrrev_b32_e32 v1, s14, v0
	s_delay_alu instid0(VALU_DEP_1) | instskip(NEXT) | instid1(VALU_DEP_1)
	v_mul_lo_u32 v0, v1, s12
	v_sub_nc_u32_e32 v0, v14, v0
	s_delay_alu instid0(VALU_DEP_1)
	v_mul_lo_u32 v2, v0, s8
	v_mul_lo_u32 v0, v0, s9
	s_cbranch_vccnz .LBB9_290
; %bb.289:
	s_waitcnt vmcnt(0)
	v_mul_hi_u32 v3, s18, v1
	s_delay_alu instid0(VALU_DEP_1) | instskip(NEXT) | instid1(VALU_DEP_1)
	v_add_nc_u32_e32 v3, v1, v3
	v_lshrrev_b32_e32 v3, s19, v3
	s_delay_alu instid0(VALU_DEP_1) | instskip(NEXT) | instid1(VALU_DEP_1)
	v_mul_lo_u32 v3, v3, s15
	v_sub_nc_u32_e32 v5, v1, v3
	s_delay_alu instid0(VALU_DEP_1) | instskip(SKIP_1) | instid1(VALU_DEP_2)
	v_mad_u64_u32 v[3:4], null, v5, s10, v[2:3]
	v_mad_u64_u32 v[1:2], null, v5, s11, v[0:1]
	v_mov_b32_e32 v2, v3
	s_delay_alu instid0(VALU_DEP_2)
	v_mov_b32_e32 v0, v1
.LBB9_290:
	v_cmp_gt_i16_e32 vcc_lo, 11, v12
	s_waitcnt lgkmcnt(0)
	s_delay_alu instid0(VALU_DEP_2) | instskip(NEXT) | instid1(VALU_DEP_1)
	v_add_co_u32 v0, s2, s6, v0
	v_add_co_ci_u32_e64 v1, null, s7, 0, s2
	s_mov_b32 s2, 0
	s_cbranch_vccnz .LBB9_297
; %bb.291:
	v_cmp_lt_i16_e32 vcc_lo, 25, v12
	s_cbranch_vccz .LBB9_358
; %bb.292:
	v_cmp_lt_i16_e32 vcc_lo, 28, v12
	s_cbranch_vccz .LBB9_359
	;; [unrolled: 3-line block ×4, first 2 shown]
; %bb.295:
	v_cmp_eq_u16_e32 vcc_lo, 46, v12
	s_mov_b32 s3, 0
	s_cbranch_vccz .LBB9_367
; %bb.296:
	global_load_b32 v3, v[0:1], off
	s_mov_b32 s2, -1
	s_mov_b32 s22, 0
	s_waitcnt vmcnt(0)
	v_lshlrev_b32_e32 v3, 16, v3
	s_delay_alu instid0(VALU_DEP_1)
	v_cvt_f64_f32_e32 v[3:4], v3
	s_branch .LBB9_369
.LBB9_297:
	s_mov_b32 s22, s35
                                        ; implicit-def: $vgpr3_vgpr4
	s_cbranch_execnz .LBB9_506
.LBB9_298:
	s_and_not1_b32 vcc_lo, exec_lo, s2
	s_cbranch_vccnz .LBB9_554
.LBB9_299:
	s_waitcnt vmcnt(0)
	s_delay_alu instid0(VALU_DEP_1) | instskip(NEXT) | instid1(VALU_DEP_1)
	v_cmp_ge_f64_e64 s2, 0x40200000, |v[3:4]|
                                        ; implicit-def: $vgpr0_vgpr1
	s_and_saveexec_b32 s3, s2
	s_delay_alu instid0(SALU_CYCLE_1)
	s_xor_b32 s2, exec_lo, s3
	s_cbranch_execz .LBB9_305
; %bb.300:
	v_fma_f64 v[0:1], |v[3:4]|, 0.5, -2.0
	s_mov_b32 s40, 0xc38a0576
	s_mov_b32 s41, 0xbc7857d0
	;; [unrolled: 1-line block ×4, first 2 shown]
	s_mov_b32 s3, exec_lo
	s_delay_alu instid0(VALU_DEP_1) | instskip(SKIP_3) | instid1(VALU_DEP_1)
	v_fma_f64 v[5:6], v[0:1], s[42:43], s[40:41]
	s_mov_b32 s43, 0xbc499f2a
	s_mov_b32 s40, 0xe593bfac
	;; [unrolled: 1-line block ×3, first 2 shown]
	v_fma_f64 v[7:8], v[0:1], v[5:6], s[42:43]
	s_delay_alu instid0(VALU_DEP_1) | instskip(SKIP_2) | instid1(VALU_DEP_1)
	v_add_f64 v[7:8], v[7:8], s[40:41]
	s_mov_b32 s40, 0x7e0d1573
	s_mov_b32 s41, 0xbcd3eaaa
	v_fma_f64 v[5:6], v[0:1], v[7:8], -v[5:6]
	s_delay_alu instid0(VALU_DEP_1) | instskip(SKIP_2) | instid1(VALU_DEP_1)
	v_add_f64 v[5:6], v[5:6], s[40:41]
	s_mov_b32 s40, 0x615290c
	s_mov_b32 s41, 0x3d011d7f
	v_fma_f64 v[7:8], v[0:1], v[5:6], -v[7:8]
	;; [unrolled: 5-line block ×26, first 2 shown]
	s_delay_alu instid0(VALU_DEP_1) | instskip(NEXT) | instid1(VALU_DEP_1)
	v_add_f64 v[0:1], v[0:1], s[40:41]
	v_add_f64 v[5:6], v[0:1], -v[7:8]
                                        ; implicit-def: $vgpr0_vgpr1
	v_cmpx_ngt_f64_e32 0, v[3:4]
	s_xor_b32 s3, exec_lo, s3
	s_cbranch_execz .LBB9_302
; %bb.301:
	s_mov_b32 s40, 0x652b82fe
	s_mov_b32 s41, 0x3ff71547
	;; [unrolled: 1-line block ×3, first 2 shown]
	v_mul_f64 v[0:1], |v[3:4]|, s[40:41]
	s_mov_b32 s40, 0xfefa39ef
	s_mov_b32 s41, 0xbfe62e42
	;; [unrolled: 1-line block ×3, first 2 shown]
	s_delay_alu instid0(VALU_DEP_3) | instskip(SKIP_1) | instid1(VALU_DEP_3)
	v_mul_f64 v[5:6], v[5:6], 0.5
	v_cmp_nlt_f64_e64 vcc_lo, 0x40900000, |v[3:4]|
	v_rndne_f64_e32 v[0:1], v[0:1]
	s_delay_alu instid0(VALU_DEP_1) | instskip(SKIP_4) | instid1(VALU_DEP_3)
	v_fma_f64 v[7:8], v[0:1], s[40:41], |v[3:4]|
	s_mov_b32 s40, 0x3b39803f
	s_mov_b32 s41, 0xbc7abc9e
	v_cvt_i32_f64_e32 v13, v[0:1]
	v_mul_f64 v[3:4], |v[3:4]|, v[5:6]
                                        ; implicit-def: $vgpr5_vgpr6
	v_fma_f64 v[7:8], v[0:1], s[40:41], v[7:8]
	s_mov_b32 s40, 0xfca7ab0c
	s_mov_b32 s41, 0x3e928af3
	s_delay_alu instid0(VALU_DEP_1) | instid1(SALU_CYCLE_1)
	v_fma_f64 v[9:10], v[7:8], s[42:43], s[40:41]
	s_mov_b32 s40, 0x623fde64
	s_mov_b32 s41, 0x3ec71dee
	s_delay_alu instid0(VALU_DEP_1) | instid1(SALU_CYCLE_1)
	;; [unrolled: 4-line block ×9, first 2 shown]
	v_fma_f64 v[9:10], v[7:8], v[9:10], s[40:41]
	s_delay_alu instid0(VALU_DEP_1) | instskip(NEXT) | instid1(VALU_DEP_1)
	v_fma_f64 v[9:10], v[7:8], v[9:10], 1.0
	v_fma_f64 v[0:1], v[7:8], v[9:10], 1.0
	s_delay_alu instid0(VALU_DEP_1) | instskip(NEXT) | instid1(VALU_DEP_1)
	v_ldexp_f64 v[0:1], v[0:1], v13
	v_cndmask_b32_e32 v1, 0x7ff00000, v1, vcc_lo
	s_delay_alu instid0(VALU_DEP_2) | instskip(NEXT) | instid1(VALU_DEP_1)
	v_cndmask_b32_e32 v0, 0, v0, vcc_lo
	v_mul_f64 v[0:1], v[0:1], v[3:4]
                                        ; implicit-def: $vgpr3_vgpr4
.LBB9_302:
	s_and_not1_saveexec_b32 s3, s3
	s_cbranch_execz .LBB9_304
; %bb.303:
	s_mov_b32 s40, 0x652b82fe
	s_mov_b32 s41, 0x3ff71547
	;; [unrolled: 1-line block ×3, first 2 shown]
	v_mul_f64 v[0:1], |v[3:4]|, s[40:41]
	s_mov_b32 s40, 0xfefa39ef
	s_mov_b32 s41, 0xbfe62e42
	;; [unrolled: 1-line block ×3, first 2 shown]
	s_delay_alu instid0(VALU_DEP_3) | instskip(SKIP_1) | instid1(VALU_DEP_3)
	v_mul_f64 v[5:6], v[5:6], -0.5
	v_cmp_nlt_f64_e64 vcc_lo, 0x40900000, |v[3:4]|
	v_rndne_f64_e32 v[0:1], v[0:1]
	s_delay_alu instid0(VALU_DEP_1) | instskip(SKIP_4) | instid1(VALU_DEP_3)
	v_fma_f64 v[7:8], v[0:1], s[40:41], |v[3:4]|
	s_mov_b32 s40, 0x3b39803f
	s_mov_b32 s41, 0xbc7abc9e
	v_cvt_i32_f64_e32 v13, v[0:1]
	v_mul_f64 v[3:4], |v[3:4]|, v[5:6]
	v_fma_f64 v[7:8], v[0:1], s[40:41], v[7:8]
	s_mov_b32 s40, 0xfca7ab0c
	s_mov_b32 s41, 0x3e928af3
	s_delay_alu instid0(VALU_DEP_1) | instid1(SALU_CYCLE_1)
	v_fma_f64 v[9:10], v[7:8], s[42:43], s[40:41]
	s_mov_b32 s40, 0x623fde64
	s_mov_b32 s41, 0x3ec71dee
	s_delay_alu instid0(VALU_DEP_1) | instid1(SALU_CYCLE_1)
	;; [unrolled: 4-line block ×9, first 2 shown]
	v_fma_f64 v[9:10], v[7:8], v[9:10], s[40:41]
	s_delay_alu instid0(VALU_DEP_1) | instskip(NEXT) | instid1(VALU_DEP_1)
	v_fma_f64 v[9:10], v[7:8], v[9:10], 1.0
	v_fma_f64 v[0:1], v[7:8], v[9:10], 1.0
	s_delay_alu instid0(VALU_DEP_1) | instskip(NEXT) | instid1(VALU_DEP_1)
	v_ldexp_f64 v[0:1], v[0:1], v13
	v_cndmask_b32_e32 v1, 0x7ff00000, v1, vcc_lo
	s_delay_alu instid0(VALU_DEP_2) | instskip(NEXT) | instid1(VALU_DEP_1)
	v_cndmask_b32_e32 v0, 0, v0, vcc_lo
	v_mul_f64 v[0:1], v[0:1], v[3:4]
.LBB9_304:
	s_or_b32 exec_lo, exec_lo, s3
                                        ; implicit-def: $vgpr3_vgpr4
.LBB9_305:
	s_and_not1_saveexec_b32 s2, s2
	s_cbranch_execz .LBB9_311
; %bb.306:
	v_dual_mov_b32 v0, v3 :: v_dual_and_b32 v1, 0x7fffffff, v4
	s_mov_b32 s40, 0xea87b950
	s_mov_b32 s41, 0x3c545b8a
	;; [unrolled: 1-line block ×4, first 2 shown]
	v_div_scale_f64 v[5:6], null, v[0:1], v[0:1], 0x40400000
	v_div_scale_f64 v[0:1], vcc_lo, 0x40400000, v[0:1], 0x40400000
	s_mov_b32 s44, 0x94bb46c1
	s_mov_b32 s45, 0xbe5c4153
	s_mov_b32 s3, exec_lo
	s_delay_alu instid0(VALU_DEP_2) | instskip(SKIP_2) | instid1(VALU_DEP_1)
	v_rcp_f64_e32 v[7:8], v[5:6]
	s_waitcnt_depctr 0xfff
	v_fma_f64 v[9:10], -v[5:6], v[7:8], 1.0
	v_fma_f64 v[7:8], v[7:8], v[9:10], v[7:8]
	s_delay_alu instid0(VALU_DEP_1) | instskip(NEXT) | instid1(VALU_DEP_1)
	v_fma_f64 v[9:10], -v[5:6], v[7:8], 1.0
	v_fma_f64 v[7:8], v[7:8], v[9:10], v[7:8]
	s_delay_alu instid0(VALU_DEP_1) | instskip(NEXT) | instid1(VALU_DEP_1)
	v_mul_f64 v[9:10], v[0:1], v[7:8]
	v_fma_f64 v[0:1], -v[5:6], v[9:10], v[0:1]
	s_delay_alu instid0(VALU_DEP_1) | instskip(NEXT) | instid1(VALU_DEP_1)
	v_div_fmas_f64 v[0:1], v[0:1], v[7:8], v[9:10]
	v_div_fixup_f64 v[0:1], v[0:1], |v[3:4]|, 0x40400000
	s_delay_alu instid0(VALU_DEP_1) | instskip(NEXT) | instid1(VALU_DEP_1)
	v_add_f64 v[0:1], v[0:1], -2.0
	v_fma_f64 v[5:6], v[0:1], s[42:43], s[40:41]
	s_mov_b32 s43, 0xbc61556d
	s_mov_b32 s40, 0xb2532277
	;; [unrolled: 1-line block ×3, first 2 shown]
	s_delay_alu instid0(VALU_DEP_1) | instskip(SKIP_2) | instid1(VALU_DEP_1)
	v_fma_f64 v[7:8], v[0:1], v[5:6], s[42:43]
	s_mov_b32 s42, 0x5423dd80
	s_mov_b32 s43, 0xbe0334ca
	v_add_f64 v[7:8], v[7:8], s[40:41]
	s_mov_b32 s40, 0x9c773320
	s_mov_b32 s41, 0xbc82806c
	s_delay_alu instid0(VALU_DEP_1) | instskip(NEXT) | instid1(VALU_DEP_1)
	v_fma_f64 v[5:6], v[0:1], v[7:8], -v[5:6]
	v_add_f64 v[5:6], v[5:6], s[40:41]
	s_mov_b32 s40, 0xfceb588a
	s_mov_b32 s41, 0x3cb55915
	s_delay_alu instid0(VALU_DEP_1) | instskip(NEXT) | instid1(VALU_DEP_1)
	v_fma_f64 v[7:8], v[0:1], v[5:6], -v[7:8]
	;; [unrolled: 5-line block ×14, first 2 shown]
	v_add_f64 v[7:8], v[7:8], s[40:41]
	s_mov_b32 s40, 0x652b82fe
	s_mov_b32 s41, 0x3ff71547
	s_delay_alu instid0(SALU_CYCLE_1) | instskip(SKIP_2) | instid1(VALU_DEP_2)
	v_mul_f64 v[9:10], |v[3:4]|, s[40:41]
	s_mov_b32 s40, 0xfefa39ef
	s_mov_b32 s41, 0xbfe62e42
	v_fma_f64 v[5:6], v[0:1], v[7:8], -v[5:6]
	s_delay_alu instid0(VALU_DEP_2) | instskip(NEXT) | instid1(VALU_DEP_2)
	v_rndne_f64_e32 v[15:16], v[9:10]
	v_add_f64 v[5:6], v[5:6], s[42:43]
	s_mov_b32 s42, 0x9ad53528
	s_mov_b32 s43, 0xbe30790b
	s_delay_alu instid0(VALU_DEP_2) | instskip(SKIP_3) | instid1(VALU_DEP_3)
	v_fma_f64 v[9:10], v[15:16], s[40:41], |v[3:4]|
	s_mov_b32 s40, 0x3b39803f
	s_mov_b32 s41, 0xbc7abc9e
	v_cvt_i32_f64_e32 v13, v[15:16]
	v_fma_f64 v[7:8], v[0:1], v[5:6], -v[7:8]
	s_delay_alu instid0(VALU_DEP_3) | instskip(SKIP_2) | instid1(VALU_DEP_2)
	v_fma_f64 v[9:10], v[15:16], s[40:41], v[9:10]
	s_mov_b32 s40, 0xfca7ab0c
	s_mov_b32 s41, 0x3e928af3
	v_add_f64 v[7:8], v[7:8], s[42:43]
	s_mov_b32 s42, 0x6a5dcb37
	s_mov_b32 s43, 0x3e5ade15
	s_delay_alu instid0(VALU_DEP_2) | instid1(SALU_CYCLE_1)
	v_fma_f64 v[17:18], v[9:10], s[42:43], s[40:41]
	s_mov_b32 s40, 0x623fde64
	s_mov_b32 s41, 0x3ec71dee
	;; [unrolled: 1-line block ×4, first 2 shown]
	s_delay_alu instid0(VALU_DEP_2) | instskip(NEXT) | instid1(VALU_DEP_2)
	v_fma_f64 v[5:6], v[0:1], v[7:8], -v[5:6]
	v_fma_f64 v[17:18], v[9:10], v[17:18], s[40:41]
	s_mov_b32 s40, 0x7c89e6b0
	s_mov_b32 s41, 0x3efa0199
	s_delay_alu instid0(VALU_DEP_2) | instskip(NEXT) | instid1(VALU_DEP_2)
	v_add_f64 v[5:6], v[5:6], s[44:45]
	v_fma_f64 v[17:18], v[9:10], v[17:18], s[40:41]
	s_mov_b32 s40, 0x14761f6e
	s_mov_b32 s41, 0x3f2a01a0
	s_delay_alu instid0(VALU_DEP_2) | instskip(NEXT) | instid1(VALU_DEP_2)
	v_fma_f64 v[7:8], v[0:1], v[5:6], -v[7:8]
	v_fma_f64 v[17:18], v[9:10], v[17:18], s[40:41]
	s_mov_b32 s40, 0x1852b7b0
	s_mov_b32 s41, 0x3f56c16c
	s_delay_alu instid0(VALU_DEP_2) | instskip(SKIP_2) | instid1(VALU_DEP_2)
	v_add_f64 v[7:8], v[7:8], s[42:43]
	s_mov_b32 s42, 0x49ca0373
	s_mov_b32 s43, 0xbed048df
	v_fma_f64 v[17:18], v[9:10], v[17:18], s[40:41]
	s_mov_b32 s40, 0x11122322
	s_mov_b32 s41, 0x3f811111
	s_delay_alu instid0(VALU_DEP_2) | instskip(NEXT) | instid1(VALU_DEP_1)
	v_fma_f64 v[5:6], v[0:1], v[7:8], -v[5:6]
	v_add_f64 v[19:20], v[5:6], s[42:43]
	s_delay_alu instid0(VALU_DEP_3) | instskip(SKIP_4) | instid1(VALU_DEP_2)
	v_fma_f64 v[5:6], v[9:10], v[17:18], s[40:41]
	s_mov_b32 s40, 0x555502a1
	s_mov_b32 s42, 0x804aa9a6
	;; [unrolled: 1-line block ×4, first 2 shown]
	v_fma_f64 v[7:8], v[0:1], v[19:20], -v[7:8]
	s_delay_alu instid0(VALU_DEP_2) | instskip(SKIP_2) | instid1(VALU_DEP_2)
	v_fma_f64 v[17:18], v[9:10], v[5:6], s[40:41]
	s_mov_b32 s40, 0x55555511
	s_mov_b32 s41, 0x3fc55555
	v_add_f64 v[5:6], v[7:8], s[42:43]
	s_delay_alu instid0(VALU_DEP_2) | instskip(SKIP_4) | instid1(VALU_DEP_2)
	v_fma_f64 v[7:8], v[9:10], v[17:18], s[40:41]
	s_mov_b32 s40, 11
	s_mov_b32 s42, 0x53fcdb4c
	;; [unrolled: 1-line block ×4, first 2 shown]
	v_fma_f64 v[17:18], v[0:1], v[5:6], -v[19:20]
	s_delay_alu instid0(VALU_DEP_2) | instskip(SKIP_2) | instid1(VALU_DEP_2)
	v_fma_f64 v[7:8], v[9:10], v[7:8], s[40:41]
	s_mov_b32 s40, 0xb55b1514
	s_mov_b32 s41, 0x3fe8ea18
	v_add_f64 v[17:18], v[17:18], s[42:43]
	s_delay_alu instid0(VALU_DEP_2) | instskip(NEXT) | instid1(VALU_DEP_2)
	v_fma_f64 v[7:8], v[9:10], v[7:8], 1.0
	v_fma_f64 v[0:1], v[0:1], v[17:18], -v[5:6]
	s_delay_alu instid0(VALU_DEP_2) | instskip(NEXT) | instid1(VALU_DEP_2)
	v_fma_f64 v[7:8], v[9:10], v[7:8], 1.0
	v_add_f64 v[9:10], v[0:1], s[40:41]
                                        ; implicit-def: $vgpr0_vgpr1
	v_cmpx_ngt_f64_e32 0, v[3:4]
	s_xor_b32 s3, exec_lo, s3
	s_cbranch_execz .LBB9_308
; %bb.307:
	v_cmp_gt_f64_e64 s23, 0x10000000, |v[3:4]|
	s_delay_alu instid0(VALU_DEP_4) | instskip(SKIP_2) | instid1(VALU_DEP_4)
	v_ldexp_f64 v[7:8], v[7:8], v13
	v_cmp_nlt_f64_e64 vcc_lo, 0x40900000, |v[3:4]|
	v_add_f64 v[5:6], v[9:10], -v[5:6]
                                        ; implicit-def: $vgpr13
	v_cndmask_b32_e64 v0, 0, 1, s23
	v_cndmask_b32_e64 v9, 0, 0xffffff80, s23
	v_cndmask_b32_e32 v8, 0x7ff00000, v8, vcc_lo
	s_delay_alu instid0(VALU_DEP_4) | instskip(NEXT) | instid1(VALU_DEP_4)
	v_mul_f64 v[5:6], v[5:6], 0.5
	v_dual_cndmask_b32 v7, 0, v7 :: v_dual_lshlrev_b32 v0, 8, v0
	s_delay_alu instid0(VALU_DEP_1) | instskip(NEXT) | instid1(VALU_DEP_2)
	v_ldexp_f64 v[0:1], |v[3:4]|, v0
	v_mul_f64 v[5:6], v[7:8], v[5:6]
	s_delay_alu instid0(VALU_DEP_2) | instskip(SKIP_4) | instid1(VALU_DEP_1)
	v_rsq_f64_e32 v[15:16], v[0:1]
	v_cmp_class_f64_e64 vcc_lo, v[0:1], 0x260
	s_waitcnt_depctr 0xfff
	v_mul_f64 v[17:18], v[0:1], v[15:16]
	v_mul_f64 v[15:16], v[15:16], 0.5
	v_fma_f64 v[19:20], -v[15:16], v[17:18], 0.5
	s_delay_alu instid0(VALU_DEP_1) | instskip(SKIP_1) | instid1(VALU_DEP_2)
	v_fma_f64 v[17:18], v[17:18], v[19:20], v[17:18]
	v_fma_f64 v[15:16], v[15:16], v[19:20], v[15:16]
	v_fma_f64 v[19:20], -v[17:18], v[17:18], v[0:1]
	s_delay_alu instid0(VALU_DEP_1) | instskip(NEXT) | instid1(VALU_DEP_1)
	v_fma_f64 v[17:18], v[19:20], v[15:16], v[17:18]
	v_fma_f64 v[19:20], -v[17:18], v[17:18], v[0:1]
	s_delay_alu instid0(VALU_DEP_1) | instskip(NEXT) | instid1(VALU_DEP_1)
	v_fma_f64 v[3:4], v[19:20], v[15:16], v[17:18]
	v_ldexp_f64 v[3:4], v[3:4], v9
	s_delay_alu instid0(VALU_DEP_1) | instskip(NEXT) | instid1(VALU_DEP_1)
	v_dual_cndmask_b32 v1, v4, v1 :: v_dual_cndmask_b32 v0, v3, v0
	v_div_scale_f64 v[3:4], null, v[0:1], v[0:1], v[5:6]
	s_delay_alu instid0(VALU_DEP_1) | instskip(SKIP_2) | instid1(VALU_DEP_1)
	v_rcp_f64_e32 v[7:8], v[3:4]
	s_waitcnt_depctr 0xfff
	v_fma_f64 v[9:10], -v[3:4], v[7:8], 1.0
	v_fma_f64 v[7:8], v[7:8], v[9:10], v[7:8]
	s_delay_alu instid0(VALU_DEP_1) | instskip(NEXT) | instid1(VALU_DEP_1)
	v_fma_f64 v[9:10], -v[3:4], v[7:8], 1.0
	v_fma_f64 v[7:8], v[7:8], v[9:10], v[7:8]
	v_div_scale_f64 v[9:10], vcc_lo, v[5:6], v[0:1], v[5:6]
	s_delay_alu instid0(VALU_DEP_1) | instskip(NEXT) | instid1(VALU_DEP_1)
	v_mul_f64 v[15:16], v[9:10], v[7:8]
	v_fma_f64 v[3:4], -v[3:4], v[15:16], v[9:10]
                                        ; implicit-def: $vgpr9_vgpr10
	s_delay_alu instid0(VALU_DEP_1) | instskip(NEXT) | instid1(VALU_DEP_1)
	v_div_fmas_f64 v[3:4], v[3:4], v[7:8], v[15:16]
                                        ; implicit-def: $vgpr7_vgpr8
	v_div_fixup_f64 v[0:1], v[3:4], v[0:1], v[5:6]
                                        ; implicit-def: $vgpr5_vgpr6
                                        ; implicit-def: $vgpr3_vgpr4
.LBB9_308:
	s_and_not1_saveexec_b32 s3, s3
	s_cbranch_execz .LBB9_310
; %bb.309:
	v_cmp_gt_f64_e64 s23, 0x10000000, |v[3:4]|
	s_delay_alu instid0(VALU_DEP_4) | instskip(SKIP_2) | instid1(VALU_DEP_4)
	v_ldexp_f64 v[7:8], -v[7:8], v13
	v_cmp_nlt_f64_e64 vcc_lo, 0x40900000, |v[3:4]|
	v_add_f64 v[5:6], v[9:10], -v[5:6]
	v_cndmask_b32_e64 v0, 0, 1, s23
	v_cndmask_b32_e64 v9, 0, 0xffffff80, s23
	v_cndmask_b32_e32 v8, 0xfff00000, v8, vcc_lo
	s_delay_alu instid0(VALU_DEP_4) | instskip(NEXT) | instid1(VALU_DEP_4)
	v_mul_f64 v[5:6], v[5:6], 0.5
	v_dual_cndmask_b32 v7, 0, v7 :: v_dual_lshlrev_b32 v0, 8, v0
	s_delay_alu instid0(VALU_DEP_1) | instskip(NEXT) | instid1(VALU_DEP_2)
	v_ldexp_f64 v[0:1], |v[3:4]|, v0
	v_mul_f64 v[5:6], v[7:8], v[5:6]
	s_delay_alu instid0(VALU_DEP_2) | instskip(SKIP_4) | instid1(VALU_DEP_1)
	v_rsq_f64_e32 v[15:16], v[0:1]
	v_cmp_class_f64_e64 vcc_lo, v[0:1], 0x260
	s_waitcnt_depctr 0xfff
	v_mul_f64 v[17:18], v[0:1], v[15:16]
	v_mul_f64 v[15:16], v[15:16], 0.5
	v_fma_f64 v[19:20], -v[15:16], v[17:18], 0.5
	s_delay_alu instid0(VALU_DEP_1) | instskip(SKIP_1) | instid1(VALU_DEP_2)
	v_fma_f64 v[17:18], v[17:18], v[19:20], v[17:18]
	v_fma_f64 v[15:16], v[15:16], v[19:20], v[15:16]
	v_fma_f64 v[19:20], -v[17:18], v[17:18], v[0:1]
	s_delay_alu instid0(VALU_DEP_1) | instskip(NEXT) | instid1(VALU_DEP_1)
	v_fma_f64 v[17:18], v[19:20], v[15:16], v[17:18]
	v_fma_f64 v[19:20], -v[17:18], v[17:18], v[0:1]
	s_delay_alu instid0(VALU_DEP_1) | instskip(NEXT) | instid1(VALU_DEP_1)
	v_fma_f64 v[3:4], v[19:20], v[15:16], v[17:18]
	v_ldexp_f64 v[3:4], v[3:4], v9
	s_delay_alu instid0(VALU_DEP_1) | instskip(NEXT) | instid1(VALU_DEP_1)
	v_dual_cndmask_b32 v1, v4, v1 :: v_dual_cndmask_b32 v0, v3, v0
	v_div_scale_f64 v[3:4], null, v[0:1], v[0:1], v[5:6]
	s_delay_alu instid0(VALU_DEP_1) | instskip(SKIP_2) | instid1(VALU_DEP_1)
	v_rcp_f64_e32 v[7:8], v[3:4]
	s_waitcnt_depctr 0xfff
	v_fma_f64 v[9:10], -v[3:4], v[7:8], 1.0
	v_fma_f64 v[7:8], v[7:8], v[9:10], v[7:8]
	s_delay_alu instid0(VALU_DEP_1) | instskip(NEXT) | instid1(VALU_DEP_1)
	v_fma_f64 v[9:10], -v[3:4], v[7:8], 1.0
	v_fma_f64 v[7:8], v[7:8], v[9:10], v[7:8]
	v_div_scale_f64 v[9:10], vcc_lo, v[5:6], v[0:1], v[5:6]
	s_delay_alu instid0(VALU_DEP_1) | instskip(NEXT) | instid1(VALU_DEP_1)
	v_mul_f64 v[15:16], v[9:10], v[7:8]
	v_fma_f64 v[3:4], -v[3:4], v[15:16], v[9:10]
	s_delay_alu instid0(VALU_DEP_1) | instskip(NEXT) | instid1(VALU_DEP_1)
	v_div_fmas_f64 v[3:4], v[3:4], v[7:8], v[15:16]
	v_div_fixup_f64 v[0:1], v[3:4], v[0:1], v[5:6]
.LBB9_310:
	s_or_b32 exec_lo, exec_lo, s3
.LBB9_311:
	s_delay_alu instid0(SALU_CYCLE_1) | instskip(SKIP_2) | instid1(VALU_DEP_1)
	s_or_b32 exec_lo, exec_lo, s2
	v_and_b32_e32 v6, 0xff, v11
	v_add_co_u32 v4, s2, s4, v2
	v_add_co_ci_u32_e64 v5, null, s5, 0, s2
	s_delay_alu instid0(VALU_DEP_3)
	v_cmp_gt_i16_e32 vcc_lo, 11, v6
	s_mov_b32 s3, 0
	s_mov_b32 s23, -1
	s_mov_b32 s2, s34
	s_cbranch_vccnz .LBB9_318
; %bb.312:
	v_cmp_lt_i16_e32 vcc_lo, 25, v6
	s_cbranch_vccz .LBB9_360
; %bb.313:
	v_cmp_lt_i16_e32 vcc_lo, 28, v6
	s_cbranch_vccz .LBB9_362
	;; [unrolled: 3-line block ×4, first 2 shown]
; %bb.316:
	v_cmp_eq_u16_e32 vcc_lo, 46, v6
	s_mov_b32 s23, 0
	s_mov_b32 s2, -1
	s_cbranch_vccz .LBB9_373
; %bb.317:
	v_cvt_f32_f64_e32 v2, v[0:1]
	s_mov_b32 s3, -1
	s_mov_b32 s2, 0
	s_delay_alu instid0(VALU_DEP_1) | instskip(SKIP_1) | instid1(VALU_DEP_2)
	v_bfe_u32 v3, v2, 16, 1
	v_cmp_o_f32_e32 vcc_lo, v2, v2
	v_add3_u32 v3, v2, v3, 0x7fff
	s_delay_alu instid0(VALU_DEP_1) | instskip(NEXT) | instid1(VALU_DEP_1)
	v_lshrrev_b32_e32 v3, 16, v3
	v_cndmask_b32_e32 v2, 0x7fc0, v3, vcc_lo
	global_store_b32 v[4:5], v2, off
	s_branch .LBB9_373
.LBB9_318:
	s_and_b32 vcc_lo, exec_lo, s23
	s_cbranch_vccz .LBB9_442
; %bb.319:
	v_cmp_gt_i16_e32 vcc_lo, 5, v6
	s_mov_b32 s3, -1
	s_cbranch_vccnz .LBB9_340
; %bb.320:
	v_cmp_gt_i16_e32 vcc_lo, 8, v6
	s_cbranch_vccnz .LBB9_330
; %bb.321:
	v_cmp_gt_i16_e32 vcc_lo, 9, v6
	s_cbranch_vccnz .LBB9_327
; %bb.322:
	v_cmp_lt_i16_e32 vcc_lo, 9, v6
	s_cbranch_vccz .LBB9_324
; %bb.323:
	v_mov_b32_e32 v2, 0
	s_mov_b32 s3, 0
	s_delay_alu instid0(VALU_DEP_1)
	v_mov_b32_e32 v3, v2
	global_store_b128 v[4:5], v[0:3], off
.LBB9_324:
	s_and_not1_b32 vcc_lo, exec_lo, s3
	s_cbranch_vccnz .LBB9_326
; %bb.325:
	v_cvt_f32_f64_e32 v2, v[0:1]
	v_mov_b32_e32 v3, 0
	global_store_b64 v[4:5], v[2:3], off
.LBB9_326:
	s_mov_b32 s3, 0
.LBB9_327:
	s_delay_alu instid0(SALU_CYCLE_1)
	s_and_not1_b32 vcc_lo, exec_lo, s3
	s_cbranch_vccnz .LBB9_329
; %bb.328:
	v_cvt_f32_f64_e32 v2, v[0:1]
	s_delay_alu instid0(VALU_DEP_1) | instskip(NEXT) | instid1(VALU_DEP_1)
	v_cvt_f16_f32_e32 v2, v2
	v_and_b32_e32 v2, 0xffff, v2
	global_store_b32 v[4:5], v2, off
.LBB9_329:
	s_mov_b32 s3, 0
.LBB9_330:
	s_delay_alu instid0(SALU_CYCLE_1)
	s_and_not1_b32 vcc_lo, exec_lo, s3
	s_cbranch_vccnz .LBB9_339
; %bb.331:
	v_cmp_gt_i16_e32 vcc_lo, 6, v6
	s_mov_b32 s3, -1
	s_cbranch_vccnz .LBB9_337
; %bb.332:
	v_cmp_lt_i16_e32 vcc_lo, 6, v6
	s_cbranch_vccz .LBB9_334
; %bb.333:
	s_mov_b32 s3, 0
	global_store_b64 v[4:5], v[0:1], off
.LBB9_334:
	s_and_not1_b32 vcc_lo, exec_lo, s3
	s_cbranch_vccnz .LBB9_336
; %bb.335:
	v_cvt_f32_f64_e32 v2, v[0:1]
	global_store_b32 v[4:5], v2, off
.LBB9_336:
	s_mov_b32 s3, 0
.LBB9_337:
	s_delay_alu instid0(SALU_CYCLE_1)
	s_and_not1_b32 vcc_lo, exec_lo, s3
	s_cbranch_vccnz .LBB9_339
; %bb.338:
	v_cvt_f32_f64_e32 v2, v[0:1]
	s_delay_alu instid0(VALU_DEP_1)
	v_cvt_f16_f32_e32 v2, v2
	global_store_b16 v[4:5], v2, off
.LBB9_339:
	s_mov_b32 s3, 0
.LBB9_340:
	s_delay_alu instid0(SALU_CYCLE_1)
	s_and_not1_b32 vcc_lo, exec_lo, s3
	s_cbranch_vccnz .LBB9_356
; %bb.341:
	v_cmp_gt_i16_e32 vcc_lo, 2, v6
	s_mov_b32 s3, -1
	s_cbranch_vccnz .LBB9_351
; %bb.342:
	v_cmp_gt_i16_e32 vcc_lo, 3, v6
	s_cbranch_vccnz .LBB9_348
; %bb.343:
	v_cmp_lt_i16_e32 vcc_lo, 3, v6
	s_cbranch_vccz .LBB9_345
; %bb.344:
	v_trunc_f64_e32 v[2:3], v[0:1]
	s_mov_b32 s3, 0
	s_delay_alu instid0(VALU_DEP_1) | instskip(NEXT) | instid1(VALU_DEP_1)
	v_ldexp_f64 v[7:8], v[2:3], 0xffffffe0
	v_floor_f64_e32 v[7:8], v[7:8]
	s_delay_alu instid0(VALU_DEP_1) | instskip(SKIP_1) | instid1(VALU_DEP_2)
	v_fma_f64 v[2:3], 0xc1f00000, v[7:8], v[2:3]
	v_cvt_i32_f64_e32 v8, v[7:8]
	v_cvt_u32_f64_e32 v7, v[2:3]
	global_store_b64 v[4:5], v[7:8], off
.LBB9_345:
	s_and_not1_b32 vcc_lo, exec_lo, s3
	s_cbranch_vccnz .LBB9_347
; %bb.346:
	v_cvt_i32_f64_e32 v2, v[0:1]
	global_store_b32 v[4:5], v2, off
.LBB9_347:
	s_mov_b32 s3, 0
.LBB9_348:
	s_delay_alu instid0(SALU_CYCLE_1)
	s_and_not1_b32 vcc_lo, exec_lo, s3
	s_cbranch_vccnz .LBB9_350
; %bb.349:
	v_cvt_i32_f64_e32 v2, v[0:1]
	global_store_b16 v[4:5], v2, off
.LBB9_350:
	s_mov_b32 s3, 0
.LBB9_351:
	s_delay_alu instid0(SALU_CYCLE_1)
	s_and_not1_b32 vcc_lo, exec_lo, s3
	s_cbranch_vccnz .LBB9_356
; %bb.352:
	v_cmp_lt_i16_e32 vcc_lo, 0, v6
	s_mov_b32 s3, -1
	s_cbranch_vccz .LBB9_354
; %bb.353:
	v_cvt_i32_f64_e32 v2, v[0:1]
	s_mov_b32 s3, 0
	global_store_b8 v[4:5], v2, off
.LBB9_354:
	s_and_not1_b32 vcc_lo, exec_lo, s3
	s_cbranch_vccnz .LBB9_356
; %bb.355:
	v_trunc_f64_e32 v[0:1], v[0:1]
	s_delay_alu instid0(VALU_DEP_1) | instskip(NEXT) | instid1(VALU_DEP_1)
	v_ldexp_f64 v[2:3], v[0:1], 0xffffffe0
	v_floor_f64_e32 v[2:3], v[2:3]
	s_delay_alu instid0(VALU_DEP_1) | instskip(NEXT) | instid1(VALU_DEP_1)
	v_fma_f64 v[0:1], 0xc1f00000, v[2:3], v[0:1]
	v_cvt_u32_f64_e32 v0, v[0:1]
	global_store_b8 v[4:5], v0, off
.LBB9_356:
	s_branch .LBB9_443
.LBB9_357:
	s_mov_b32 s3, 0
	s_branch .LBB9_555
.LBB9_358:
	s_mov_b32 s3, -1
	s_mov_b32 s22, s35
                                        ; implicit-def: $vgpr3_vgpr4
	s_branch .LBB9_472
.LBB9_359:
	s_mov_b32 s3, -1
	s_mov_b32 s22, s35
                                        ; implicit-def: $vgpr3_vgpr4
	s_branch .LBB9_451
.LBB9_360:
	s_mov_b32 s2, s34
	s_branch .LBB9_400
.LBB9_361:
	s_mov_b32 s3, -1
	s_mov_b32 s22, s35
                                        ; implicit-def: $vgpr3_vgpr4
	s_branch .LBB9_446
.LBB9_362:
	s_mov_b32 s2, s34
	s_branch .LBB9_383
.LBB9_363:
	s_mov_b32 s3, -1
	s_mov_b32 s22, s35
	s_branch .LBB9_368
.LBB9_364:
	s_mov_b32 s2, s34
	s_branch .LBB9_379
.LBB9_365:
	s_or_saveexec_b32 s34, s34
                                        ; implicit-def: $sgpr35
	s_delay_alu instid0(SALU_CYCLE_1)
	s_xor_b32 exec_lo, exec_lo, s34
	s_cbranch_execz .LBB9_77
.LBB9_366:
	v_add_f32_e64 v3, 0x42800000, |v2|
	s_and_not1_b32 s23, s23, exec_lo
	s_mov_b32 s35, 0
	s_delay_alu instid0(VALU_DEP_1) | instskip(NEXT) | instid1(VALU_DEP_1)
	v_and_b32_e32 v3, 0xff, v3
	v_cmp_ne_u32_e32 vcc_lo, 0, v3
	s_and_b32 s38, vcc_lo, exec_lo
	s_delay_alu instid0(SALU_CYCLE_1)
	s_or_b32 s23, s23, s38
	s_or_b32 exec_lo, exec_lo, s34
	v_mov_b32_e32 v7, s35
	s_and_saveexec_b32 s34, s23
	s_cbranch_execnz .LBB9_78
	s_branch .LBB9_79
.LBB9_367:
	s_mov_b32 s22, -1
.LBB9_368:
                                        ; implicit-def: $vgpr3_vgpr4
.LBB9_369:
	s_and_b32 vcc_lo, exec_lo, s3
	s_cbranch_vccz .LBB9_445
; %bb.370:
	v_cmp_eq_u16_e32 vcc_lo, 44, v12
	s_cbranch_vccz .LBB9_444
; %bb.371:
	global_load_u8 v5, v[0:1], off
	s_mov_b32 s22, 0
	s_mov_b32 s2, -1
	s_waitcnt vmcnt(0)
	v_cmp_ne_u32_e32 vcc_lo, 0xff, v5
	v_lshlrev_b32_e32 v3, 23, v5
	s_delay_alu instid0(VALU_DEP_1) | instskip(NEXT) | instid1(VALU_DEP_1)
	v_cvt_f64_f32_e32 v[3:4], v3
	v_cndmask_b32_e32 v4, 0x7ff80000, v4, vcc_lo
	s_delay_alu instid0(VALU_DEP_2) | instskip(SKIP_1) | instid1(VALU_DEP_3)
	v_cndmask_b32_e32 v3, 0x20000000, v3, vcc_lo
	v_cmp_ne_u32_e32 vcc_lo, 0, v5
	v_cndmask_b32_e32 v4, 0x38000000, v4, vcc_lo
	s_delay_alu instid0(VALU_DEP_3)
	v_cndmask_b32_e32 v3, 0, v3, vcc_lo
	s_branch .LBB9_445
.LBB9_372:
	s_mov_b32 s2, s34
.LBB9_373:
	s_and_b32 vcc_lo, exec_lo, s23
	s_cbranch_vccz .LBB9_378
; %bb.374:
	v_cmp_eq_u16_e32 vcc_lo, 44, v6
	s_mov_b32 s2, -1
	s_cbranch_vccz .LBB9_378
; %bb.375:
	v_cvt_f32_f64_e32 v2, v[0:1]
	v_mov_b32_e32 v3, 0xff
	s_mov_b32 s3, exec_lo
	s_delay_alu instid0(VALU_DEP_2) | instskip(NEXT) | instid1(VALU_DEP_1)
	v_bfe_u32 v7, v2, 23, 8
	v_cmpx_ne_u32_e32 0xff, v7
; %bb.376:
	v_and_b32_e32 v3, 0x400000, v2
	v_and_or_b32 v7, 0x3fffff, v2, v7
	v_lshrrev_b32_e32 v2, 23, v2
	s_delay_alu instid0(VALU_DEP_3) | instskip(NEXT) | instid1(VALU_DEP_3)
	v_cmp_ne_u32_e32 vcc_lo, 0, v3
	v_cmp_ne_u32_e64 s2, 0, v7
	s_delay_alu instid0(VALU_DEP_1) | instskip(NEXT) | instid1(SALU_CYCLE_1)
	s_and_b32 s2, vcc_lo, s2
	v_cndmask_b32_e64 v3, 0, 1, s2
	s_delay_alu instid0(VALU_DEP_1)
	v_add_nc_u32_e32 v3, v2, v3
; %bb.377:
	s_or_b32 exec_lo, exec_lo, s3
	s_mov_b32 s3, -1
	s_mov_b32 s2, 0
	global_store_b8 v[4:5], v3, off
.LBB9_378:
	s_mov_b32 s23, 0
.LBB9_379:
	s_delay_alu instid0(SALU_CYCLE_1)
	s_and_b32 vcc_lo, exec_lo, s23
	s_cbranch_vccz .LBB9_382
; %bb.380:
	v_cmp_eq_u16_e32 vcc_lo, 29, v6
	s_mov_b32 s2, -1
	s_cbranch_vccz .LBB9_382
; %bb.381:
	v_trunc_f64_e32 v[2:3], v[0:1]
	s_mov_b32 s3, -1
	s_mov_b32 s2, 0
	s_mov_b32 s23, 0
	s_delay_alu instid0(VALU_DEP_1) | instskip(NEXT) | instid1(VALU_DEP_1)
	v_ldexp_f64 v[7:8], v[2:3], 0xffffffe0
	v_floor_f64_e32 v[7:8], v[7:8]
	s_delay_alu instid0(VALU_DEP_1) | instskip(SKIP_1) | instid1(VALU_DEP_2)
	v_fma_f64 v[2:3], 0xc1f00000, v[7:8], v[2:3]
	v_cvt_u32_f64_e32 v8, v[7:8]
	v_cvt_u32_f64_e32 v7, v[2:3]
	global_store_b64 v[4:5], v[7:8], off
	s_branch .LBB9_383
.LBB9_382:
	s_mov_b32 s23, 0
.LBB9_383:
	s_delay_alu instid0(SALU_CYCLE_1)
	s_and_b32 vcc_lo, exec_lo, s23
	s_cbranch_vccz .LBB9_399
; %bb.384:
	v_cmp_gt_i16_e32 vcc_lo, 27, v6
	s_mov_b32 s3, -1
	s_cbranch_vccnz .LBB9_390
; %bb.385:
	v_cmp_lt_i16_e32 vcc_lo, 27, v6
	s_cbranch_vccz .LBB9_387
; %bb.386:
	v_cvt_u32_f64_e32 v2, v[0:1]
	s_mov_b32 s3, 0
	global_store_b32 v[4:5], v2, off
.LBB9_387:
	s_and_not1_b32 vcc_lo, exec_lo, s3
	s_cbranch_vccnz .LBB9_389
; %bb.388:
	v_cvt_u32_f64_e32 v2, v[0:1]
	global_store_b16 v[4:5], v2, off
.LBB9_389:
	s_mov_b32 s3, 0
.LBB9_390:
	s_delay_alu instid0(SALU_CYCLE_1)
	s_and_not1_b32 vcc_lo, exec_lo, s3
	s_cbranch_vccnz .LBB9_398
; %bb.391:
	v_cvt_f32_f64_e32 v2, v[0:1]
	v_mov_b32_e32 v7, 0x80
	s_mov_b32 s3, exec_lo
	s_delay_alu instid0(VALU_DEP_2) | instskip(NEXT) | instid1(VALU_DEP_1)
	v_and_b32_e32 v3, 0x7fffffff, v2
	v_cmpx_gt_u32_e32 0x43800000, v3
	s_cbranch_execz .LBB9_397
; %bb.392:
	v_cmp_lt_u32_e32 vcc_lo, 0x3bffffff, v3
	s_mov_b32 s23, 0
                                        ; implicit-def: $vgpr3
	s_and_saveexec_b32 s37, vcc_lo
	s_delay_alu instid0(SALU_CYCLE_1)
	s_xor_b32 s37, exec_lo, s37
	s_cbranch_execz .LBB9_583
; %bb.393:
	v_bfe_u32 v3, v2, 20, 1
	s_mov_b32 s23, exec_lo
	s_delay_alu instid0(VALU_DEP_1) | instskip(NEXT) | instid1(VALU_DEP_1)
	v_add3_u32 v3, v2, v3, 0x487ffff
	v_lshrrev_b32_e32 v3, 20, v3
	s_or_saveexec_b32 s37, s37
                                        ; implicit-def: $sgpr38
	s_delay_alu instid0(SALU_CYCLE_1)
	s_xor_b32 exec_lo, exec_lo, s37
	s_cbranch_execnz .LBB9_584
.LBB9_394:
	s_or_b32 exec_lo, exec_lo, s37
	v_mov_b32_e32 v7, s38
	s_and_saveexec_b32 s37, s23
.LBB9_395:
	v_lshrrev_b32_e32 v2, 24, v2
	s_delay_alu instid0(VALU_DEP_1)
	v_and_or_b32 v7, 0x80, v2, v3
.LBB9_396:
	s_or_b32 exec_lo, exec_lo, s37
.LBB9_397:
	s_delay_alu instid0(SALU_CYCLE_1)
	s_or_b32 exec_lo, exec_lo, s3
	global_store_b8 v[4:5], v7, off
.LBB9_398:
	s_mov_b32 s3, -1
.LBB9_399:
	s_mov_b32 s23, 0
.LBB9_400:
	s_delay_alu instid0(SALU_CYCLE_1)
	s_and_b32 vcc_lo, exec_lo, s23
	s_cbranch_vccz .LBB9_441
; %bb.401:
	v_cmp_lt_i16_e32 vcc_lo, 22, v6
	s_mov_b32 s23, -1
	s_cbranch_vccz .LBB9_433
; %bb.402:
	v_cmp_gt_i16_e32 vcc_lo, 24, v6
	s_mov_b32 s3, -1
	s_cbranch_vccnz .LBB9_422
; %bb.403:
	v_cmp_lt_i16_e32 vcc_lo, 24, v6
	s_cbranch_vccz .LBB9_411
; %bb.404:
	v_cvt_f32_f64_e32 v2, v[0:1]
	v_mov_b32_e32 v7, 0x80
	s_mov_b32 s3, exec_lo
	s_delay_alu instid0(VALU_DEP_2) | instskip(NEXT) | instid1(VALU_DEP_1)
	v_and_b32_e32 v3, 0x7fffffff, v2
	v_cmpx_gt_u32_e32 0x47800000, v3
	s_cbranch_execz .LBB9_410
; %bb.405:
	v_cmp_lt_u32_e32 vcc_lo, 0x37ffffff, v3
	s_mov_b32 s23, 0
                                        ; implicit-def: $vgpr3
	s_and_saveexec_b32 s37, vcc_lo
	s_delay_alu instid0(SALU_CYCLE_1)
	s_xor_b32 s37, exec_lo, s37
	s_cbranch_execz .LBB9_586
; %bb.406:
	v_bfe_u32 v3, v2, 21, 1
	s_mov_b32 s23, exec_lo
	s_delay_alu instid0(VALU_DEP_1) | instskip(NEXT) | instid1(VALU_DEP_1)
	v_add3_u32 v3, v2, v3, 0x88fffff
	v_lshrrev_b32_e32 v3, 21, v3
	s_or_saveexec_b32 s37, s37
                                        ; implicit-def: $sgpr38
	s_delay_alu instid0(SALU_CYCLE_1)
	s_xor_b32 exec_lo, exec_lo, s37
	s_cbranch_execnz .LBB9_587
.LBB9_407:
	s_or_b32 exec_lo, exec_lo, s37
	v_mov_b32_e32 v7, s38
	s_and_saveexec_b32 s37, s23
.LBB9_408:
	v_lshrrev_b32_e32 v2, 24, v2
	s_delay_alu instid0(VALU_DEP_1)
	v_and_or_b32 v7, 0x80, v2, v3
.LBB9_409:
	s_or_b32 exec_lo, exec_lo, s37
.LBB9_410:
	s_delay_alu instid0(SALU_CYCLE_1)
	s_or_b32 exec_lo, exec_lo, s3
	s_mov_b32 s3, 0
	global_store_b8 v[4:5], v7, off
.LBB9_411:
	s_and_b32 vcc_lo, exec_lo, s3
	s_cbranch_vccz .LBB9_421
; %bb.412:
	v_cvt_f32_f64_e32 v2, v[0:1]
	s_mov_b32 s3, exec_lo
                                        ; implicit-def: $vgpr3
	s_delay_alu instid0(VALU_DEP_1) | instskip(NEXT) | instid1(VALU_DEP_1)
	v_and_b32_e32 v7, 0x7fffffff, v2
	v_cmpx_gt_u32_e32 0x43f00000, v7
	s_xor_b32 s3, exec_lo, s3
	s_cbranch_execz .LBB9_418
; %bb.413:
	s_mov_b32 s23, exec_lo
                                        ; implicit-def: $vgpr3
	v_cmpx_lt_u32_e32 0x3c7fffff, v7
	s_xor_b32 s23, exec_lo, s23
; %bb.414:
	v_bfe_u32 v3, v2, 20, 1
	s_delay_alu instid0(VALU_DEP_1) | instskip(NEXT) | instid1(VALU_DEP_1)
	v_add3_u32 v3, v2, v3, 0x407ffff
	v_and_b32_e32 v7, 0xff00000, v3
	v_lshrrev_b32_e32 v3, 20, v3
	s_delay_alu instid0(VALU_DEP_2) | instskip(NEXT) | instid1(VALU_DEP_2)
	v_cmp_ne_u32_e32 vcc_lo, 0x7f00000, v7
	v_cndmask_b32_e32 v3, 0x7e, v3, vcc_lo
; %bb.415:
	s_and_not1_saveexec_b32 s23, s23
; %bb.416:
	v_add_f32_e64 v3, 0x46800000, |v2|
; %bb.417:
	s_or_b32 exec_lo, exec_lo, s23
                                        ; implicit-def: $vgpr7
.LBB9_418:
	s_and_not1_saveexec_b32 s3, s3
; %bb.419:
	v_mov_b32_e32 v3, 0x7f
	v_cmp_lt_u32_e32 vcc_lo, 0x7f800000, v7
	s_delay_alu instid0(VALU_DEP_2)
	v_cndmask_b32_e32 v3, 0x7e, v3, vcc_lo
; %bb.420:
	s_or_b32 exec_lo, exec_lo, s3
	v_lshrrev_b32_e32 v2, 24, v2
	s_delay_alu instid0(VALU_DEP_1)
	v_and_or_b32 v2, 0x80, v2, v3
	global_store_b8 v[4:5], v2, off
.LBB9_421:
	s_mov_b32 s3, 0
.LBB9_422:
	s_delay_alu instid0(SALU_CYCLE_1)
	s_and_not1_b32 vcc_lo, exec_lo, s3
	s_cbranch_vccnz .LBB9_432
; %bb.423:
	v_cvt_f32_f64_e32 v2, v[0:1]
	s_mov_b32 s3, exec_lo
                                        ; implicit-def: $vgpr3
	s_delay_alu instid0(VALU_DEP_1) | instskip(NEXT) | instid1(VALU_DEP_1)
	v_and_b32_e32 v7, 0x7fffffff, v2
	v_cmpx_gt_u32_e32 0x47800000, v7
	s_xor_b32 s3, exec_lo, s3
	s_cbranch_execz .LBB9_429
; %bb.424:
	s_mov_b32 s23, exec_lo
                                        ; implicit-def: $vgpr3
	v_cmpx_lt_u32_e32 0x387fffff, v7
	s_xor_b32 s23, exec_lo, s23
; %bb.425:
	v_bfe_u32 v3, v2, 21, 1
	s_delay_alu instid0(VALU_DEP_1) | instskip(NEXT) | instid1(VALU_DEP_1)
	v_add3_u32 v3, v2, v3, 0x80fffff
	v_lshrrev_b32_e32 v3, 21, v3
; %bb.426:
	s_and_not1_saveexec_b32 s23, s23
; %bb.427:
	v_add_f32_e64 v3, 0x43000000, |v2|
; %bb.428:
	s_or_b32 exec_lo, exec_lo, s23
                                        ; implicit-def: $vgpr7
.LBB9_429:
	s_and_not1_saveexec_b32 s3, s3
; %bb.430:
	v_mov_b32_e32 v3, 0x7f
	v_cmp_lt_u32_e32 vcc_lo, 0x7f800000, v7
	s_delay_alu instid0(VALU_DEP_2)
	v_cndmask_b32_e32 v3, 0x7c, v3, vcc_lo
; %bb.431:
	s_or_b32 exec_lo, exec_lo, s3
	v_lshrrev_b32_e32 v2, 24, v2
	s_delay_alu instid0(VALU_DEP_1)
	v_and_or_b32 v2, 0x80, v2, v3
	global_store_b8 v[4:5], v2, off
.LBB9_432:
	s_mov_b32 s23, 0
	s_mov_b32 s3, -1
.LBB9_433:
	s_and_not1_b32 vcc_lo, exec_lo, s23
	s_cbranch_vccnz .LBB9_441
; %bb.434:
	v_cmp_lt_i16_e32 vcc_lo, 14, v6
	s_mov_b32 s23, -1
	s_cbranch_vccz .LBB9_438
; %bb.435:
	v_cmp_eq_u16_e32 vcc_lo, 15, v6
	s_mov_b32 s2, -1
	s_cbranch_vccz .LBB9_437
; %bb.436:
	v_cvt_f32_f64_e32 v2, v[0:1]
	s_mov_b32 s3, -1
	s_mov_b32 s2, 0
	s_delay_alu instid0(VALU_DEP_1) | instskip(SKIP_1) | instid1(VALU_DEP_2)
	v_bfe_u32 v3, v2, 16, 1
	v_cmp_o_f32_e32 vcc_lo, v2, v2
	v_add3_u32 v3, v2, v3, 0x7fff
	s_delay_alu instid0(VALU_DEP_1) | instskip(NEXT) | instid1(VALU_DEP_1)
	v_lshrrev_b32_e32 v3, 16, v3
	v_cndmask_b32_e32 v2, 0x7fc0, v3, vcc_lo
	global_store_b16 v[4:5], v2, off
.LBB9_437:
	s_mov_b32 s23, 0
.LBB9_438:
	s_delay_alu instid0(SALU_CYCLE_1)
	s_and_b32 vcc_lo, exec_lo, s23
	s_cbranch_vccz .LBB9_441
; %bb.439:
	v_cmp_eq_u16_e32 vcc_lo, 11, v6
	s_mov_b32 s2, -1
	s_cbranch_vccz .LBB9_441
; %bb.440:
	v_cmp_neq_f64_e32 vcc_lo, 0, v[0:1]
	s_mov_b32 s3, -1
	s_mov_b32 s2, 0
	v_cndmask_b32_e64 v2, 0, 1, vcc_lo
	global_store_b8 v[4:5], v2, off
.LBB9_441:
.LBB9_442:
	s_and_not1_b32 vcc_lo, exec_lo, s3
	s_cbranch_vccnz .LBB9_357
.LBB9_443:
	v_add_nc_u32_e32 v14, 0x80, v14
	s_mov_b32 s3, -1
	s_branch .LBB9_556
.LBB9_444:
	s_mov_b32 s22, -1
                                        ; implicit-def: $vgpr3_vgpr4
.LBB9_445:
	s_mov_b32 s3, 0
.LBB9_446:
	s_delay_alu instid0(SALU_CYCLE_1)
	s_and_b32 vcc_lo, exec_lo, s3
	s_cbranch_vccz .LBB9_450
; %bb.447:
	v_cmp_eq_u16_e32 vcc_lo, 29, v12
	s_cbranch_vccz .LBB9_449
; %bb.448:
	global_load_b64 v[3:4], v[0:1], off
	s_mov_b32 s2, -1
	s_mov_b32 s22, 0
	s_mov_b32 s3, 0
	s_waitcnt vmcnt(0)
	v_cvt_f64_u32_e32 v[4:5], v4
	v_cvt_f64_u32_e32 v[6:7], v3
	s_delay_alu instid0(VALU_DEP_2) | instskip(NEXT) | instid1(VALU_DEP_1)
	v_ldexp_f64 v[4:5], v[4:5], 32
	v_add_f64 v[3:4], v[4:5], v[6:7]
	s_branch .LBB9_451
.LBB9_449:
	s_mov_b32 s22, -1
                                        ; implicit-def: $vgpr3_vgpr4
.LBB9_450:
	s_mov_b32 s3, 0
.LBB9_451:
	s_delay_alu instid0(SALU_CYCLE_1)
	s_and_b32 vcc_lo, exec_lo, s3
	s_cbranch_vccz .LBB9_471
; %bb.452:
	v_cmp_gt_i16_e32 vcc_lo, 27, v12
	s_cbranch_vccnz .LBB9_455
; %bb.453:
	v_cmp_lt_i16_e32 vcc_lo, 27, v12
	s_cbranch_vccz .LBB9_456
; %bb.454:
	global_load_b32 v3, v[0:1], off
	s_mov_b32 s2, 0
	s_waitcnt vmcnt(0)
	v_cvt_f64_u32_e32 v[3:4], v3
	s_branch .LBB9_457
.LBB9_455:
	s_mov_b32 s2, -1
                                        ; implicit-def: $vgpr3_vgpr4
	s_branch .LBB9_460
.LBB9_456:
	s_mov_b32 s2, -1
                                        ; implicit-def: $vgpr3_vgpr4
.LBB9_457:
	s_delay_alu instid0(SALU_CYCLE_1)
	s_and_not1_b32 vcc_lo, exec_lo, s2
	s_cbranch_vccnz .LBB9_459
; %bb.458:
	global_load_u16 v3, v[0:1], off
	s_waitcnt vmcnt(0)
	v_cvt_f64_u32_e32 v[3:4], v3
.LBB9_459:
	s_mov_b32 s2, 0
.LBB9_460:
	s_delay_alu instid0(SALU_CYCLE_1)
	s_and_not1_b32 vcc_lo, exec_lo, s2
	s_cbranch_vccnz .LBB9_470
; %bb.461:
	global_load_u8 v5, v[0:1], off
	s_mov_b32 s23, 0
	s_mov_b32 s37, exec_lo
                                        ; implicit-def: $sgpr2_sgpr3
	s_waitcnt vmcnt(0)
	v_cmpx_lt_i16_e32 0x7f, v5
	s_xor_b32 s37, exec_lo, s37
	s_cbranch_execz .LBB9_465
; %bb.462:
	s_mov_b32 s38, -1
	s_mov_b32 s23, exec_lo
                                        ; implicit-def: $sgpr2_sgpr3
	v_cmpx_eq_u16_e32 0x80, v5
; %bb.463:
	s_mov_b32 s3, 0x7ff80000
	s_brev_b32 s2, 4
	s_xor_b32 s38, exec_lo, -1
; %bb.464:
	s_or_b32 exec_lo, exec_lo, s23
	s_delay_alu instid0(SALU_CYCLE_1)
	s_and_b32 s23, s38, exec_lo
.LBB9_465:
	s_or_saveexec_b32 s37, s37
	v_dual_mov_b32 v4, s3 :: v_dual_mov_b32 v3, s2
	s_xor_b32 exec_lo, exec_lo, s37
; %bb.466:
	v_cmp_ne_u16_e32 vcc_lo, 0, v5
	v_mov_b32_e32 v3, 0
	v_mov_b32_e32 v4, 0
	s_and_not1_b32 s2, s23, exec_lo
	s_and_b32 s3, vcc_lo, exec_lo
	s_delay_alu instid0(SALU_CYCLE_1)
	s_or_b32 s23, s2, s3
; %bb.467:
	s_or_b32 exec_lo, exec_lo, s37
	s_and_saveexec_b32 s2, s23
	s_cbranch_execz .LBB9_469
; %bb.468:
	v_and_b32_e32 v3, 0xffff, v5
	v_lshlrev_b32_e32 v5, 24, v5
	s_delay_alu instid0(VALU_DEP_2) | instskip(NEXT) | instid1(VALU_DEP_2)
	v_and_b32_e32 v4, 7, v3
	v_and_b32_e32 v5, 0x80000000, v5
	s_delay_alu instid0(VALU_DEP_2) | instskip(NEXT) | instid1(VALU_DEP_1)
	v_clz_i32_u32_e32 v6, v4
	v_min_u32_e32 v6, 32, v6
	s_delay_alu instid0(VALU_DEP_1) | instskip(SKIP_1) | instid1(VALU_DEP_2)
	v_subrev_nc_u32_e32 v7, 28, v6
	v_sub_nc_u32_e32 v6, 29, v6
	v_lshlrev_b32_e32 v7, v7, v3
	v_bfe_u32 v3, v3, 3, 4
	s_delay_alu instid0(VALU_DEP_2) | instskip(NEXT) | instid1(VALU_DEP_2)
	v_and_b32_e32 v7, 7, v7
	v_cmp_eq_u32_e32 vcc_lo, 0, v3
	s_delay_alu instid0(VALU_DEP_2) | instskip(NEXT) | instid1(VALU_DEP_1)
	v_dual_cndmask_b32 v3, v3, v6 :: v_dual_cndmask_b32 v4, v4, v7
	v_lshl_add_u32 v3, v3, 23, 0x3b800000
	s_delay_alu instid0(VALU_DEP_2) | instskip(NEXT) | instid1(VALU_DEP_1)
	v_lshlrev_b32_e32 v4, 20, v4
	v_or3_b32 v3, v5, v3, v4
	s_delay_alu instid0(VALU_DEP_1)
	v_cvt_f64_f32_e32 v[3:4], v3
.LBB9_469:
	s_or_b32 exec_lo, exec_lo, s2
.LBB9_470:
	s_mov_b32 s2, -1
.LBB9_471:
	s_mov_b32 s3, 0
.LBB9_472:
	s_delay_alu instid0(SALU_CYCLE_1)
	s_and_b32 vcc_lo, exec_lo, s3
	s_cbranch_vccz .LBB9_505
; %bb.473:
	v_cmp_lt_i16_e32 vcc_lo, 22, v12
	s_cbranch_vccz .LBB9_485
; %bb.474:
	v_cmp_gt_i16_e32 vcc_lo, 24, v12
	s_cbranch_vccnz .LBB9_486
; %bb.475:
	v_cmp_lt_i16_e32 vcc_lo, 24, v12
	s_cbranch_vccz .LBB9_487
; %bb.476:
	global_load_u8 v5, v[0:1], off
	s_mov_b32 s23, 0
	s_mov_b32 s37, exec_lo
                                        ; implicit-def: $sgpr2_sgpr3
	s_waitcnt vmcnt(0)
	v_cmpx_lt_i16_e32 0x7f, v5
	s_xor_b32 s37, exec_lo, s37
	s_cbranch_execz .LBB9_480
; %bb.477:
	s_mov_b32 s38, -1
	s_mov_b32 s23, exec_lo
                                        ; implicit-def: $sgpr2_sgpr3
	v_cmpx_eq_u16_e32 0x80, v5
; %bb.478:
	s_mov_b32 s3, 0x7ff80000
	s_brev_b32 s2, 4
	s_xor_b32 s38, exec_lo, -1
; %bb.479:
	s_or_b32 exec_lo, exec_lo, s23
	s_delay_alu instid0(SALU_CYCLE_1)
	s_and_b32 s23, s38, exec_lo
.LBB9_480:
	s_or_saveexec_b32 s37, s37
	v_dual_mov_b32 v4, s3 :: v_dual_mov_b32 v3, s2
	s_xor_b32 exec_lo, exec_lo, s37
; %bb.481:
	v_cmp_ne_u16_e32 vcc_lo, 0, v5
	v_mov_b32_e32 v3, 0
	v_mov_b32_e32 v4, 0
	s_and_not1_b32 s2, s23, exec_lo
	s_and_b32 s3, vcc_lo, exec_lo
	s_delay_alu instid0(SALU_CYCLE_1)
	s_or_b32 s23, s2, s3
; %bb.482:
	s_or_b32 exec_lo, exec_lo, s37
	s_and_saveexec_b32 s2, s23
	s_cbranch_execz .LBB9_484
; %bb.483:
	v_and_b32_e32 v3, 0xffff, v5
	v_lshlrev_b32_e32 v5, 24, v5
	s_delay_alu instid0(VALU_DEP_2) | instskip(NEXT) | instid1(VALU_DEP_2)
	v_and_b32_e32 v4, 3, v3
	v_and_b32_e32 v5, 0x80000000, v5
	s_delay_alu instid0(VALU_DEP_2) | instskip(NEXT) | instid1(VALU_DEP_1)
	v_clz_i32_u32_e32 v6, v4
	v_min_u32_e32 v6, 32, v6
	s_delay_alu instid0(VALU_DEP_1) | instskip(SKIP_1) | instid1(VALU_DEP_2)
	v_subrev_nc_u32_e32 v7, 29, v6
	v_sub_nc_u32_e32 v6, 30, v6
	v_lshlrev_b32_e32 v7, v7, v3
	v_bfe_u32 v3, v3, 2, 5
	s_delay_alu instid0(VALU_DEP_2) | instskip(NEXT) | instid1(VALU_DEP_2)
	v_and_b32_e32 v7, 3, v7
	v_cmp_eq_u32_e32 vcc_lo, 0, v3
	s_delay_alu instid0(VALU_DEP_2) | instskip(NEXT) | instid1(VALU_DEP_1)
	v_dual_cndmask_b32 v3, v3, v6 :: v_dual_cndmask_b32 v4, v4, v7
	v_lshl_add_u32 v3, v3, 23, 0x37800000
	s_delay_alu instid0(VALU_DEP_2) | instskip(NEXT) | instid1(VALU_DEP_1)
	v_lshlrev_b32_e32 v4, 21, v4
	v_or3_b32 v3, v5, v3, v4
	s_delay_alu instid0(VALU_DEP_1)
	v_cvt_f64_f32_e32 v[3:4], v3
.LBB9_484:
	s_or_b32 exec_lo, exec_lo, s2
	s_mov_b32 s2, 0
	s_branch .LBB9_488
.LBB9_485:
	s_mov_b32 s3, -1
                                        ; implicit-def: $vgpr3_vgpr4
	s_branch .LBB9_494
.LBB9_486:
	s_mov_b32 s2, -1
                                        ; implicit-def: $vgpr3_vgpr4
	s_branch .LBB9_491
.LBB9_487:
	s_mov_b32 s2, -1
                                        ; implicit-def: $vgpr3_vgpr4
.LBB9_488:
	s_delay_alu instid0(SALU_CYCLE_1)
	s_and_b32 vcc_lo, exec_lo, s2
	s_cbranch_vccz .LBB9_490
; %bb.489:
	global_load_u8 v3, v[0:1], off
	s_waitcnt vmcnt(0)
	v_lshlrev_b32_e32 v3, 24, v3
	s_delay_alu instid0(VALU_DEP_1) | instskip(NEXT) | instid1(VALU_DEP_1)
	v_and_b32_e32 v4, 0x7f000000, v3
	v_clz_i32_u32_e32 v5, v4
	v_add_nc_u32_e32 v7, 0x1000000, v4
	v_cmp_ne_u32_e32 vcc_lo, 0, v4
	s_delay_alu instid0(VALU_DEP_3) | instskip(NEXT) | instid1(VALU_DEP_1)
	v_min_u32_e32 v5, 32, v5
	v_sub_nc_u32_e64 v5, v5, 4 clamp
	s_delay_alu instid0(VALU_DEP_1) | instskip(SKIP_1) | instid1(VALU_DEP_2)
	v_lshlrev_b32_e32 v6, v5, v4
	v_lshlrev_b32_e32 v5, 23, v5
	v_lshrrev_b32_e32 v6, 4, v6
	s_delay_alu instid0(VALU_DEP_1) | instskip(SKIP_1) | instid1(VALU_DEP_2)
	v_sub_nc_u32_e32 v5, v6, v5
	v_ashrrev_i32_e32 v6, 8, v7
	v_add_nc_u32_e32 v5, 0x3c000000, v5
	s_delay_alu instid0(VALU_DEP_1) | instskip(NEXT) | instid1(VALU_DEP_1)
	v_and_or_b32 v5, 0x7f800000, v6, v5
	v_cndmask_b32_e32 v4, 0, v5, vcc_lo
	s_delay_alu instid0(VALU_DEP_1) | instskip(NEXT) | instid1(VALU_DEP_1)
	v_and_or_b32 v3, 0x80000000, v3, v4
	v_cvt_f64_f32_e32 v[3:4], v3
.LBB9_490:
	s_mov_b32 s2, 0
.LBB9_491:
	s_delay_alu instid0(SALU_CYCLE_1)
	s_and_not1_b32 vcc_lo, exec_lo, s2
	s_cbranch_vccnz .LBB9_493
; %bb.492:
	global_load_u8 v3, v[0:1], off
	s_waitcnt vmcnt(0)
	v_lshlrev_b32_e32 v4, 25, v3
	v_lshlrev_b16 v3, 8, v3
	s_delay_alu instid0(VALU_DEP_2) | instskip(NEXT) | instid1(VALU_DEP_2)
	v_lshrrev_b32_e32 v5, 4, v4
	v_and_or_b32 v6, 0x7f00, v3, 0.5
	v_bfe_i32 v3, v3, 0, 16
	s_delay_alu instid0(VALU_DEP_3) | instskip(NEXT) | instid1(VALU_DEP_1)
	v_or_b32_e32 v5, 0x70000000, v5
	v_dual_add_f32 v6, -0.5, v6 :: v_dual_mul_f32 v5, 0x7800000, v5
	v_cmp_gt_u32_e32 vcc_lo, 0x8000000, v4
	s_delay_alu instid0(VALU_DEP_2) | instskip(NEXT) | instid1(VALU_DEP_1)
	v_cndmask_b32_e32 v4, v5, v6, vcc_lo
	v_and_or_b32 v3, 0x80000000, v3, v4
	s_delay_alu instid0(VALU_DEP_1)
	v_cvt_f64_f32_e32 v[3:4], v3
.LBB9_493:
	s_mov_b32 s3, 0
	s_mov_b32 s2, -1
.LBB9_494:
	s_and_not1_b32 vcc_lo, exec_lo, s3
	s_cbranch_vccnz .LBB9_505
; %bb.495:
	v_cmp_lt_i16_e32 vcc_lo, 14, v12
	s_cbranch_vccz .LBB9_498
; %bb.496:
	v_cmp_eq_u16_e32 vcc_lo, 15, v12
	s_cbranch_vccz .LBB9_499
; %bb.497:
	global_load_u16 v3, v[0:1], off
	s_mov_b32 s2, -1
	s_mov_b32 s22, 0
	s_waitcnt vmcnt(0)
	v_lshlrev_b32_e32 v3, 16, v3
	s_delay_alu instid0(VALU_DEP_1)
	v_cvt_f64_f32_e32 v[3:4], v3
	s_branch .LBB9_500
.LBB9_498:
	s_mov_b32 s3, -1
                                        ; implicit-def: $vgpr3_vgpr4
	s_branch .LBB9_501
.LBB9_499:
	s_mov_b32 s22, -1
                                        ; implicit-def: $vgpr3_vgpr4
.LBB9_500:
	s_mov_b32 s3, 0
.LBB9_501:
	s_delay_alu instid0(SALU_CYCLE_1)
	s_and_b32 vcc_lo, exec_lo, s3
	s_cbranch_vccz .LBB9_505
; %bb.502:
	v_cmp_eq_u16_e32 vcc_lo, 11, v12
	s_cbranch_vccz .LBB9_504
; %bb.503:
	global_load_u8 v3, v[0:1], off
	s_mov_b32 s22, 0
	s_mov_b32 s2, -1
	s_waitcnt vmcnt(0)
	v_cmp_ne_u16_e32 vcc_lo, 0, v3
	v_mov_b32_e32 v3, 0
	v_cndmask_b32_e64 v4, 0, 0x3ff00000, vcc_lo
	s_branch .LBB9_505
.LBB9_504:
	s_mov_b32 s22, -1
                                        ; implicit-def: $vgpr3_vgpr4
.LBB9_505:
	s_branch .LBB9_298
.LBB9_506:
	v_cmp_gt_i16_e32 vcc_lo, 5, v12
	s_cbranch_vccnz .LBB9_511
; %bb.507:
	v_cmp_gt_i16_e32 vcc_lo, 8, v12
	s_cbranch_vccnz .LBB9_512
; %bb.508:
	v_cmp_gt_i16_e32 vcc_lo, 9, v12
	s_cbranch_vccnz .LBB9_513
; %bb.509:
	v_cmp_lt_i16_e32 vcc_lo, 9, v12
	s_cbranch_vccz .LBB9_514
; %bb.510:
	global_load_b64 v[3:4], v[0:1], off
	s_mov_b32 s2, 0
	s_branch .LBB9_515
.LBB9_511:
	s_mov_b32 s2, -1
                                        ; implicit-def: $vgpr3_vgpr4
	s_branch .LBB9_533
.LBB9_512:
	s_mov_b32 s2, -1
                                        ; implicit-def: $vgpr3_vgpr4
	s_branch .LBB9_521
.LBB9_513:
	s_mov_b32 s2, -1
                                        ; implicit-def: $vgpr3_vgpr4
	s_branch .LBB9_518
.LBB9_514:
	s_mov_b32 s2, -1
                                        ; implicit-def: $vgpr3_vgpr4
.LBB9_515:
	s_delay_alu instid0(SALU_CYCLE_1)
	s_and_not1_b32 vcc_lo, exec_lo, s2
	s_cbranch_vccnz .LBB9_517
; %bb.516:
	global_load_b32 v3, v[0:1], off
	s_waitcnt vmcnt(0)
	v_cvt_f64_f32_e32 v[3:4], v3
.LBB9_517:
	s_mov_b32 s2, 0
.LBB9_518:
	s_delay_alu instid0(SALU_CYCLE_1)
	s_and_not1_b32 vcc_lo, exec_lo, s2
	s_cbranch_vccnz .LBB9_520
; %bb.519:
	global_load_b32 v3, v[0:1], off
	s_waitcnt vmcnt(0)
	v_cvt_f32_f16_e32 v3, v3
	s_delay_alu instid0(VALU_DEP_1)
	v_cvt_f64_f32_e32 v[3:4], v3
.LBB9_520:
	s_mov_b32 s2, 0
.LBB9_521:
	s_delay_alu instid0(SALU_CYCLE_1)
	s_and_not1_b32 vcc_lo, exec_lo, s2
	s_cbranch_vccnz .LBB9_532
; %bb.522:
	v_cmp_gt_i16_e32 vcc_lo, 6, v12
	s_cbranch_vccnz .LBB9_525
; %bb.523:
	v_cmp_lt_i16_e32 vcc_lo, 6, v12
	s_cbranch_vccz .LBB9_526
; %bb.524:
	global_load_b64 v[3:4], v[0:1], off
	s_mov_b32 s2, 0
	s_branch .LBB9_527
.LBB9_525:
	s_mov_b32 s2, -1
                                        ; implicit-def: $vgpr3_vgpr4
	s_branch .LBB9_530
.LBB9_526:
	s_mov_b32 s2, -1
                                        ; implicit-def: $vgpr3_vgpr4
.LBB9_527:
	s_delay_alu instid0(SALU_CYCLE_1)
	s_and_not1_b32 vcc_lo, exec_lo, s2
	s_cbranch_vccnz .LBB9_529
; %bb.528:
	global_load_b32 v3, v[0:1], off
	s_waitcnt vmcnt(0)
	v_cvt_f64_f32_e32 v[3:4], v3
.LBB9_529:
	s_mov_b32 s2, 0
.LBB9_530:
	s_delay_alu instid0(SALU_CYCLE_1)
	s_and_not1_b32 vcc_lo, exec_lo, s2
	s_cbranch_vccnz .LBB9_532
; %bb.531:
	global_load_u16 v3, v[0:1], off
	s_waitcnt vmcnt(0)
	v_cvt_f32_f16_e32 v3, v3
	s_delay_alu instid0(VALU_DEP_1)
	v_cvt_f64_f32_e32 v[3:4], v3
.LBB9_532:
	s_mov_b32 s2, 0
.LBB9_533:
	s_delay_alu instid0(SALU_CYCLE_1)
	s_and_not1_b32 vcc_lo, exec_lo, s2
	s_cbranch_vccnz .LBB9_553
; %bb.534:
	v_cmp_gt_i16_e32 vcc_lo, 2, v12
	s_cbranch_vccnz .LBB9_538
; %bb.535:
	v_cmp_gt_i16_e32 vcc_lo, 3, v12
	s_cbranch_vccnz .LBB9_539
; %bb.536:
	v_cmp_lt_i16_e32 vcc_lo, 3, v12
	s_cbranch_vccz .LBB9_540
; %bb.537:
	global_load_b64 v[3:4], v[0:1], off
	s_mov_b32 s2, 0
	s_waitcnt vmcnt(0)
	v_cvt_f64_i32_e32 v[4:5], v4
	v_cvt_f64_u32_e32 v[6:7], v3
	s_delay_alu instid0(VALU_DEP_2) | instskip(NEXT) | instid1(VALU_DEP_1)
	v_ldexp_f64 v[4:5], v[4:5], 32
	v_add_f64 v[3:4], v[4:5], v[6:7]
	s_branch .LBB9_541
.LBB9_538:
	s_mov_b32 s2, -1
                                        ; implicit-def: $vgpr3_vgpr4
	s_branch .LBB9_547
.LBB9_539:
	s_mov_b32 s2, -1
                                        ; implicit-def: $vgpr3_vgpr4
	s_branch .LBB9_544
.LBB9_540:
	s_mov_b32 s2, -1
                                        ; implicit-def: $vgpr3_vgpr4
.LBB9_541:
	s_delay_alu instid0(SALU_CYCLE_1)
	s_and_not1_b32 vcc_lo, exec_lo, s2
	s_cbranch_vccnz .LBB9_543
; %bb.542:
	global_load_b32 v3, v[0:1], off
	s_waitcnt vmcnt(0)
	v_cvt_f64_i32_e32 v[3:4], v3
.LBB9_543:
	s_mov_b32 s2, 0
.LBB9_544:
	s_delay_alu instid0(SALU_CYCLE_1)
	s_and_not1_b32 vcc_lo, exec_lo, s2
	s_cbranch_vccnz .LBB9_546
; %bb.545:
	global_load_i16 v3, v[0:1], off
	s_waitcnt vmcnt(0)
	v_cvt_f64_i32_e32 v[3:4], v3
.LBB9_546:
	s_mov_b32 s2, 0
.LBB9_547:
	s_delay_alu instid0(SALU_CYCLE_1)
	s_and_not1_b32 vcc_lo, exec_lo, s2
	s_cbranch_vccnz .LBB9_553
; %bb.548:
	v_cmp_lt_i16_e32 vcc_lo, 0, v12
	s_mov_b32 s2, 0
	s_cbranch_vccz .LBB9_550
; %bb.549:
	global_load_i8 v3, v[0:1], off
	s_waitcnt vmcnt(0)
	v_cvt_f64_i32_e32 v[3:4], v3
	s_branch .LBB9_551
.LBB9_550:
	s_mov_b32 s2, -1
                                        ; implicit-def: $vgpr3_vgpr4
.LBB9_551:
	s_delay_alu instid0(SALU_CYCLE_1)
	s_and_not1_b32 vcc_lo, exec_lo, s2
	s_cbranch_vccnz .LBB9_553
; %bb.552:
	global_load_u8 v0, v[0:1], off
	s_waitcnt vmcnt(0)
	v_cvt_f64_u32_e32 v[3:4], v0
.LBB9_553:
	s_branch .LBB9_299
.LBB9_554:
	s_mov_b32 s3, 0
	s_mov_b32 s2, s34
.LBB9_555:
                                        ; implicit-def: $vgpr14
.LBB9_556:
	s_and_not1_b32 s23, s34, exec_lo
	s_and_b32 s2, s2, exec_lo
	s_and_not1_b32 s37, s35, exec_lo
	s_and_b32 s22, s22, exec_lo
	s_or_b32 s38, s23, s2
	s_or_b32 s37, s37, s22
	s_or_not1_b32 s2, s3, exec_lo
.LBB9_557:
	s_or_b32 exec_lo, exec_lo, s39
	s_mov_b32 s3, 0
	s_mov_b32 s23, 0
	;; [unrolled: 1-line block ×3, first 2 shown]
                                        ; implicit-def: $vgpr0_vgpr1
                                        ; implicit-def: $vgpr2
                                        ; implicit-def: $vgpr3_vgpr4
	s_and_saveexec_b32 s39, s2
	s_cbranch_execz .LBB9_941
; %bb.558:
	s_mov_b32 s42, -1
	s_mov_b32 s22, s37
	s_mov_b32 s23, s38
	s_mov_b32 s40, exec_lo
	v_cmpx_gt_i32_e64 s30, v14
	s_cbranch_execz .LBB9_842
; %bb.559:
	s_and_not1_b32 vcc_lo, exec_lo, s27
	s_cbranch_vccnz .LBB9_564
; %bb.560:
	v_mov_b32_e32 v2, 0
	v_mov_b32_e32 v0, 0
	s_and_not1_b32 vcc_lo, exec_lo, s33
	s_mov_b32 s41, 0
	s_cbranch_vccnz .LBB9_569
; %bb.561:
	v_mov_b32_e32 v2, 0
	s_add_i32 s43, s31, 1
	s_cmp_eq_u32 s25, 2
	s_mov_b32 s42, 0
	s_cbranch_scc1 .LBB9_565
; %bb.562:
	v_dual_mov_b32 v0, 0 :: v_dual_mov_b32 v1, v14
	v_mov_b32_e32 v2, 0
	s_and_b32 s42, s43, 28
	s_mov_b32 s44, 0
	s_mov_b64 s[2:3], s[20:21]
	s_mov_b64 s[22:23], s[16:17]
.LBB9_563:                              ; =>This Inner Loop Header: Depth=1
	s_clause 0x1
	s_load_b256 s[48:55], s[22:23], 0x4
	s_load_b128 s[64:67], s[22:23], 0x24
	s_load_b256 s[56:63], s[2:3], 0x0
	s_add_u32 s22, s22, 48
	s_addc_u32 s23, s23, 0
	s_add_i32 s44, s44, 4
	s_add_u32 s2, s2, 32
	s_addc_u32 s3, s3, 0
	s_cmp_eq_u32 s42, s44
	s_waitcnt vmcnt(0) lgkmcnt(0)
	v_mul_hi_u32 v3, s49, v1
	s_delay_alu instid0(VALU_DEP_1) | instskip(NEXT) | instid1(VALU_DEP_1)
	v_add_nc_u32_e32 v3, v1, v3
	v_lshrrev_b32_e32 v3, s50, v3
	s_delay_alu instid0(VALU_DEP_1) | instskip(SKIP_1) | instid1(VALU_DEP_2)
	v_mul_hi_u32 v4, s52, v3
	v_mul_lo_u32 v6, v3, s48
	v_add_nc_u32_e32 v4, v3, v4
	s_delay_alu instid0(VALU_DEP_2) | instskip(NEXT) | instid1(VALU_DEP_2)
	v_sub_nc_u32_e32 v1, v1, v6
	v_lshrrev_b32_e32 v4, s53, v4
	s_delay_alu instid0(VALU_DEP_2) | instskip(SKIP_1) | instid1(VALU_DEP_3)
	v_mul_lo_u32 v6, v1, s56
	v_mul_lo_u32 v8, v1, s57
	v_mul_hi_u32 v5, s55, v4
	s_delay_alu instid0(VALU_DEP_1) | instskip(NEXT) | instid1(VALU_DEP_1)
	v_add_nc_u32_e32 v5, v4, v5
	v_lshrrev_b32_e32 v5, s64, v5
	s_delay_alu instid0(VALU_DEP_1) | instskip(SKIP_1) | instid1(VALU_DEP_2)
	v_mul_hi_u32 v7, s66, v5
	v_mul_lo_u32 v9, v5, s54
	v_add_nc_u32_e32 v1, v5, v7
	v_mul_lo_u32 v7, v4, s51
	s_delay_alu instid0(VALU_DEP_3) | instskip(NEXT) | instid1(VALU_DEP_3)
	v_sub_nc_u32_e32 v4, v4, v9
	v_lshrrev_b32_e32 v1, s67, v1
	s_delay_alu instid0(VALU_DEP_2) | instskip(SKIP_2) | instid1(VALU_DEP_4)
	v_mul_lo_u32 v9, v4, s60
	v_mul_lo_u32 v4, v4, s61
	v_sub_nc_u32_e32 v3, v3, v7
	v_mul_lo_u32 v10, v1, s65
	s_delay_alu instid0(VALU_DEP_2) | instskip(SKIP_1) | instid1(VALU_DEP_3)
	v_mul_lo_u32 v7, v3, s58
	v_mul_lo_u32 v3, v3, s59
	v_sub_nc_u32_e32 v5, v5, v10
	s_delay_alu instid0(VALU_DEP_3) | instskip(NEXT) | instid1(VALU_DEP_2)
	v_add3_u32 v2, v6, v2, v7
	v_mul_lo_u32 v10, v5, s62
	v_mul_lo_u32 v5, v5, s63
	v_add3_u32 v0, v8, v0, v3
	s_delay_alu instid0(VALU_DEP_3) | instskip(NEXT) | instid1(VALU_DEP_2)
	v_add3_u32 v2, v9, v2, v10
	v_add3_u32 v0, v4, v0, v5
	s_cbranch_scc0 .LBB9_563
	s_branch .LBB9_566
.LBB9_564:
	s_mov_b32 s41, -1
                                        ; implicit-def: $vgpr2
                                        ; implicit-def: $vgpr0
	s_branch .LBB9_569
.LBB9_565:
	v_dual_mov_b32 v1, v14 :: v_dual_mov_b32 v0, 0
.LBB9_566:
	s_and_b32 s43, s43, 3
	s_delay_alu instid0(SALU_CYCLE_1)
	s_cmp_eq_u32 s43, 0
	s_cbranch_scc1 .LBB9_569
; %bb.567:
	s_lshl_b32 s2, s42, 3
	s_mul_i32 s22, s42, 12
	s_add_u32 s2, s2, s16
	s_addc_u32 s3, s17, 0
	s_add_u32 s2, s2, 0xc4
	s_addc_u32 s3, s3, 0
	s_add_u32 s22, s16, s22
	s_addc_u32 s23, s17, 0
	.p2align	6
.LBB9_568:                              ; =>This Inner Loop Header: Depth=1
	s_clause 0x1
	s_load_b64 s[44:45], s[22:23], 0x4
	s_load_b32 s42, s[22:23], 0xc
	s_load_b64 s[46:47], s[2:3], 0x0
	s_add_u32 s22, s22, 12
	s_addc_u32 s23, s23, 0
	s_add_u32 s2, s2, 8
	s_addc_u32 s3, s3, 0
	s_add_i32 s43, s43, -1
	s_delay_alu instid0(SALU_CYCLE_1) | instskip(SKIP_2) | instid1(VALU_DEP_1)
	s_cmp_lg_u32 s43, 0
	s_waitcnt vmcnt(0) lgkmcnt(0)
	v_mul_hi_u32 v3, s45, v1
	v_add_nc_u32_e32 v3, v1, v3
	s_delay_alu instid0(VALU_DEP_1) | instskip(NEXT) | instid1(VALU_DEP_1)
	v_lshrrev_b32_e32 v6, s42, v3
	v_mul_lo_u32 v3, v6, s44
	s_delay_alu instid0(VALU_DEP_1) | instskip(NEXT) | instid1(VALU_DEP_1)
	v_sub_nc_u32_e32 v1, v1, v3
	v_mad_u64_u32 v[3:4], null, v1, s46, v[2:3]
	v_mad_u64_u32 v[4:5], null, v1, s47, v[0:1]
	s_delay_alu instid0(VALU_DEP_2) | instskip(NEXT) | instid1(VALU_DEP_2)
	v_dual_mov_b32 v1, v6 :: v_dual_mov_b32 v2, v3
	v_mov_b32_e32 v0, v4
	s_cbranch_scc1 .LBB9_568
.LBB9_569:
	s_and_not1_b32 vcc_lo, exec_lo, s41
	s_cbranch_vccnz .LBB9_572
; %bb.570:
	s_waitcnt lgkmcnt(0)
	v_mul_hi_u32 v0, s13, v14
	s_and_not1_b32 vcc_lo, exec_lo, s29
	s_delay_alu instid0(VALU_DEP_1) | instskip(NEXT) | instid1(VALU_DEP_1)
	v_add_nc_u32_e32 v0, v14, v0
	v_lshrrev_b32_e32 v1, s14, v0
	s_delay_alu instid0(VALU_DEP_1) | instskip(NEXT) | instid1(VALU_DEP_1)
	v_mul_lo_u32 v0, v1, s12
	v_sub_nc_u32_e32 v0, v14, v0
	s_delay_alu instid0(VALU_DEP_1)
	v_mul_lo_u32 v2, v0, s8
	v_mul_lo_u32 v0, v0, s9
	s_cbranch_vccnz .LBB9_572
; %bb.571:
	s_waitcnt vmcnt(0)
	v_mul_hi_u32 v3, s18, v1
	s_delay_alu instid0(VALU_DEP_1) | instskip(NEXT) | instid1(VALU_DEP_1)
	v_add_nc_u32_e32 v3, v1, v3
	v_lshrrev_b32_e32 v3, s19, v3
	s_delay_alu instid0(VALU_DEP_1) | instskip(NEXT) | instid1(VALU_DEP_1)
	v_mul_lo_u32 v3, v3, s15
	v_sub_nc_u32_e32 v5, v1, v3
	s_delay_alu instid0(VALU_DEP_1) | instskip(SKIP_1) | instid1(VALU_DEP_2)
	v_mad_u64_u32 v[3:4], null, v5, s10, v[2:3]
	v_mad_u64_u32 v[1:2], null, v5, s11, v[0:1]
	v_mov_b32_e32 v2, v3
	s_delay_alu instid0(VALU_DEP_2)
	v_mov_b32_e32 v0, v1
.LBB9_572:
	v_cmp_gt_i16_e32 vcc_lo, 11, v12
	s_waitcnt lgkmcnt(0)
	s_delay_alu instid0(VALU_DEP_2) | instskip(NEXT) | instid1(VALU_DEP_1)
	v_add_co_u32 v0, s2, s6, v0
	v_add_co_ci_u32_e64 v1, null, s7, 0, s2
	s_mov_b32 s2, 0
	s_cbranch_vccnz .LBB9_579
; %bb.573:
	v_cmp_lt_i16_e32 vcc_lo, 25, v12
	s_cbranch_vccz .LBB9_580
; %bb.574:
	v_cmp_lt_i16_e32 vcc_lo, 28, v12
	s_cbranch_vccz .LBB9_581
	;; [unrolled: 3-line block ×4, first 2 shown]
; %bb.577:
	v_cmp_eq_u16_e32 vcc_lo, 46, v12
	s_mov_b32 s3, 0
	s_cbranch_vccz .LBB9_588
; %bb.578:
	global_load_b32 v3, v[0:1], off
	s_mov_b32 s2, -1
	s_mov_b32 s22, 0
	s_waitcnt vmcnt(0)
	v_lshlrev_b32_e32 v3, 16, v3
	s_delay_alu instid0(VALU_DEP_1)
	v_cvt_f64_f32_e32 v[3:4], v3
	s_branch .LBB9_590
.LBB9_579:
	s_mov_b32 s3, -1
	s_mov_b32 s22, s37
                                        ; implicit-def: $vgpr3_vgpr4
	s_branch .LBB9_655
.LBB9_580:
	s_mov_b32 s3, -1
	s_mov_b32 s22, s37
                                        ; implicit-def: $vgpr3_vgpr4
	s_branch .LBB9_621
.LBB9_581:
	s_mov_b32 s3, -1
	s_mov_b32 s22, s37
                                        ; implicit-def: $vgpr3_vgpr4
	s_branch .LBB9_600
.LBB9_582:
	s_mov_b32 s3, -1
	s_mov_b32 s22, s37
                                        ; implicit-def: $vgpr3_vgpr4
	s_branch .LBB9_595
.LBB9_583:
	s_or_saveexec_b32 s37, s37
                                        ; implicit-def: $sgpr38
	s_delay_alu instid0(SALU_CYCLE_1)
	s_xor_b32 exec_lo, exec_lo, s37
	s_cbranch_execz .LBB9_394
.LBB9_584:
	v_add_f32_e64 v3, 0x46000000, |v2|
	s_and_not1_b32 s23, s23, exec_lo
	s_mov_b32 s38, 0
	s_delay_alu instid0(VALU_DEP_1) | instskip(NEXT) | instid1(VALU_DEP_1)
	v_and_b32_e32 v3, 0xff, v3
	v_cmp_ne_u32_e32 vcc_lo, 0, v3
	s_and_b32 s40, vcc_lo, exec_lo
	s_delay_alu instid0(SALU_CYCLE_1)
	s_or_b32 s23, s23, s40
	s_or_b32 exec_lo, exec_lo, s37
	v_mov_b32_e32 v7, s38
	s_and_saveexec_b32 s37, s23
	s_cbranch_execnz .LBB9_395
	s_branch .LBB9_396
.LBB9_585:
	s_mov_b32 s3, -1
	s_mov_b32 s22, s37
	s_branch .LBB9_589
.LBB9_586:
	s_or_saveexec_b32 s37, s37
                                        ; implicit-def: $sgpr38
	s_delay_alu instid0(SALU_CYCLE_1)
	s_xor_b32 exec_lo, exec_lo, s37
	s_cbranch_execz .LBB9_407
.LBB9_587:
	v_add_f32_e64 v3, 0x42800000, |v2|
	s_and_not1_b32 s23, s23, exec_lo
	s_mov_b32 s38, 0
	s_delay_alu instid0(VALU_DEP_1) | instskip(NEXT) | instid1(VALU_DEP_1)
	v_and_b32_e32 v3, 0xff, v3
	v_cmp_ne_u32_e32 vcc_lo, 0, v3
	s_and_b32 s40, vcc_lo, exec_lo
	s_delay_alu instid0(SALU_CYCLE_1)
	s_or_b32 s23, s23, s40
	s_or_b32 exec_lo, exec_lo, s37
	v_mov_b32_e32 v7, s38
	s_and_saveexec_b32 s37, s23
	s_cbranch_execnz .LBB9_408
	s_branch .LBB9_409
.LBB9_588:
	s_mov_b32 s22, -1
.LBB9_589:
                                        ; implicit-def: $vgpr3_vgpr4
.LBB9_590:
	s_and_b32 vcc_lo, exec_lo, s3
	s_cbranch_vccz .LBB9_594
; %bb.591:
	v_cmp_eq_u16_e32 vcc_lo, 44, v12
	s_cbranch_vccz .LBB9_593
; %bb.592:
	global_load_u8 v5, v[0:1], off
	s_mov_b32 s22, 0
	s_mov_b32 s2, -1
	s_waitcnt vmcnt(0)
	v_cmp_ne_u32_e32 vcc_lo, 0xff, v5
	v_lshlrev_b32_e32 v3, 23, v5
	s_delay_alu instid0(VALU_DEP_1) | instskip(NEXT) | instid1(VALU_DEP_1)
	v_cvt_f64_f32_e32 v[3:4], v3
	v_cndmask_b32_e32 v4, 0x7ff80000, v4, vcc_lo
	s_delay_alu instid0(VALU_DEP_2) | instskip(SKIP_1) | instid1(VALU_DEP_3)
	v_cndmask_b32_e32 v3, 0x20000000, v3, vcc_lo
	v_cmp_ne_u32_e32 vcc_lo, 0, v5
	v_cndmask_b32_e32 v4, 0x38000000, v4, vcc_lo
	s_delay_alu instid0(VALU_DEP_3)
	v_cndmask_b32_e32 v3, 0, v3, vcc_lo
	s_branch .LBB9_594
.LBB9_593:
	s_mov_b32 s22, -1
                                        ; implicit-def: $vgpr3_vgpr4
.LBB9_594:
	s_mov_b32 s3, 0
.LBB9_595:
	s_delay_alu instid0(SALU_CYCLE_1)
	s_and_b32 vcc_lo, exec_lo, s3
	s_cbranch_vccz .LBB9_599
; %bb.596:
	v_cmp_eq_u16_e32 vcc_lo, 29, v12
	s_cbranch_vccz .LBB9_598
; %bb.597:
	global_load_b64 v[3:4], v[0:1], off
	s_mov_b32 s2, -1
	s_mov_b32 s22, 0
	s_mov_b32 s3, 0
	s_waitcnt vmcnt(0)
	v_cvt_f64_u32_e32 v[4:5], v4
	v_cvt_f64_u32_e32 v[6:7], v3
	s_delay_alu instid0(VALU_DEP_2) | instskip(NEXT) | instid1(VALU_DEP_1)
	v_ldexp_f64 v[4:5], v[4:5], 32
	v_add_f64 v[3:4], v[4:5], v[6:7]
	s_branch .LBB9_600
.LBB9_598:
	s_mov_b32 s22, -1
                                        ; implicit-def: $vgpr3_vgpr4
.LBB9_599:
	s_mov_b32 s3, 0
.LBB9_600:
	s_delay_alu instid0(SALU_CYCLE_1)
	s_and_b32 vcc_lo, exec_lo, s3
	s_cbranch_vccz .LBB9_620
; %bb.601:
	v_cmp_gt_i16_e32 vcc_lo, 27, v12
	s_cbranch_vccnz .LBB9_604
; %bb.602:
	v_cmp_lt_i16_e32 vcc_lo, 27, v12
	s_cbranch_vccz .LBB9_605
; %bb.603:
	global_load_b32 v3, v[0:1], off
	s_mov_b32 s2, 0
	s_waitcnt vmcnt(0)
	v_cvt_f64_u32_e32 v[3:4], v3
	s_branch .LBB9_606
.LBB9_604:
	s_mov_b32 s2, -1
                                        ; implicit-def: $vgpr3_vgpr4
	s_branch .LBB9_609
.LBB9_605:
	s_mov_b32 s2, -1
                                        ; implicit-def: $vgpr3_vgpr4
.LBB9_606:
	s_delay_alu instid0(SALU_CYCLE_1)
	s_and_not1_b32 vcc_lo, exec_lo, s2
	s_cbranch_vccnz .LBB9_608
; %bb.607:
	global_load_u16 v3, v[0:1], off
	s_waitcnt vmcnt(0)
	v_cvt_f64_u32_e32 v[3:4], v3
.LBB9_608:
	s_mov_b32 s2, 0
.LBB9_609:
	s_delay_alu instid0(SALU_CYCLE_1)
	s_and_not1_b32 vcc_lo, exec_lo, s2
	s_cbranch_vccnz .LBB9_619
; %bb.610:
	global_load_u8 v5, v[0:1], off
	s_mov_b32 s23, 0
	s_mov_b32 s41, exec_lo
                                        ; implicit-def: $sgpr2_sgpr3
	s_waitcnt vmcnt(0)
	v_cmpx_lt_i16_e32 0x7f, v5
	s_xor_b32 s41, exec_lo, s41
	s_cbranch_execz .LBB9_614
; %bb.611:
	s_mov_b32 s42, -1
	s_mov_b32 s23, exec_lo
                                        ; implicit-def: $sgpr2_sgpr3
	v_cmpx_eq_u16_e32 0x80, v5
; %bb.612:
	s_mov_b32 s3, 0x7ff80000
	s_brev_b32 s2, 4
	s_xor_b32 s42, exec_lo, -1
; %bb.613:
	s_or_b32 exec_lo, exec_lo, s23
	s_delay_alu instid0(SALU_CYCLE_1)
	s_and_b32 s23, s42, exec_lo
.LBB9_614:
	s_or_saveexec_b32 s41, s41
	v_dual_mov_b32 v4, s3 :: v_dual_mov_b32 v3, s2
	s_xor_b32 exec_lo, exec_lo, s41
; %bb.615:
	v_cmp_ne_u16_e32 vcc_lo, 0, v5
	v_mov_b32_e32 v3, 0
	v_mov_b32_e32 v4, 0
	s_and_not1_b32 s2, s23, exec_lo
	s_and_b32 s3, vcc_lo, exec_lo
	s_delay_alu instid0(SALU_CYCLE_1)
	s_or_b32 s23, s2, s3
; %bb.616:
	s_or_b32 exec_lo, exec_lo, s41
	s_and_saveexec_b32 s2, s23
	s_cbranch_execz .LBB9_618
; %bb.617:
	v_and_b32_e32 v3, 0xffff, v5
	v_lshlrev_b32_e32 v5, 24, v5
	s_delay_alu instid0(VALU_DEP_2) | instskip(NEXT) | instid1(VALU_DEP_2)
	v_and_b32_e32 v4, 7, v3
	v_and_b32_e32 v5, 0x80000000, v5
	s_delay_alu instid0(VALU_DEP_2) | instskip(NEXT) | instid1(VALU_DEP_1)
	v_clz_i32_u32_e32 v6, v4
	v_min_u32_e32 v6, 32, v6
	s_delay_alu instid0(VALU_DEP_1) | instskip(SKIP_1) | instid1(VALU_DEP_2)
	v_subrev_nc_u32_e32 v7, 28, v6
	v_sub_nc_u32_e32 v6, 29, v6
	v_lshlrev_b32_e32 v7, v7, v3
	v_bfe_u32 v3, v3, 3, 4
	s_delay_alu instid0(VALU_DEP_2) | instskip(NEXT) | instid1(VALU_DEP_2)
	v_and_b32_e32 v7, 7, v7
	v_cmp_eq_u32_e32 vcc_lo, 0, v3
	s_delay_alu instid0(VALU_DEP_2) | instskip(NEXT) | instid1(VALU_DEP_1)
	v_dual_cndmask_b32 v3, v3, v6 :: v_dual_cndmask_b32 v4, v4, v7
	v_lshl_add_u32 v3, v3, 23, 0x3b800000
	s_delay_alu instid0(VALU_DEP_2) | instskip(NEXT) | instid1(VALU_DEP_1)
	v_lshlrev_b32_e32 v4, 20, v4
	v_or3_b32 v3, v5, v3, v4
	s_delay_alu instid0(VALU_DEP_1)
	v_cvt_f64_f32_e32 v[3:4], v3
.LBB9_618:
	s_or_b32 exec_lo, exec_lo, s2
.LBB9_619:
	s_mov_b32 s2, -1
.LBB9_620:
	s_mov_b32 s3, 0
.LBB9_621:
	s_delay_alu instid0(SALU_CYCLE_1)
	s_and_b32 vcc_lo, exec_lo, s3
	s_cbranch_vccz .LBB9_654
; %bb.622:
	v_cmp_lt_i16_e32 vcc_lo, 22, v12
	s_cbranch_vccz .LBB9_634
; %bb.623:
	v_cmp_gt_i16_e32 vcc_lo, 24, v12
	s_cbranch_vccnz .LBB9_635
; %bb.624:
	v_cmp_lt_i16_e32 vcc_lo, 24, v12
	s_cbranch_vccz .LBB9_636
; %bb.625:
	global_load_u8 v5, v[0:1], off
	s_mov_b32 s23, 0
	s_mov_b32 s41, exec_lo
                                        ; implicit-def: $sgpr2_sgpr3
	s_waitcnt vmcnt(0)
	v_cmpx_lt_i16_e32 0x7f, v5
	s_xor_b32 s41, exec_lo, s41
	s_cbranch_execz .LBB9_629
; %bb.626:
	s_mov_b32 s42, -1
	s_mov_b32 s23, exec_lo
                                        ; implicit-def: $sgpr2_sgpr3
	v_cmpx_eq_u16_e32 0x80, v5
; %bb.627:
	s_mov_b32 s3, 0x7ff80000
	s_brev_b32 s2, 4
	s_xor_b32 s42, exec_lo, -1
; %bb.628:
	s_or_b32 exec_lo, exec_lo, s23
	s_delay_alu instid0(SALU_CYCLE_1)
	s_and_b32 s23, s42, exec_lo
.LBB9_629:
	s_or_saveexec_b32 s41, s41
	v_dual_mov_b32 v4, s3 :: v_dual_mov_b32 v3, s2
	s_xor_b32 exec_lo, exec_lo, s41
; %bb.630:
	v_cmp_ne_u16_e32 vcc_lo, 0, v5
	v_mov_b32_e32 v3, 0
	v_mov_b32_e32 v4, 0
	s_and_not1_b32 s2, s23, exec_lo
	s_and_b32 s3, vcc_lo, exec_lo
	s_delay_alu instid0(SALU_CYCLE_1)
	s_or_b32 s23, s2, s3
; %bb.631:
	s_or_b32 exec_lo, exec_lo, s41
	s_and_saveexec_b32 s2, s23
	s_cbranch_execz .LBB9_633
; %bb.632:
	v_and_b32_e32 v3, 0xffff, v5
	v_lshlrev_b32_e32 v5, 24, v5
	s_delay_alu instid0(VALU_DEP_2) | instskip(NEXT) | instid1(VALU_DEP_2)
	v_and_b32_e32 v4, 3, v3
	v_and_b32_e32 v5, 0x80000000, v5
	s_delay_alu instid0(VALU_DEP_2) | instskip(NEXT) | instid1(VALU_DEP_1)
	v_clz_i32_u32_e32 v6, v4
	v_min_u32_e32 v6, 32, v6
	s_delay_alu instid0(VALU_DEP_1) | instskip(SKIP_1) | instid1(VALU_DEP_2)
	v_subrev_nc_u32_e32 v7, 29, v6
	v_sub_nc_u32_e32 v6, 30, v6
	v_lshlrev_b32_e32 v7, v7, v3
	v_bfe_u32 v3, v3, 2, 5
	s_delay_alu instid0(VALU_DEP_2) | instskip(NEXT) | instid1(VALU_DEP_2)
	v_and_b32_e32 v7, 3, v7
	v_cmp_eq_u32_e32 vcc_lo, 0, v3
	s_delay_alu instid0(VALU_DEP_2) | instskip(NEXT) | instid1(VALU_DEP_1)
	v_dual_cndmask_b32 v3, v3, v6 :: v_dual_cndmask_b32 v4, v4, v7
	v_lshl_add_u32 v3, v3, 23, 0x37800000
	s_delay_alu instid0(VALU_DEP_2) | instskip(NEXT) | instid1(VALU_DEP_1)
	v_lshlrev_b32_e32 v4, 21, v4
	v_or3_b32 v3, v5, v3, v4
	s_delay_alu instid0(VALU_DEP_1)
	v_cvt_f64_f32_e32 v[3:4], v3
.LBB9_633:
	s_or_b32 exec_lo, exec_lo, s2
	s_mov_b32 s2, 0
	s_branch .LBB9_637
.LBB9_634:
	s_mov_b32 s3, -1
                                        ; implicit-def: $vgpr3_vgpr4
	s_branch .LBB9_643
.LBB9_635:
	s_mov_b32 s2, -1
                                        ; implicit-def: $vgpr3_vgpr4
	s_branch .LBB9_640
.LBB9_636:
	s_mov_b32 s2, -1
                                        ; implicit-def: $vgpr3_vgpr4
.LBB9_637:
	s_delay_alu instid0(SALU_CYCLE_1)
	s_and_b32 vcc_lo, exec_lo, s2
	s_cbranch_vccz .LBB9_639
; %bb.638:
	global_load_u8 v3, v[0:1], off
	s_waitcnt vmcnt(0)
	v_lshlrev_b32_e32 v3, 24, v3
	s_delay_alu instid0(VALU_DEP_1) | instskip(NEXT) | instid1(VALU_DEP_1)
	v_and_b32_e32 v4, 0x7f000000, v3
	v_clz_i32_u32_e32 v5, v4
	v_add_nc_u32_e32 v7, 0x1000000, v4
	v_cmp_ne_u32_e32 vcc_lo, 0, v4
	s_delay_alu instid0(VALU_DEP_3) | instskip(NEXT) | instid1(VALU_DEP_1)
	v_min_u32_e32 v5, 32, v5
	v_sub_nc_u32_e64 v5, v5, 4 clamp
	s_delay_alu instid0(VALU_DEP_1) | instskip(SKIP_1) | instid1(VALU_DEP_2)
	v_lshlrev_b32_e32 v6, v5, v4
	v_lshlrev_b32_e32 v5, 23, v5
	v_lshrrev_b32_e32 v6, 4, v6
	s_delay_alu instid0(VALU_DEP_1) | instskip(SKIP_1) | instid1(VALU_DEP_2)
	v_sub_nc_u32_e32 v5, v6, v5
	v_ashrrev_i32_e32 v6, 8, v7
	v_add_nc_u32_e32 v5, 0x3c000000, v5
	s_delay_alu instid0(VALU_DEP_1) | instskip(NEXT) | instid1(VALU_DEP_1)
	v_and_or_b32 v5, 0x7f800000, v6, v5
	v_cndmask_b32_e32 v4, 0, v5, vcc_lo
	s_delay_alu instid0(VALU_DEP_1) | instskip(NEXT) | instid1(VALU_DEP_1)
	v_and_or_b32 v3, 0x80000000, v3, v4
	v_cvt_f64_f32_e32 v[3:4], v3
.LBB9_639:
	s_mov_b32 s2, 0
.LBB9_640:
	s_delay_alu instid0(SALU_CYCLE_1)
	s_and_not1_b32 vcc_lo, exec_lo, s2
	s_cbranch_vccnz .LBB9_642
; %bb.641:
	global_load_u8 v3, v[0:1], off
	s_waitcnt vmcnt(0)
	v_lshlrev_b32_e32 v4, 25, v3
	v_lshlrev_b16 v3, 8, v3
	s_delay_alu instid0(VALU_DEP_2) | instskip(NEXT) | instid1(VALU_DEP_2)
	v_lshrrev_b32_e32 v5, 4, v4
	v_and_or_b32 v6, 0x7f00, v3, 0.5
	v_bfe_i32 v3, v3, 0, 16
	s_delay_alu instid0(VALU_DEP_3) | instskip(NEXT) | instid1(VALU_DEP_1)
	v_or_b32_e32 v5, 0x70000000, v5
	v_dual_add_f32 v6, -0.5, v6 :: v_dual_mul_f32 v5, 0x7800000, v5
	v_cmp_gt_u32_e32 vcc_lo, 0x8000000, v4
	s_delay_alu instid0(VALU_DEP_2) | instskip(NEXT) | instid1(VALU_DEP_1)
	v_cndmask_b32_e32 v4, v5, v6, vcc_lo
	v_and_or_b32 v3, 0x80000000, v3, v4
	s_delay_alu instid0(VALU_DEP_1)
	v_cvt_f64_f32_e32 v[3:4], v3
.LBB9_642:
	s_mov_b32 s3, 0
	s_mov_b32 s2, -1
.LBB9_643:
	s_and_not1_b32 vcc_lo, exec_lo, s3
	s_cbranch_vccnz .LBB9_654
; %bb.644:
	v_cmp_lt_i16_e32 vcc_lo, 14, v12
	s_cbranch_vccz .LBB9_647
; %bb.645:
	v_cmp_eq_u16_e32 vcc_lo, 15, v12
	s_cbranch_vccz .LBB9_648
; %bb.646:
	global_load_u16 v3, v[0:1], off
	s_mov_b32 s2, -1
	s_mov_b32 s22, 0
	s_waitcnt vmcnt(0)
	v_lshlrev_b32_e32 v3, 16, v3
	s_delay_alu instid0(VALU_DEP_1)
	v_cvt_f64_f32_e32 v[3:4], v3
	s_branch .LBB9_649
.LBB9_647:
	s_mov_b32 s3, -1
                                        ; implicit-def: $vgpr3_vgpr4
	s_branch .LBB9_650
.LBB9_648:
	s_mov_b32 s22, -1
                                        ; implicit-def: $vgpr3_vgpr4
.LBB9_649:
	s_mov_b32 s3, 0
.LBB9_650:
	s_delay_alu instid0(SALU_CYCLE_1)
	s_and_b32 vcc_lo, exec_lo, s3
	s_cbranch_vccz .LBB9_654
; %bb.651:
	v_cmp_eq_u16_e32 vcc_lo, 11, v12
	s_cbranch_vccz .LBB9_653
; %bb.652:
	global_load_u8 v3, v[0:1], off
	s_mov_b32 s22, 0
	s_mov_b32 s2, -1
	s_waitcnt vmcnt(0)
	v_cmp_ne_u16_e32 vcc_lo, 0, v3
	v_mov_b32_e32 v3, 0
	v_cndmask_b32_e64 v4, 0, 0x3ff00000, vcc_lo
	s_branch .LBB9_654
.LBB9_653:
	s_mov_b32 s22, -1
                                        ; implicit-def: $vgpr3_vgpr4
.LBB9_654:
	s_mov_b32 s3, 0
.LBB9_655:
	s_delay_alu instid0(SALU_CYCLE_1)
	s_and_b32 vcc_lo, exec_lo, s3
	s_cbranch_vccz .LBB9_704
; %bb.656:
	v_cmp_gt_i16_e32 vcc_lo, 5, v12
	s_cbranch_vccnz .LBB9_661
; %bb.657:
	v_cmp_gt_i16_e32 vcc_lo, 8, v12
	s_cbranch_vccnz .LBB9_662
	;; [unrolled: 3-line block ×3, first 2 shown]
; %bb.659:
	v_cmp_lt_i16_e32 vcc_lo, 9, v12
	s_cbranch_vccz .LBB9_664
; %bb.660:
	global_load_b64 v[3:4], v[0:1], off
	s_mov_b32 s2, 0
	s_branch .LBB9_665
.LBB9_661:
	s_mov_b32 s2, -1
                                        ; implicit-def: $vgpr3_vgpr4
	s_branch .LBB9_683
.LBB9_662:
	s_mov_b32 s2, -1
                                        ; implicit-def: $vgpr3_vgpr4
	s_branch .LBB9_671
.LBB9_663:
	s_mov_b32 s2, -1
                                        ; implicit-def: $vgpr3_vgpr4
	s_branch .LBB9_668
.LBB9_664:
	s_mov_b32 s2, -1
                                        ; implicit-def: $vgpr3_vgpr4
.LBB9_665:
	s_delay_alu instid0(SALU_CYCLE_1)
	s_and_not1_b32 vcc_lo, exec_lo, s2
	s_cbranch_vccnz .LBB9_667
; %bb.666:
	global_load_b32 v3, v[0:1], off
	s_waitcnt vmcnt(0)
	v_cvt_f64_f32_e32 v[3:4], v3
.LBB9_667:
	s_mov_b32 s2, 0
.LBB9_668:
	s_delay_alu instid0(SALU_CYCLE_1)
	s_and_not1_b32 vcc_lo, exec_lo, s2
	s_cbranch_vccnz .LBB9_670
; %bb.669:
	global_load_b32 v3, v[0:1], off
	s_waitcnt vmcnt(0)
	v_cvt_f32_f16_e32 v3, v3
	s_delay_alu instid0(VALU_DEP_1)
	v_cvt_f64_f32_e32 v[3:4], v3
.LBB9_670:
	s_mov_b32 s2, 0
.LBB9_671:
	s_delay_alu instid0(SALU_CYCLE_1)
	s_and_not1_b32 vcc_lo, exec_lo, s2
	s_cbranch_vccnz .LBB9_682
; %bb.672:
	v_cmp_gt_i16_e32 vcc_lo, 6, v12
	s_cbranch_vccnz .LBB9_675
; %bb.673:
	v_cmp_lt_i16_e32 vcc_lo, 6, v12
	s_cbranch_vccz .LBB9_676
; %bb.674:
	global_load_b64 v[3:4], v[0:1], off
	s_mov_b32 s2, 0
	s_branch .LBB9_677
.LBB9_675:
	s_mov_b32 s2, -1
                                        ; implicit-def: $vgpr3_vgpr4
	s_branch .LBB9_680
.LBB9_676:
	s_mov_b32 s2, -1
                                        ; implicit-def: $vgpr3_vgpr4
.LBB9_677:
	s_delay_alu instid0(SALU_CYCLE_1)
	s_and_not1_b32 vcc_lo, exec_lo, s2
	s_cbranch_vccnz .LBB9_679
; %bb.678:
	global_load_b32 v3, v[0:1], off
	s_waitcnt vmcnt(0)
	v_cvt_f64_f32_e32 v[3:4], v3
.LBB9_679:
	s_mov_b32 s2, 0
.LBB9_680:
	s_delay_alu instid0(SALU_CYCLE_1)
	s_and_not1_b32 vcc_lo, exec_lo, s2
	s_cbranch_vccnz .LBB9_682
; %bb.681:
	global_load_u16 v3, v[0:1], off
	s_waitcnt vmcnt(0)
	v_cvt_f32_f16_e32 v3, v3
	s_delay_alu instid0(VALU_DEP_1)
	v_cvt_f64_f32_e32 v[3:4], v3
.LBB9_682:
	s_mov_b32 s2, 0
.LBB9_683:
	s_delay_alu instid0(SALU_CYCLE_1)
	s_and_not1_b32 vcc_lo, exec_lo, s2
	s_cbranch_vccnz .LBB9_703
; %bb.684:
	v_cmp_gt_i16_e32 vcc_lo, 2, v12
	s_cbranch_vccnz .LBB9_688
; %bb.685:
	v_cmp_gt_i16_e32 vcc_lo, 3, v12
	s_cbranch_vccnz .LBB9_689
; %bb.686:
	v_cmp_lt_i16_e32 vcc_lo, 3, v12
	s_cbranch_vccz .LBB9_690
; %bb.687:
	global_load_b64 v[3:4], v[0:1], off
	s_mov_b32 s2, 0
	s_waitcnt vmcnt(0)
	v_cvt_f64_i32_e32 v[4:5], v4
	v_cvt_f64_u32_e32 v[6:7], v3
	s_delay_alu instid0(VALU_DEP_2) | instskip(NEXT) | instid1(VALU_DEP_1)
	v_ldexp_f64 v[4:5], v[4:5], 32
	v_add_f64 v[3:4], v[4:5], v[6:7]
	s_branch .LBB9_691
.LBB9_688:
	s_mov_b32 s2, -1
                                        ; implicit-def: $vgpr3_vgpr4
	s_branch .LBB9_697
.LBB9_689:
	s_mov_b32 s2, -1
                                        ; implicit-def: $vgpr3_vgpr4
	s_branch .LBB9_694
.LBB9_690:
	s_mov_b32 s2, -1
                                        ; implicit-def: $vgpr3_vgpr4
.LBB9_691:
	s_delay_alu instid0(SALU_CYCLE_1)
	s_and_not1_b32 vcc_lo, exec_lo, s2
	s_cbranch_vccnz .LBB9_693
; %bb.692:
	global_load_b32 v3, v[0:1], off
	s_waitcnt vmcnt(0)
	v_cvt_f64_i32_e32 v[3:4], v3
.LBB9_693:
	s_mov_b32 s2, 0
.LBB9_694:
	s_delay_alu instid0(SALU_CYCLE_1)
	s_and_not1_b32 vcc_lo, exec_lo, s2
	s_cbranch_vccnz .LBB9_696
; %bb.695:
	global_load_i16 v3, v[0:1], off
	s_waitcnt vmcnt(0)
	v_cvt_f64_i32_e32 v[3:4], v3
.LBB9_696:
	s_mov_b32 s2, 0
.LBB9_697:
	s_delay_alu instid0(SALU_CYCLE_1)
	s_and_not1_b32 vcc_lo, exec_lo, s2
	s_cbranch_vccnz .LBB9_703
; %bb.698:
	v_cmp_lt_i16_e32 vcc_lo, 0, v12
	s_mov_b32 s2, 0
	s_cbranch_vccz .LBB9_700
; %bb.699:
	global_load_i8 v3, v[0:1], off
	s_waitcnt vmcnt(0)
	v_cvt_f64_i32_e32 v[3:4], v3
	s_branch .LBB9_701
.LBB9_700:
	s_mov_b32 s2, -1
                                        ; implicit-def: $vgpr3_vgpr4
.LBB9_701:
	s_delay_alu instid0(SALU_CYCLE_1)
	s_and_not1_b32 vcc_lo, exec_lo, s2
	s_cbranch_vccnz .LBB9_703
; %bb.702:
	global_load_u8 v0, v[0:1], off
	s_waitcnt vmcnt(0)
	v_cvt_f64_u32_e32 v[3:4], v0
.LBB9_703:
	s_mov_b32 s2, -1
.LBB9_704:
	s_delay_alu instid0(SALU_CYCLE_1)
	s_and_not1_b32 vcc_lo, exec_lo, s2
	s_cbranch_vccnz .LBB9_724
; %bb.705:
	s_waitcnt vmcnt(0)
	s_delay_alu instid0(VALU_DEP_1) | instskip(NEXT) | instid1(VALU_DEP_1)
	v_cmp_ge_f64_e64 s2, 0x40200000, |v[3:4]|
                                        ; implicit-def: $vgpr0_vgpr1
	s_and_saveexec_b32 s3, s2
	s_delay_alu instid0(SALU_CYCLE_1)
	s_xor_b32 s2, exec_lo, s3
	s_cbranch_execz .LBB9_711
; %bb.706:
	v_fma_f64 v[0:1], |v[3:4]|, 0.5, -2.0
	s_mov_b32 s42, 0xc38a0576
	s_mov_b32 s43, 0xbc7857d0
	;; [unrolled: 1-line block ×4, first 2 shown]
	s_mov_b32 s3, exec_lo
	s_delay_alu instid0(VALU_DEP_1) | instskip(SKIP_3) | instid1(VALU_DEP_1)
	v_fma_f64 v[5:6], v[0:1], s[44:45], s[42:43]
	s_mov_b32 s45, 0xbc499f2a
	s_mov_b32 s42, 0xe593bfac
	;; [unrolled: 1-line block ×3, first 2 shown]
	v_fma_f64 v[7:8], v[0:1], v[5:6], s[44:45]
	s_delay_alu instid0(VALU_DEP_1) | instskip(SKIP_2) | instid1(VALU_DEP_1)
	v_add_f64 v[7:8], v[7:8], s[42:43]
	s_mov_b32 s42, 0x7e0d1573
	s_mov_b32 s43, 0xbcd3eaaa
	v_fma_f64 v[5:6], v[0:1], v[7:8], -v[5:6]
	s_delay_alu instid0(VALU_DEP_1) | instskip(SKIP_2) | instid1(VALU_DEP_1)
	v_add_f64 v[5:6], v[5:6], s[42:43]
	s_mov_b32 s42, 0x615290c
	s_mov_b32 s43, 0x3d011d7f
	v_fma_f64 v[7:8], v[0:1], v[5:6], -v[7:8]
	;; [unrolled: 5-line block ×26, first 2 shown]
	s_delay_alu instid0(VALU_DEP_1) | instskip(NEXT) | instid1(VALU_DEP_1)
	v_add_f64 v[0:1], v[0:1], s[42:43]
	v_add_f64 v[5:6], v[0:1], -v[7:8]
                                        ; implicit-def: $vgpr0_vgpr1
	v_cmpx_ngt_f64_e32 0, v[3:4]
	s_xor_b32 s3, exec_lo, s3
	s_cbranch_execz .LBB9_708
; %bb.707:
	s_mov_b32 s42, 0x652b82fe
	s_mov_b32 s43, 0x3ff71547
	;; [unrolled: 1-line block ×3, first 2 shown]
	v_mul_f64 v[0:1], |v[3:4]|, s[42:43]
	s_mov_b32 s42, 0xfefa39ef
	s_mov_b32 s43, 0xbfe62e42
	;; [unrolled: 1-line block ×3, first 2 shown]
	s_delay_alu instid0(VALU_DEP_3) | instskip(SKIP_1) | instid1(VALU_DEP_3)
	v_mul_f64 v[5:6], v[5:6], 0.5
	v_cmp_nlt_f64_e64 vcc_lo, 0x40900000, |v[3:4]|
	v_rndne_f64_e32 v[0:1], v[0:1]
	s_delay_alu instid0(VALU_DEP_1) | instskip(SKIP_4) | instid1(VALU_DEP_3)
	v_fma_f64 v[7:8], v[0:1], s[42:43], |v[3:4]|
	s_mov_b32 s42, 0x3b39803f
	s_mov_b32 s43, 0xbc7abc9e
	v_cvt_i32_f64_e32 v13, v[0:1]
	v_mul_f64 v[3:4], |v[3:4]|, v[5:6]
                                        ; implicit-def: $vgpr5_vgpr6
	v_fma_f64 v[7:8], v[0:1], s[42:43], v[7:8]
	s_mov_b32 s42, 0xfca7ab0c
	s_mov_b32 s43, 0x3e928af3
	s_delay_alu instid0(VALU_DEP_1) | instid1(SALU_CYCLE_1)
	v_fma_f64 v[9:10], v[7:8], s[44:45], s[42:43]
	s_mov_b32 s42, 0x623fde64
	s_mov_b32 s43, 0x3ec71dee
	s_delay_alu instid0(VALU_DEP_1) | instid1(SALU_CYCLE_1)
	;; [unrolled: 4-line block ×9, first 2 shown]
	v_fma_f64 v[9:10], v[7:8], v[9:10], s[42:43]
	s_delay_alu instid0(VALU_DEP_1) | instskip(NEXT) | instid1(VALU_DEP_1)
	v_fma_f64 v[9:10], v[7:8], v[9:10], 1.0
	v_fma_f64 v[0:1], v[7:8], v[9:10], 1.0
	s_delay_alu instid0(VALU_DEP_1) | instskip(NEXT) | instid1(VALU_DEP_1)
	v_ldexp_f64 v[0:1], v[0:1], v13
	v_cndmask_b32_e32 v1, 0x7ff00000, v1, vcc_lo
	s_delay_alu instid0(VALU_DEP_2) | instskip(NEXT) | instid1(VALU_DEP_1)
	v_cndmask_b32_e32 v0, 0, v0, vcc_lo
	v_mul_f64 v[0:1], v[0:1], v[3:4]
                                        ; implicit-def: $vgpr3_vgpr4
.LBB9_708:
	s_and_not1_saveexec_b32 s3, s3
	s_cbranch_execz .LBB9_710
; %bb.709:
	s_mov_b32 s42, 0x652b82fe
	s_mov_b32 s43, 0x3ff71547
	;; [unrolled: 1-line block ×3, first 2 shown]
	v_mul_f64 v[0:1], |v[3:4]|, s[42:43]
	s_mov_b32 s42, 0xfefa39ef
	s_mov_b32 s43, 0xbfe62e42
	;; [unrolled: 1-line block ×3, first 2 shown]
	s_delay_alu instid0(VALU_DEP_3) | instskip(SKIP_1) | instid1(VALU_DEP_3)
	v_mul_f64 v[5:6], v[5:6], -0.5
	v_cmp_nlt_f64_e64 vcc_lo, 0x40900000, |v[3:4]|
	v_rndne_f64_e32 v[0:1], v[0:1]
	s_delay_alu instid0(VALU_DEP_1) | instskip(SKIP_4) | instid1(VALU_DEP_3)
	v_fma_f64 v[7:8], v[0:1], s[42:43], |v[3:4]|
	s_mov_b32 s42, 0x3b39803f
	s_mov_b32 s43, 0xbc7abc9e
	v_cvt_i32_f64_e32 v13, v[0:1]
	v_mul_f64 v[3:4], |v[3:4]|, v[5:6]
	v_fma_f64 v[7:8], v[0:1], s[42:43], v[7:8]
	s_mov_b32 s42, 0xfca7ab0c
	s_mov_b32 s43, 0x3e928af3
	s_delay_alu instid0(VALU_DEP_1) | instid1(SALU_CYCLE_1)
	v_fma_f64 v[9:10], v[7:8], s[44:45], s[42:43]
	s_mov_b32 s42, 0x623fde64
	s_mov_b32 s43, 0x3ec71dee
	s_delay_alu instid0(VALU_DEP_1) | instid1(SALU_CYCLE_1)
	;; [unrolled: 4-line block ×9, first 2 shown]
	v_fma_f64 v[9:10], v[7:8], v[9:10], s[42:43]
	s_delay_alu instid0(VALU_DEP_1) | instskip(NEXT) | instid1(VALU_DEP_1)
	v_fma_f64 v[9:10], v[7:8], v[9:10], 1.0
	v_fma_f64 v[0:1], v[7:8], v[9:10], 1.0
	s_delay_alu instid0(VALU_DEP_1) | instskip(NEXT) | instid1(VALU_DEP_1)
	v_ldexp_f64 v[0:1], v[0:1], v13
	v_cndmask_b32_e32 v1, 0x7ff00000, v1, vcc_lo
	s_delay_alu instid0(VALU_DEP_2) | instskip(NEXT) | instid1(VALU_DEP_1)
	v_cndmask_b32_e32 v0, 0, v0, vcc_lo
	v_mul_f64 v[0:1], v[0:1], v[3:4]
.LBB9_710:
	s_or_b32 exec_lo, exec_lo, s3
                                        ; implicit-def: $vgpr3_vgpr4
.LBB9_711:
	s_and_not1_saveexec_b32 s2, s2
	s_cbranch_execz .LBB9_717
; %bb.712:
	v_dual_mov_b32 v0, v3 :: v_dual_and_b32 v1, 0x7fffffff, v4
	s_mov_b32 s42, 0xea87b950
	s_mov_b32 s43, 0x3c545b8a
	;; [unrolled: 1-line block ×4, first 2 shown]
	v_div_scale_f64 v[5:6], null, v[0:1], v[0:1], 0x40400000
	v_div_scale_f64 v[0:1], vcc_lo, 0x40400000, v[0:1], 0x40400000
	s_mov_b32 s46, 0x2e9e5443
	s_mov_b32 s47, 0xbe90dbfd
	s_mov_b32 s3, exec_lo
	s_delay_alu instid0(VALU_DEP_2) | instskip(SKIP_2) | instid1(VALU_DEP_1)
	v_rcp_f64_e32 v[7:8], v[5:6]
	s_waitcnt_depctr 0xfff
	v_fma_f64 v[9:10], -v[5:6], v[7:8], 1.0
	v_fma_f64 v[7:8], v[7:8], v[9:10], v[7:8]
	s_delay_alu instid0(VALU_DEP_1) | instskip(NEXT) | instid1(VALU_DEP_1)
	v_fma_f64 v[9:10], -v[5:6], v[7:8], 1.0
	v_fma_f64 v[7:8], v[7:8], v[9:10], v[7:8]
	s_delay_alu instid0(VALU_DEP_1) | instskip(NEXT) | instid1(VALU_DEP_1)
	v_mul_f64 v[9:10], v[0:1], v[7:8]
	v_fma_f64 v[0:1], -v[5:6], v[9:10], v[0:1]
	s_delay_alu instid0(VALU_DEP_1) | instskip(NEXT) | instid1(VALU_DEP_1)
	v_div_fmas_f64 v[0:1], v[0:1], v[7:8], v[9:10]
	v_div_fixup_f64 v[0:1], v[0:1], |v[3:4]|, 0x40400000
	s_delay_alu instid0(VALU_DEP_1) | instskip(NEXT) | instid1(VALU_DEP_1)
	v_add_f64 v[0:1], v[0:1], -2.0
	v_fma_f64 v[5:6], v[0:1], s[44:45], s[42:43]
	s_mov_b32 s45, 0xbc61556d
	s_mov_b32 s42, 0xb2532277
	;; [unrolled: 1-line block ×3, first 2 shown]
	s_delay_alu instid0(VALU_DEP_1) | instskip(SKIP_2) | instid1(VALU_DEP_1)
	v_fma_f64 v[7:8], v[0:1], v[5:6], s[44:45]
	s_mov_b32 s44, 0x9ad53528
	s_mov_b32 s45, 0xbe30790b
	v_add_f64 v[7:8], v[7:8], s[42:43]
	s_mov_b32 s42, 0x9c773320
	s_mov_b32 s43, 0xbc82806c
	s_delay_alu instid0(VALU_DEP_1) | instskip(NEXT) | instid1(VALU_DEP_1)
	v_fma_f64 v[5:6], v[0:1], v[7:8], -v[5:6]
	v_add_f64 v[5:6], v[5:6], s[42:43]
	s_mov_b32 s42, 0xfceb588a
	s_mov_b32 s43, 0x3cb55915
	s_delay_alu instid0(VALU_DEP_1) | instskip(NEXT) | instid1(VALU_DEP_1)
	v_fma_f64 v[7:8], v[0:1], v[5:6], -v[7:8]
	;; [unrolled: 5-line block ×15, first 2 shown]
	v_add_f64 v[5:6], v[5:6], s[42:43]
	s_mov_b32 s42, 0x652b82fe
	s_mov_b32 s43, 0x3ff71547
	s_delay_alu instid0(SALU_CYCLE_1) | instskip(SKIP_2) | instid1(VALU_DEP_2)
	v_mul_f64 v[9:10], |v[3:4]|, s[42:43]
	s_mov_b32 s42, 0xfefa39ef
	s_mov_b32 s43, 0xbfe62e42
	v_fma_f64 v[7:8], v[0:1], v[5:6], -v[7:8]
	s_delay_alu instid0(VALU_DEP_2) | instskip(NEXT) | instid1(VALU_DEP_2)
	v_rndne_f64_e32 v[9:10], v[9:10]
	v_add_f64 v[7:8], v[7:8], s[44:45]
	s_mov_b32 s44, 0x94bb46c1
	s_mov_b32 s45, 0xbe5c4153
	s_delay_alu instid0(VALU_DEP_2) | instskip(SKIP_2) | instid1(VALU_DEP_2)
	v_fma_f64 v[15:16], v[9:10], s[42:43], |v[3:4]|
	s_mov_b32 s42, 0x3b39803f
	s_mov_b32 s43, 0xbc7abc9e
	v_fma_f64 v[5:6], v[0:1], v[7:8], -v[5:6]
	s_delay_alu instid0(VALU_DEP_2) | instskip(SKIP_3) | instid1(VALU_DEP_3)
	v_fma_f64 v[15:16], v[9:10], s[42:43], v[15:16]
	s_mov_b32 s42, 0xfca7ab0c
	s_mov_b32 s43, 0x3e928af3
	v_cvt_i32_f64_e32 v9, v[9:10]
	v_add_f64 v[5:6], v[5:6], s[44:45]
	s_mov_b32 s44, 0x6a5dcb37
	s_mov_b32 s45, 0x3e5ade15
	s_delay_alu instid0(VALU_DEP_3) | instid1(SALU_CYCLE_1)
	v_fma_f64 v[17:18], v[15:16], s[44:45], s[42:43]
	s_mov_b32 s42, 0x623fde64
	s_mov_b32 s43, 0x3ec71dee
	;; [unrolled: 1-line block ×4, first 2 shown]
	s_delay_alu instid0(VALU_DEP_2) | instskip(NEXT) | instid1(VALU_DEP_2)
	v_fma_f64 v[7:8], v[0:1], v[5:6], -v[7:8]
	v_fma_f64 v[17:18], v[15:16], v[17:18], s[42:43]
	s_mov_b32 s42, 0x7c89e6b0
	s_mov_b32 s43, 0x3efa0199
	s_delay_alu instid0(VALU_DEP_2) | instskip(NEXT) | instid1(VALU_DEP_2)
	v_add_f64 v[7:8], v[7:8], s[46:47]
	v_fma_f64 v[17:18], v[15:16], v[17:18], s[42:43]
	s_mov_b32 s42, 0x14761f6e
	s_mov_b32 s43, 0x3f2a01a0
	s_delay_alu instid0(VALU_DEP_2) | instskip(NEXT) | instid1(VALU_DEP_2)
	v_fma_f64 v[5:6], v[0:1], v[7:8], -v[5:6]
	v_fma_f64 v[17:18], v[15:16], v[17:18], s[42:43]
	s_mov_b32 s42, 0x1852b7b0
	s_mov_b32 s43, 0x3f56c16c
	s_delay_alu instid0(VALU_DEP_2) | instskip(SKIP_2) | instid1(VALU_DEP_2)
	v_add_f64 v[5:6], v[5:6], s[44:45]
	s_mov_b32 s44, 0x804aa9a6
	s_mov_b32 s45, 0xbf1cfd7f
	v_fma_f64 v[17:18], v[15:16], v[17:18], s[42:43]
	s_mov_b32 s42, 0x11122322
	s_mov_b32 s43, 0x3f811111
	s_delay_alu instid0(VALU_DEP_2) | instskip(NEXT) | instid1(VALU_DEP_2)
	v_fma_f64 v[7:8], v[0:1], v[5:6], -v[7:8]
	v_fma_f64 v[17:18], v[15:16], v[17:18], s[42:43]
	s_mov_b32 s42, 0x555502a1
	s_mov_b32 s43, 0x3fa55555
	s_delay_alu instid0(VALU_DEP_2) | instskip(SKIP_2) | instid1(VALU_DEP_2)
	v_add_f64 v[7:8], v[7:8], s[44:45]
	s_mov_b32 s44, 0x53fcdb4c
	s_mov_b32 s45, 0xbf83fda0
	v_fma_f64 v[17:18], v[15:16], v[17:18], s[42:43]
	s_mov_b32 s42, 0x55555511
	s_mov_b32 s43, 0x3fc55555
	s_delay_alu instid0(VALU_DEP_2) | instskip(NEXT) | instid1(VALU_DEP_2)
	v_fma_f64 v[5:6], v[0:1], v[7:8], -v[5:6]
	v_fma_f64 v[17:18], v[15:16], v[17:18], s[42:43]
	s_mov_b32 s42, 11
	s_mov_b32 s43, 0x3fe00000
	s_delay_alu instid0(VALU_DEP_2) | instskip(SKIP_2) | instid1(VALU_DEP_1)
	v_add_f64 v[5:6], v[5:6], s[44:45]
	s_mov_b32 s44, 0xb55b1514
	s_mov_b32 s45, 0x3fe8ea18
	v_fma_f64 v[0:1], v[0:1], v[5:6], -v[7:8]
	s_delay_alu instid0(VALU_DEP_3) | instskip(NEXT) | instid1(VALU_DEP_2)
	v_fma_f64 v[5:6], v[15:16], v[17:18], s[42:43]
	v_add_f64 v[0:1], v[0:1], s[44:45]
	s_delay_alu instid0(VALU_DEP_2) | instskip(NEXT) | instid1(VALU_DEP_2)
	v_fma_f64 v[5:6], v[15:16], v[5:6], 1.0
	v_add_f64 v[0:1], v[0:1], -v[7:8]
	s_delay_alu instid0(VALU_DEP_2) | instskip(NEXT) | instid1(VALU_DEP_2)
	v_fma_f64 v[7:8], v[15:16], v[5:6], 1.0
	v_mul_f64 v[5:6], v[0:1], 0.5
                                        ; implicit-def: $vgpr0_vgpr1
	v_cmpx_ngt_f64_e32 0, v[3:4]
	s_xor_b32 s3, exec_lo, s3
	s_cbranch_execz .LBB9_714
; %bb.713:
	v_cmp_gt_f64_e64 s23, 0x10000000, |v[3:4]|
	s_delay_alu instid0(VALU_DEP_4) | instskip(SKIP_1) | instid1(VALU_DEP_3)
	v_ldexp_f64 v[7:8], v[7:8], v9
	v_cmp_nlt_f64_e64 vcc_lo, 0x40900000, |v[3:4]|
	v_cndmask_b32_e64 v0, 0, 1, s23
	v_cndmask_b32_e64 v9, 0, 0xffffff80, s23
	s_delay_alu instid0(VALU_DEP_4) | instskip(NEXT) | instid1(VALU_DEP_3)
	v_cndmask_b32_e32 v8, 0x7ff00000, v8, vcc_lo
	v_dual_cndmask_b32 v7, 0, v7 :: v_dual_lshlrev_b32 v0, 8, v0
	s_delay_alu instid0(VALU_DEP_1) | instskip(NEXT) | instid1(VALU_DEP_2)
	v_mul_f64 v[5:6], v[7:8], v[5:6]
	v_ldexp_f64 v[0:1], |v[3:4]|, v0
	s_delay_alu instid0(VALU_DEP_1) | instskip(SKIP_4) | instid1(VALU_DEP_1)
	v_rsq_f64_e32 v[15:16], v[0:1]
	v_cmp_class_f64_e64 vcc_lo, v[0:1], 0x260
	s_waitcnt_depctr 0xfff
	v_mul_f64 v[17:18], v[0:1], v[15:16]
	v_mul_f64 v[15:16], v[15:16], 0.5
	v_fma_f64 v[19:20], -v[15:16], v[17:18], 0.5
	s_delay_alu instid0(VALU_DEP_1) | instskip(SKIP_1) | instid1(VALU_DEP_2)
	v_fma_f64 v[17:18], v[17:18], v[19:20], v[17:18]
	v_fma_f64 v[15:16], v[15:16], v[19:20], v[15:16]
	v_fma_f64 v[19:20], -v[17:18], v[17:18], v[0:1]
	s_delay_alu instid0(VALU_DEP_1) | instskip(NEXT) | instid1(VALU_DEP_1)
	v_fma_f64 v[17:18], v[19:20], v[15:16], v[17:18]
	v_fma_f64 v[19:20], -v[17:18], v[17:18], v[0:1]
	s_delay_alu instid0(VALU_DEP_1) | instskip(NEXT) | instid1(VALU_DEP_1)
	v_fma_f64 v[3:4], v[19:20], v[15:16], v[17:18]
	v_ldexp_f64 v[3:4], v[3:4], v9
	s_delay_alu instid0(VALU_DEP_1) | instskip(NEXT) | instid1(VALU_DEP_1)
	v_dual_cndmask_b32 v1, v4, v1 :: v_dual_cndmask_b32 v0, v3, v0
	v_div_scale_f64 v[3:4], null, v[0:1], v[0:1], v[5:6]
	s_delay_alu instid0(VALU_DEP_1) | instskip(SKIP_2) | instid1(VALU_DEP_1)
	v_rcp_f64_e32 v[7:8], v[3:4]
	s_waitcnt_depctr 0xfff
	v_fma_f64 v[9:10], -v[3:4], v[7:8], 1.0
	v_fma_f64 v[7:8], v[7:8], v[9:10], v[7:8]
	s_delay_alu instid0(VALU_DEP_1) | instskip(NEXT) | instid1(VALU_DEP_1)
	v_fma_f64 v[9:10], -v[3:4], v[7:8], 1.0
	v_fma_f64 v[7:8], v[7:8], v[9:10], v[7:8]
	v_div_scale_f64 v[9:10], vcc_lo, v[5:6], v[0:1], v[5:6]
	s_delay_alu instid0(VALU_DEP_1) | instskip(NEXT) | instid1(VALU_DEP_1)
	v_mul_f64 v[15:16], v[9:10], v[7:8]
	v_fma_f64 v[3:4], -v[3:4], v[15:16], v[9:10]
                                        ; implicit-def: $vgpr9
	s_delay_alu instid0(VALU_DEP_1) | instskip(NEXT) | instid1(VALU_DEP_1)
	v_div_fmas_f64 v[3:4], v[3:4], v[7:8], v[15:16]
                                        ; implicit-def: $vgpr7_vgpr8
	v_div_fixup_f64 v[0:1], v[3:4], v[0:1], v[5:6]
                                        ; implicit-def: $vgpr3_vgpr4
                                        ; implicit-def: $vgpr5_vgpr6
.LBB9_714:
	s_and_not1_saveexec_b32 s3, s3
	s_cbranch_execz .LBB9_716
; %bb.715:
	v_cmp_gt_f64_e64 s23, 0x10000000, |v[3:4]|
	s_delay_alu instid0(VALU_DEP_4) | instskip(SKIP_1) | instid1(VALU_DEP_3)
	v_ldexp_f64 v[7:8], -v[7:8], v9
	v_cmp_nlt_f64_e64 vcc_lo, 0x40900000, |v[3:4]|
	v_cndmask_b32_e64 v0, 0, 1, s23
	v_cndmask_b32_e64 v9, 0, 0xffffff80, s23
	s_delay_alu instid0(VALU_DEP_4) | instskip(NEXT) | instid1(VALU_DEP_3)
	v_cndmask_b32_e32 v8, 0xfff00000, v8, vcc_lo
	v_dual_cndmask_b32 v7, 0, v7 :: v_dual_lshlrev_b32 v0, 8, v0
	s_delay_alu instid0(VALU_DEP_1) | instskip(NEXT) | instid1(VALU_DEP_2)
	v_mul_f64 v[5:6], v[7:8], v[5:6]
	v_ldexp_f64 v[0:1], |v[3:4]|, v0
	s_delay_alu instid0(VALU_DEP_1) | instskip(SKIP_4) | instid1(VALU_DEP_1)
	v_rsq_f64_e32 v[15:16], v[0:1]
	v_cmp_class_f64_e64 vcc_lo, v[0:1], 0x260
	s_waitcnt_depctr 0xfff
	v_mul_f64 v[17:18], v[0:1], v[15:16]
	v_mul_f64 v[15:16], v[15:16], 0.5
	v_fma_f64 v[19:20], -v[15:16], v[17:18], 0.5
	s_delay_alu instid0(VALU_DEP_1) | instskip(SKIP_1) | instid1(VALU_DEP_2)
	v_fma_f64 v[17:18], v[17:18], v[19:20], v[17:18]
	v_fma_f64 v[15:16], v[15:16], v[19:20], v[15:16]
	v_fma_f64 v[19:20], -v[17:18], v[17:18], v[0:1]
	s_delay_alu instid0(VALU_DEP_1) | instskip(NEXT) | instid1(VALU_DEP_1)
	v_fma_f64 v[17:18], v[19:20], v[15:16], v[17:18]
	v_fma_f64 v[19:20], -v[17:18], v[17:18], v[0:1]
	s_delay_alu instid0(VALU_DEP_1) | instskip(NEXT) | instid1(VALU_DEP_1)
	v_fma_f64 v[3:4], v[19:20], v[15:16], v[17:18]
	v_ldexp_f64 v[3:4], v[3:4], v9
	s_delay_alu instid0(VALU_DEP_1) | instskip(NEXT) | instid1(VALU_DEP_1)
	v_dual_cndmask_b32 v1, v4, v1 :: v_dual_cndmask_b32 v0, v3, v0
	v_div_scale_f64 v[3:4], null, v[0:1], v[0:1], v[5:6]
	s_delay_alu instid0(VALU_DEP_1) | instskip(SKIP_2) | instid1(VALU_DEP_1)
	v_rcp_f64_e32 v[7:8], v[3:4]
	s_waitcnt_depctr 0xfff
	v_fma_f64 v[9:10], -v[3:4], v[7:8], 1.0
	v_fma_f64 v[7:8], v[7:8], v[9:10], v[7:8]
	s_delay_alu instid0(VALU_DEP_1) | instskip(NEXT) | instid1(VALU_DEP_1)
	v_fma_f64 v[9:10], -v[3:4], v[7:8], 1.0
	v_fma_f64 v[7:8], v[7:8], v[9:10], v[7:8]
	v_div_scale_f64 v[9:10], vcc_lo, v[5:6], v[0:1], v[5:6]
	s_delay_alu instid0(VALU_DEP_1) | instskip(NEXT) | instid1(VALU_DEP_1)
	v_mul_f64 v[15:16], v[9:10], v[7:8]
	v_fma_f64 v[3:4], -v[3:4], v[15:16], v[9:10]
	s_delay_alu instid0(VALU_DEP_1) | instskip(NEXT) | instid1(VALU_DEP_1)
	v_div_fmas_f64 v[3:4], v[3:4], v[7:8], v[15:16]
	v_div_fixup_f64 v[0:1], v[3:4], v[0:1], v[5:6]
.LBB9_716:
	s_or_b32 exec_lo, exec_lo, s3
.LBB9_717:
	s_delay_alu instid0(SALU_CYCLE_1) | instskip(SKIP_2) | instid1(VALU_DEP_1)
	s_or_b32 exec_lo, exec_lo, s2
	v_and_b32_e32 v6, 0xff, v11
	v_add_co_u32 v4, s2, s4, v2
	v_add_co_ci_u32_e64 v5, null, s5, 0, s2
	s_delay_alu instid0(VALU_DEP_3)
	v_cmp_gt_i16_e32 vcc_lo, 11, v6
	s_mov_b32 s3, 0
	s_mov_b32 s23, -1
	s_mov_b32 s2, s38
	s_cbranch_vccnz .LBB9_725
; %bb.718:
	v_cmp_lt_i16_e32 vcc_lo, 25, v6
	s_cbranch_vccz .LBB9_766
; %bb.719:
	v_cmp_lt_i16_e32 vcc_lo, 28, v6
	s_cbranch_vccz .LBB9_767
	;; [unrolled: 3-line block ×4, first 2 shown]
; %bb.722:
	v_cmp_eq_u16_e32 vcc_lo, 46, v6
	s_mov_b32 s23, 0
	s_mov_b32 s2, -1
	s_cbranch_vccz .LBB9_770
; %bb.723:
	v_cvt_f32_f64_e32 v2, v[0:1]
	s_mov_b32 s3, -1
	s_mov_b32 s2, 0
	s_delay_alu instid0(VALU_DEP_1) | instskip(SKIP_1) | instid1(VALU_DEP_2)
	v_bfe_u32 v3, v2, 16, 1
	v_cmp_o_f32_e32 vcc_lo, v2, v2
	v_add3_u32 v3, v2, v3, 0x7fff
	s_delay_alu instid0(VALU_DEP_1) | instskip(NEXT) | instid1(VALU_DEP_1)
	v_lshrrev_b32_e32 v3, 16, v3
	v_cndmask_b32_e32 v2, 0x7fc0, v3, vcc_lo
	global_store_b32 v[4:5], v2, off
	s_branch .LBB9_770
.LBB9_724:
	s_mov_b32 s3, 0
	s_mov_b32 s2, s38
	s_branch .LBB9_765
.LBB9_725:
	s_and_b32 vcc_lo, exec_lo, s23
	s_cbranch_vccz .LBB9_839
; %bb.726:
	v_cmp_gt_i16_e32 vcc_lo, 5, v6
	s_mov_b32 s3, -1
	s_cbranch_vccnz .LBB9_747
; %bb.727:
	v_cmp_gt_i16_e32 vcc_lo, 8, v6
	s_cbranch_vccnz .LBB9_737
; %bb.728:
	v_cmp_gt_i16_e32 vcc_lo, 9, v6
	s_cbranch_vccnz .LBB9_734
; %bb.729:
	v_cmp_lt_i16_e32 vcc_lo, 9, v6
	s_cbranch_vccz .LBB9_731
; %bb.730:
	v_mov_b32_e32 v2, 0
	s_mov_b32 s3, 0
	s_delay_alu instid0(VALU_DEP_1)
	v_mov_b32_e32 v3, v2
	global_store_b128 v[4:5], v[0:3], off
.LBB9_731:
	s_and_not1_b32 vcc_lo, exec_lo, s3
	s_cbranch_vccnz .LBB9_733
; %bb.732:
	v_cvt_f32_f64_e32 v2, v[0:1]
	v_mov_b32_e32 v3, 0
	global_store_b64 v[4:5], v[2:3], off
.LBB9_733:
	s_mov_b32 s3, 0
.LBB9_734:
	s_delay_alu instid0(SALU_CYCLE_1)
	s_and_not1_b32 vcc_lo, exec_lo, s3
	s_cbranch_vccnz .LBB9_736
; %bb.735:
	v_cvt_f32_f64_e32 v2, v[0:1]
	s_delay_alu instid0(VALU_DEP_1) | instskip(NEXT) | instid1(VALU_DEP_1)
	v_cvt_f16_f32_e32 v2, v2
	v_and_b32_e32 v2, 0xffff, v2
	global_store_b32 v[4:5], v2, off
.LBB9_736:
	s_mov_b32 s3, 0
.LBB9_737:
	s_delay_alu instid0(SALU_CYCLE_1)
	s_and_not1_b32 vcc_lo, exec_lo, s3
	s_cbranch_vccnz .LBB9_746
; %bb.738:
	v_cmp_gt_i16_e32 vcc_lo, 6, v6
	s_mov_b32 s3, -1
	s_cbranch_vccnz .LBB9_744
; %bb.739:
	v_cmp_lt_i16_e32 vcc_lo, 6, v6
	s_cbranch_vccz .LBB9_741
; %bb.740:
	s_mov_b32 s3, 0
	global_store_b64 v[4:5], v[0:1], off
.LBB9_741:
	s_and_not1_b32 vcc_lo, exec_lo, s3
	s_cbranch_vccnz .LBB9_743
; %bb.742:
	v_cvt_f32_f64_e32 v2, v[0:1]
	global_store_b32 v[4:5], v2, off
.LBB9_743:
	s_mov_b32 s3, 0
.LBB9_744:
	s_delay_alu instid0(SALU_CYCLE_1)
	s_and_not1_b32 vcc_lo, exec_lo, s3
	s_cbranch_vccnz .LBB9_746
; %bb.745:
	v_cvt_f32_f64_e32 v2, v[0:1]
	s_delay_alu instid0(VALU_DEP_1)
	v_cvt_f16_f32_e32 v2, v2
	global_store_b16 v[4:5], v2, off
.LBB9_746:
	s_mov_b32 s3, 0
.LBB9_747:
	s_delay_alu instid0(SALU_CYCLE_1)
	s_and_not1_b32 vcc_lo, exec_lo, s3
	s_cbranch_vccnz .LBB9_763
; %bb.748:
	v_cmp_gt_i16_e32 vcc_lo, 2, v6
	s_mov_b32 s3, -1
	s_cbranch_vccnz .LBB9_758
; %bb.749:
	v_cmp_gt_i16_e32 vcc_lo, 3, v6
	s_cbranch_vccnz .LBB9_755
; %bb.750:
	v_cmp_lt_i16_e32 vcc_lo, 3, v6
	s_cbranch_vccz .LBB9_752
; %bb.751:
	v_trunc_f64_e32 v[2:3], v[0:1]
	s_mov_b32 s3, 0
	s_delay_alu instid0(VALU_DEP_1) | instskip(NEXT) | instid1(VALU_DEP_1)
	v_ldexp_f64 v[7:8], v[2:3], 0xffffffe0
	v_floor_f64_e32 v[7:8], v[7:8]
	s_delay_alu instid0(VALU_DEP_1) | instskip(SKIP_1) | instid1(VALU_DEP_2)
	v_fma_f64 v[2:3], 0xc1f00000, v[7:8], v[2:3]
	v_cvt_i32_f64_e32 v8, v[7:8]
	v_cvt_u32_f64_e32 v7, v[2:3]
	global_store_b64 v[4:5], v[7:8], off
.LBB9_752:
	s_and_not1_b32 vcc_lo, exec_lo, s3
	s_cbranch_vccnz .LBB9_754
; %bb.753:
	v_cvt_i32_f64_e32 v2, v[0:1]
	global_store_b32 v[4:5], v2, off
.LBB9_754:
	s_mov_b32 s3, 0
.LBB9_755:
	s_delay_alu instid0(SALU_CYCLE_1)
	s_and_not1_b32 vcc_lo, exec_lo, s3
	s_cbranch_vccnz .LBB9_757
; %bb.756:
	v_cvt_i32_f64_e32 v2, v[0:1]
	global_store_b16 v[4:5], v2, off
.LBB9_757:
	s_mov_b32 s3, 0
.LBB9_758:
	s_delay_alu instid0(SALU_CYCLE_1)
	s_and_not1_b32 vcc_lo, exec_lo, s3
	s_cbranch_vccnz .LBB9_763
; %bb.759:
	v_cmp_lt_i16_e32 vcc_lo, 0, v6
	s_mov_b32 s3, -1
	s_cbranch_vccz .LBB9_761
; %bb.760:
	v_cvt_i32_f64_e32 v2, v[0:1]
	s_mov_b32 s3, 0
	global_store_b8 v[4:5], v2, off
.LBB9_761:
	s_and_not1_b32 vcc_lo, exec_lo, s3
	s_cbranch_vccnz .LBB9_763
; %bb.762:
	v_trunc_f64_e32 v[0:1], v[0:1]
	s_delay_alu instid0(VALU_DEP_1) | instskip(NEXT) | instid1(VALU_DEP_1)
	v_ldexp_f64 v[2:3], v[0:1], 0xffffffe0
	v_floor_f64_e32 v[2:3], v[2:3]
	s_delay_alu instid0(VALU_DEP_1) | instskip(NEXT) | instid1(VALU_DEP_1)
	v_fma_f64 v[0:1], 0xc1f00000, v[2:3], v[0:1]
	v_cvt_u32_f64_e32 v0, v[0:1]
	global_store_b8 v[4:5], v0, off
.LBB9_763:
	s_branch .LBB9_840
.LBB9_764:
	s_mov_b32 s3, 0
.LBB9_765:
                                        ; implicit-def: $vgpr14
	s_branch .LBB9_841
.LBB9_766:
	s_mov_b32 s2, s38
	s_branch .LBB9_797
.LBB9_767:
	s_mov_b32 s2, s38
	s_branch .LBB9_780
.LBB9_768:
	s_mov_b32 s2, s38
	s_branch .LBB9_776
.LBB9_769:
	s_mov_b32 s2, s38
.LBB9_770:
	s_and_b32 vcc_lo, exec_lo, s23
	s_cbranch_vccz .LBB9_775
; %bb.771:
	v_cmp_eq_u16_e32 vcc_lo, 44, v6
	s_mov_b32 s2, -1
	s_cbranch_vccz .LBB9_775
; %bb.772:
	v_cvt_f32_f64_e32 v2, v[0:1]
	v_mov_b32_e32 v3, 0xff
	s_mov_b32 s3, exec_lo
	s_delay_alu instid0(VALU_DEP_2) | instskip(NEXT) | instid1(VALU_DEP_1)
	v_bfe_u32 v7, v2, 23, 8
	v_cmpx_ne_u32_e32 0xff, v7
; %bb.773:
	v_and_b32_e32 v3, 0x400000, v2
	v_and_or_b32 v7, 0x3fffff, v2, v7
	v_lshrrev_b32_e32 v2, 23, v2
	s_delay_alu instid0(VALU_DEP_3) | instskip(NEXT) | instid1(VALU_DEP_3)
	v_cmp_ne_u32_e32 vcc_lo, 0, v3
	v_cmp_ne_u32_e64 s2, 0, v7
	s_delay_alu instid0(VALU_DEP_1) | instskip(NEXT) | instid1(SALU_CYCLE_1)
	s_and_b32 s2, vcc_lo, s2
	v_cndmask_b32_e64 v3, 0, 1, s2
	s_delay_alu instid0(VALU_DEP_1)
	v_add_nc_u32_e32 v3, v2, v3
; %bb.774:
	s_or_b32 exec_lo, exec_lo, s3
	s_mov_b32 s3, -1
	s_mov_b32 s2, 0
	global_store_b8 v[4:5], v3, off
.LBB9_775:
	s_mov_b32 s23, 0
.LBB9_776:
	s_delay_alu instid0(SALU_CYCLE_1)
	s_and_b32 vcc_lo, exec_lo, s23
	s_cbranch_vccz .LBB9_779
; %bb.777:
	v_cmp_eq_u16_e32 vcc_lo, 29, v6
	s_mov_b32 s2, -1
	s_cbranch_vccz .LBB9_779
; %bb.778:
	v_trunc_f64_e32 v[2:3], v[0:1]
	s_mov_b32 s3, -1
	s_mov_b32 s2, 0
	s_mov_b32 s23, 0
	s_delay_alu instid0(VALU_DEP_1) | instskip(NEXT) | instid1(VALU_DEP_1)
	v_ldexp_f64 v[7:8], v[2:3], 0xffffffe0
	v_floor_f64_e32 v[7:8], v[7:8]
	s_delay_alu instid0(VALU_DEP_1) | instskip(SKIP_1) | instid1(VALU_DEP_2)
	v_fma_f64 v[2:3], 0xc1f00000, v[7:8], v[2:3]
	v_cvt_u32_f64_e32 v8, v[7:8]
	v_cvt_u32_f64_e32 v7, v[2:3]
	global_store_b64 v[4:5], v[7:8], off
	s_branch .LBB9_780
.LBB9_779:
	s_mov_b32 s23, 0
.LBB9_780:
	s_delay_alu instid0(SALU_CYCLE_1)
	s_and_b32 vcc_lo, exec_lo, s23
	s_cbranch_vccz .LBB9_796
; %bb.781:
	v_cmp_gt_i16_e32 vcc_lo, 27, v6
	s_mov_b32 s3, -1
	s_cbranch_vccnz .LBB9_787
; %bb.782:
	v_cmp_lt_i16_e32 vcc_lo, 27, v6
	s_cbranch_vccz .LBB9_784
; %bb.783:
	v_cvt_u32_f64_e32 v2, v[0:1]
	s_mov_b32 s3, 0
	global_store_b32 v[4:5], v2, off
.LBB9_784:
	s_and_not1_b32 vcc_lo, exec_lo, s3
	s_cbranch_vccnz .LBB9_786
; %bb.785:
	v_cvt_u32_f64_e32 v2, v[0:1]
	global_store_b16 v[4:5], v2, off
.LBB9_786:
	s_mov_b32 s3, 0
.LBB9_787:
	s_delay_alu instid0(SALU_CYCLE_1)
	s_and_not1_b32 vcc_lo, exec_lo, s3
	s_cbranch_vccnz .LBB9_795
; %bb.788:
	v_cvt_f32_f64_e32 v2, v[0:1]
	v_mov_b32_e32 v7, 0x80
	s_mov_b32 s3, exec_lo
	s_delay_alu instid0(VALU_DEP_2) | instskip(NEXT) | instid1(VALU_DEP_1)
	v_and_b32_e32 v3, 0x7fffffff, v2
	v_cmpx_gt_u32_e32 0x43800000, v3
	s_cbranch_execz .LBB9_794
; %bb.789:
	v_cmp_lt_u32_e32 vcc_lo, 0x3bffffff, v3
	s_mov_b32 s23, 0
                                        ; implicit-def: $vgpr3
	s_and_saveexec_b32 s41, vcc_lo
	s_delay_alu instid0(SALU_CYCLE_1)
	s_xor_b32 s41, exec_lo, s41
	s_cbranch_execz .LBB9_868
; %bb.790:
	v_bfe_u32 v3, v2, 20, 1
	s_mov_b32 s23, exec_lo
	s_delay_alu instid0(VALU_DEP_1) | instskip(NEXT) | instid1(VALU_DEP_1)
	v_add3_u32 v3, v2, v3, 0x487ffff
	v_lshrrev_b32_e32 v3, 20, v3
	s_or_saveexec_b32 s41, s41
                                        ; implicit-def: $sgpr42
	s_delay_alu instid0(SALU_CYCLE_1)
	s_xor_b32 exec_lo, exec_lo, s41
	s_cbranch_execnz .LBB9_869
.LBB9_791:
	s_or_b32 exec_lo, exec_lo, s41
	v_mov_b32_e32 v7, s42
	s_and_saveexec_b32 s41, s23
.LBB9_792:
	v_lshrrev_b32_e32 v2, 24, v2
	s_delay_alu instid0(VALU_DEP_1)
	v_and_or_b32 v7, 0x80, v2, v3
.LBB9_793:
	s_or_b32 exec_lo, exec_lo, s41
.LBB9_794:
	s_delay_alu instid0(SALU_CYCLE_1)
	s_or_b32 exec_lo, exec_lo, s3
	global_store_b8 v[4:5], v7, off
.LBB9_795:
	s_mov_b32 s3, -1
.LBB9_796:
	s_mov_b32 s23, 0
.LBB9_797:
	s_delay_alu instid0(SALU_CYCLE_1)
	s_and_b32 vcc_lo, exec_lo, s23
	s_cbranch_vccz .LBB9_838
; %bb.798:
	v_cmp_lt_i16_e32 vcc_lo, 22, v6
	s_mov_b32 s23, -1
	s_cbranch_vccz .LBB9_830
; %bb.799:
	v_cmp_gt_i16_e32 vcc_lo, 24, v6
	s_mov_b32 s3, -1
	s_cbranch_vccnz .LBB9_819
; %bb.800:
	v_cmp_lt_i16_e32 vcc_lo, 24, v6
	s_cbranch_vccz .LBB9_808
; %bb.801:
	v_cvt_f32_f64_e32 v2, v[0:1]
	v_mov_b32_e32 v7, 0x80
	s_mov_b32 s3, exec_lo
	s_delay_alu instid0(VALU_DEP_2) | instskip(NEXT) | instid1(VALU_DEP_1)
	v_and_b32_e32 v3, 0x7fffffff, v2
	v_cmpx_gt_u32_e32 0x47800000, v3
	s_cbranch_execz .LBB9_807
; %bb.802:
	v_cmp_lt_u32_e32 vcc_lo, 0x37ffffff, v3
	s_mov_b32 s23, 0
                                        ; implicit-def: $vgpr3
	s_and_saveexec_b32 s41, vcc_lo
	s_delay_alu instid0(SALU_CYCLE_1)
	s_xor_b32 s41, exec_lo, s41
	s_cbranch_execz .LBB9_871
; %bb.803:
	v_bfe_u32 v3, v2, 21, 1
	s_mov_b32 s23, exec_lo
	s_delay_alu instid0(VALU_DEP_1) | instskip(NEXT) | instid1(VALU_DEP_1)
	v_add3_u32 v3, v2, v3, 0x88fffff
	v_lshrrev_b32_e32 v3, 21, v3
	s_or_saveexec_b32 s41, s41
                                        ; implicit-def: $sgpr42
	s_delay_alu instid0(SALU_CYCLE_1)
	s_xor_b32 exec_lo, exec_lo, s41
	s_cbranch_execnz .LBB9_872
.LBB9_804:
	s_or_b32 exec_lo, exec_lo, s41
	v_mov_b32_e32 v7, s42
	s_and_saveexec_b32 s41, s23
.LBB9_805:
	v_lshrrev_b32_e32 v2, 24, v2
	s_delay_alu instid0(VALU_DEP_1)
	v_and_or_b32 v7, 0x80, v2, v3
.LBB9_806:
	s_or_b32 exec_lo, exec_lo, s41
.LBB9_807:
	s_delay_alu instid0(SALU_CYCLE_1)
	s_or_b32 exec_lo, exec_lo, s3
	s_mov_b32 s3, 0
	global_store_b8 v[4:5], v7, off
.LBB9_808:
	s_and_b32 vcc_lo, exec_lo, s3
	s_cbranch_vccz .LBB9_818
; %bb.809:
	v_cvt_f32_f64_e32 v2, v[0:1]
	s_mov_b32 s3, exec_lo
                                        ; implicit-def: $vgpr3
	s_delay_alu instid0(VALU_DEP_1) | instskip(NEXT) | instid1(VALU_DEP_1)
	v_and_b32_e32 v7, 0x7fffffff, v2
	v_cmpx_gt_u32_e32 0x43f00000, v7
	s_xor_b32 s3, exec_lo, s3
	s_cbranch_execz .LBB9_815
; %bb.810:
	s_mov_b32 s23, exec_lo
                                        ; implicit-def: $vgpr3
	v_cmpx_lt_u32_e32 0x3c7fffff, v7
	s_xor_b32 s23, exec_lo, s23
; %bb.811:
	v_bfe_u32 v3, v2, 20, 1
	s_delay_alu instid0(VALU_DEP_1) | instskip(NEXT) | instid1(VALU_DEP_1)
	v_add3_u32 v3, v2, v3, 0x407ffff
	v_and_b32_e32 v7, 0xff00000, v3
	v_lshrrev_b32_e32 v3, 20, v3
	s_delay_alu instid0(VALU_DEP_2) | instskip(NEXT) | instid1(VALU_DEP_2)
	v_cmp_ne_u32_e32 vcc_lo, 0x7f00000, v7
	v_cndmask_b32_e32 v3, 0x7e, v3, vcc_lo
; %bb.812:
	s_and_not1_saveexec_b32 s23, s23
; %bb.813:
	v_add_f32_e64 v3, 0x46800000, |v2|
; %bb.814:
	s_or_b32 exec_lo, exec_lo, s23
                                        ; implicit-def: $vgpr7
.LBB9_815:
	s_and_not1_saveexec_b32 s3, s3
; %bb.816:
	v_mov_b32_e32 v3, 0x7f
	v_cmp_lt_u32_e32 vcc_lo, 0x7f800000, v7
	s_delay_alu instid0(VALU_DEP_2)
	v_cndmask_b32_e32 v3, 0x7e, v3, vcc_lo
; %bb.817:
	s_or_b32 exec_lo, exec_lo, s3
	v_lshrrev_b32_e32 v2, 24, v2
	s_delay_alu instid0(VALU_DEP_1)
	v_and_or_b32 v2, 0x80, v2, v3
	global_store_b8 v[4:5], v2, off
.LBB9_818:
	s_mov_b32 s3, 0
.LBB9_819:
	s_delay_alu instid0(SALU_CYCLE_1)
	s_and_not1_b32 vcc_lo, exec_lo, s3
	s_cbranch_vccnz .LBB9_829
; %bb.820:
	v_cvt_f32_f64_e32 v2, v[0:1]
	s_mov_b32 s3, exec_lo
                                        ; implicit-def: $vgpr3
	s_delay_alu instid0(VALU_DEP_1) | instskip(NEXT) | instid1(VALU_DEP_1)
	v_and_b32_e32 v7, 0x7fffffff, v2
	v_cmpx_gt_u32_e32 0x47800000, v7
	s_xor_b32 s3, exec_lo, s3
	s_cbranch_execz .LBB9_826
; %bb.821:
	s_mov_b32 s23, exec_lo
                                        ; implicit-def: $vgpr3
	v_cmpx_lt_u32_e32 0x387fffff, v7
	s_xor_b32 s23, exec_lo, s23
; %bb.822:
	v_bfe_u32 v3, v2, 21, 1
	s_delay_alu instid0(VALU_DEP_1) | instskip(NEXT) | instid1(VALU_DEP_1)
	v_add3_u32 v3, v2, v3, 0x80fffff
	v_lshrrev_b32_e32 v3, 21, v3
; %bb.823:
	s_and_not1_saveexec_b32 s23, s23
; %bb.824:
	v_add_f32_e64 v3, 0x43000000, |v2|
; %bb.825:
	s_or_b32 exec_lo, exec_lo, s23
                                        ; implicit-def: $vgpr7
.LBB9_826:
	s_and_not1_saveexec_b32 s3, s3
; %bb.827:
	v_mov_b32_e32 v3, 0x7f
	v_cmp_lt_u32_e32 vcc_lo, 0x7f800000, v7
	s_delay_alu instid0(VALU_DEP_2)
	v_cndmask_b32_e32 v3, 0x7c, v3, vcc_lo
; %bb.828:
	s_or_b32 exec_lo, exec_lo, s3
	v_lshrrev_b32_e32 v2, 24, v2
	s_delay_alu instid0(VALU_DEP_1)
	v_and_or_b32 v2, 0x80, v2, v3
	global_store_b8 v[4:5], v2, off
.LBB9_829:
	s_mov_b32 s23, 0
	s_mov_b32 s3, -1
.LBB9_830:
	s_and_not1_b32 vcc_lo, exec_lo, s23
	s_cbranch_vccnz .LBB9_838
; %bb.831:
	v_cmp_lt_i16_e32 vcc_lo, 14, v6
	s_mov_b32 s23, -1
	s_cbranch_vccz .LBB9_835
; %bb.832:
	v_cmp_eq_u16_e32 vcc_lo, 15, v6
	s_mov_b32 s2, -1
	s_cbranch_vccz .LBB9_834
; %bb.833:
	v_cvt_f32_f64_e32 v2, v[0:1]
	s_mov_b32 s3, -1
	s_mov_b32 s2, 0
	s_delay_alu instid0(VALU_DEP_1) | instskip(SKIP_1) | instid1(VALU_DEP_2)
	v_bfe_u32 v3, v2, 16, 1
	v_cmp_o_f32_e32 vcc_lo, v2, v2
	v_add3_u32 v3, v2, v3, 0x7fff
	s_delay_alu instid0(VALU_DEP_1) | instskip(NEXT) | instid1(VALU_DEP_1)
	v_lshrrev_b32_e32 v3, 16, v3
	v_cndmask_b32_e32 v2, 0x7fc0, v3, vcc_lo
	global_store_b16 v[4:5], v2, off
.LBB9_834:
	s_mov_b32 s23, 0
.LBB9_835:
	s_delay_alu instid0(SALU_CYCLE_1)
	s_and_b32 vcc_lo, exec_lo, s23
	s_cbranch_vccz .LBB9_838
; %bb.836:
	v_cmp_eq_u16_e32 vcc_lo, 11, v6
	s_mov_b32 s2, -1
	s_cbranch_vccz .LBB9_838
; %bb.837:
	v_cmp_neq_f64_e32 vcc_lo, 0, v[0:1]
	s_mov_b32 s3, -1
	s_mov_b32 s2, 0
	v_cndmask_b32_e64 v2, 0, 1, vcc_lo
	global_store_b8 v[4:5], v2, off
.LBB9_838:
.LBB9_839:
	s_and_not1_b32 vcc_lo, exec_lo, s3
	s_cbranch_vccnz .LBB9_764
.LBB9_840:
	v_add_nc_u32_e32 v14, 0x80, v14
	s_mov_b32 s3, -1
.LBB9_841:
	s_and_not1_b32 s23, s38, exec_lo
	s_and_b32 s2, s2, exec_lo
	s_and_not1_b32 s41, s37, exec_lo
	s_and_b32 s22, s22, exec_lo
	s_or_b32 s23, s23, s2
	s_or_b32 s22, s41, s22
	s_or_not1_b32 s42, s3, exec_lo
.LBB9_842:
	s_or_b32 exec_lo, exec_lo, s40
	s_mov_b32 s2, 0
	s_mov_b32 s3, 0
	;; [unrolled: 1-line block ×3, first 2 shown]
                                        ; implicit-def: $vgpr0_vgpr1
                                        ; implicit-def: $vgpr2
                                        ; implicit-def: $vgpr3_vgpr4
	s_and_saveexec_b32 s40, s42
	s_cbranch_execz .LBB9_940
; %bb.843:
	v_cmp_gt_i32_e32 vcc_lo, s30, v14
	s_mov_b32 s42, s22
                                        ; implicit-def: $vgpr0_vgpr1
                                        ; implicit-def: $vgpr2
                                        ; implicit-def: $vgpr3_vgpr4
	s_and_saveexec_b32 s30, vcc_lo
	s_cbranch_execz .LBB9_939
; %bb.844:
	s_and_not1_b32 vcc_lo, exec_lo, s27
	s_cbranch_vccnz .LBB9_849
; %bb.845:
	v_mov_b32_e32 v2, 0
	v_mov_b32_e32 v0, 0
	s_and_not1_b32 vcc_lo, exec_lo, s33
	s_mov_b32 s33, 0
	s_cbranch_vccnz .LBB9_854
; %bb.846:
	v_mov_b32_e32 v2, 0
	s_add_i32 s41, s31, 1
	s_cmp_eq_u32 s25, 2
	s_mov_b32 s31, 0
	s_cbranch_scc1 .LBB9_850
; %bb.847:
	v_dual_mov_b32 v0, 0 :: v_dual_mov_b32 v1, v14
	v_mov_b32_e32 v2, 0
	s_and_b32 s31, s41, 28
	s_mov_b32 s42, 0
	s_mov_b64 s[2:3], s[16:17]
.LBB9_848:                              ; =>This Inner Loop Header: Depth=1
	s_clause 0x1
	s_load_b256 s[44:51], s[2:3], 0x4
	s_load_b128 s[60:63], s[2:3], 0x24
	s_load_b256 s[52:59], s[20:21], 0x0
	s_add_u32 s2, s2, 48
	s_addc_u32 s3, s3, 0
	s_add_i32 s42, s42, 4
	s_add_u32 s20, s20, 32
	s_addc_u32 s21, s21, 0
	s_cmp_eq_u32 s31, s42
	s_waitcnt vmcnt(0) lgkmcnt(0)
	v_mul_hi_u32 v3, s45, v1
	s_delay_alu instid0(VALU_DEP_1) | instskip(NEXT) | instid1(VALU_DEP_1)
	v_add_nc_u32_e32 v3, v1, v3
	v_lshrrev_b32_e32 v3, s46, v3
	s_delay_alu instid0(VALU_DEP_1) | instskip(SKIP_1) | instid1(VALU_DEP_2)
	v_mul_hi_u32 v4, s48, v3
	v_mul_lo_u32 v6, v3, s44
	v_add_nc_u32_e32 v4, v3, v4
	s_delay_alu instid0(VALU_DEP_2) | instskip(NEXT) | instid1(VALU_DEP_2)
	v_sub_nc_u32_e32 v1, v1, v6
	v_lshrrev_b32_e32 v4, s49, v4
	s_delay_alu instid0(VALU_DEP_2) | instskip(SKIP_1) | instid1(VALU_DEP_3)
	v_mul_lo_u32 v6, v1, s52
	v_mul_lo_u32 v8, v1, s53
	v_mul_hi_u32 v5, s51, v4
	s_delay_alu instid0(VALU_DEP_1) | instskip(NEXT) | instid1(VALU_DEP_1)
	v_add_nc_u32_e32 v5, v4, v5
	v_lshrrev_b32_e32 v5, s60, v5
	s_delay_alu instid0(VALU_DEP_1) | instskip(SKIP_1) | instid1(VALU_DEP_2)
	v_mul_hi_u32 v7, s62, v5
	v_mul_lo_u32 v9, v5, s50
	v_add_nc_u32_e32 v1, v5, v7
	v_mul_lo_u32 v7, v4, s47
	s_delay_alu instid0(VALU_DEP_3) | instskip(NEXT) | instid1(VALU_DEP_3)
	v_sub_nc_u32_e32 v4, v4, v9
	v_lshrrev_b32_e32 v1, s63, v1
	s_delay_alu instid0(VALU_DEP_2) | instskip(SKIP_2) | instid1(VALU_DEP_4)
	v_mul_lo_u32 v9, v4, s56
	v_mul_lo_u32 v4, v4, s57
	v_sub_nc_u32_e32 v3, v3, v7
	v_mul_lo_u32 v10, v1, s61
	s_delay_alu instid0(VALU_DEP_2) | instskip(SKIP_1) | instid1(VALU_DEP_3)
	v_mul_lo_u32 v7, v3, s54
	v_mul_lo_u32 v3, v3, s55
	v_sub_nc_u32_e32 v5, v5, v10
	s_delay_alu instid0(VALU_DEP_3) | instskip(NEXT) | instid1(VALU_DEP_2)
	v_add3_u32 v2, v6, v2, v7
	v_mul_lo_u32 v10, v5, s58
	v_mul_lo_u32 v5, v5, s59
	v_add3_u32 v0, v8, v0, v3
	s_delay_alu instid0(VALU_DEP_3) | instskip(NEXT) | instid1(VALU_DEP_2)
	v_add3_u32 v2, v9, v2, v10
	v_add3_u32 v0, v4, v0, v5
	s_cbranch_scc0 .LBB9_848
	s_branch .LBB9_851
.LBB9_849:
	s_mov_b32 s33, -1
                                        ; implicit-def: $vgpr2
                                        ; implicit-def: $vgpr0
	s_branch .LBB9_854
.LBB9_850:
	v_dual_mov_b32 v1, v14 :: v_dual_mov_b32 v0, 0
.LBB9_851:
	s_and_b32 s41, s41, 3
	s_delay_alu instid0(SALU_CYCLE_1)
	s_cmp_eq_u32 s41, 0
	s_cbranch_scc1 .LBB9_854
; %bb.852:
	s_lshl_b32 s2, s31, 3
	s_mul_i32 s20, s31, 12
	s_add_u32 s2, s2, s16
	s_addc_u32 s3, s17, 0
	s_add_u32 s2, s2, 0xc4
	s_addc_u32 s3, s3, 0
	;; [unrolled: 2-line block ×3, first 2 shown]
.LBB9_853:                              ; =>This Inner Loop Header: Depth=1
	s_clause 0x1
	s_load_b64 s[42:43], s[20:21], 0x4
	s_load_b32 s31, s[20:21], 0xc
	s_load_b64 s[44:45], s[2:3], 0x0
	s_add_u32 s20, s20, 12
	s_addc_u32 s21, s21, 0
	s_add_u32 s2, s2, 8
	s_addc_u32 s3, s3, 0
	s_add_i32 s41, s41, -1
	s_delay_alu instid0(SALU_CYCLE_1) | instskip(SKIP_2) | instid1(VALU_DEP_1)
	s_cmp_lg_u32 s41, 0
	s_waitcnt vmcnt(0) lgkmcnt(0)
	v_mul_hi_u32 v3, s43, v1
	v_add_nc_u32_e32 v3, v1, v3
	s_delay_alu instid0(VALU_DEP_1) | instskip(NEXT) | instid1(VALU_DEP_1)
	v_lshrrev_b32_e32 v6, s31, v3
	v_mul_lo_u32 v3, v6, s42
	s_delay_alu instid0(VALU_DEP_1) | instskip(NEXT) | instid1(VALU_DEP_1)
	v_sub_nc_u32_e32 v1, v1, v3
	v_mad_u64_u32 v[3:4], null, v1, s44, v[2:3]
	v_mad_u64_u32 v[4:5], null, v1, s45, v[0:1]
	s_delay_alu instid0(VALU_DEP_2) | instskip(NEXT) | instid1(VALU_DEP_2)
	v_dual_mov_b32 v1, v6 :: v_dual_mov_b32 v2, v3
	v_mov_b32_e32 v0, v4
	s_cbranch_scc1 .LBB9_853
.LBB9_854:
	s_and_not1_b32 vcc_lo, exec_lo, s33
	s_cbranch_vccnz .LBB9_857
; %bb.855:
	s_waitcnt lgkmcnt(0)
	v_mul_hi_u32 v0, s13, v14
	s_and_not1_b32 vcc_lo, exec_lo, s29
	s_delay_alu instid0(VALU_DEP_1) | instskip(NEXT) | instid1(VALU_DEP_1)
	v_add_nc_u32_e32 v0, v14, v0
	v_lshrrev_b32_e32 v1, s14, v0
	s_delay_alu instid0(VALU_DEP_1) | instskip(NEXT) | instid1(VALU_DEP_1)
	v_mul_lo_u32 v0, v1, s12
	v_sub_nc_u32_e32 v0, v14, v0
	s_delay_alu instid0(VALU_DEP_1)
	v_mul_lo_u32 v2, v0, s8
	v_mul_lo_u32 v0, v0, s9
	s_cbranch_vccnz .LBB9_857
; %bb.856:
	s_waitcnt vmcnt(0)
	v_mul_hi_u32 v3, s18, v1
	s_delay_alu instid0(VALU_DEP_1) | instskip(NEXT) | instid1(VALU_DEP_1)
	v_add_nc_u32_e32 v3, v1, v3
	v_lshrrev_b32_e32 v3, s19, v3
	s_delay_alu instid0(VALU_DEP_1) | instskip(NEXT) | instid1(VALU_DEP_1)
	v_mul_lo_u32 v3, v3, s15
	v_sub_nc_u32_e32 v5, v1, v3
	s_delay_alu instid0(VALU_DEP_1) | instskip(SKIP_1) | instid1(VALU_DEP_2)
	v_mad_u64_u32 v[3:4], null, v5, s10, v[2:3]
	v_mad_u64_u32 v[1:2], null, v5, s11, v[0:1]
	v_mov_b32_e32 v2, v3
	s_delay_alu instid0(VALU_DEP_2)
	v_mov_b32_e32 v0, v1
.LBB9_857:
	v_cmp_gt_i16_e32 vcc_lo, 11, v12
	s_waitcnt lgkmcnt(0)
	s_delay_alu instid0(VALU_DEP_2) | instskip(NEXT) | instid1(VALU_DEP_1)
	v_add_co_u32 v0, s2, s6, v0
	v_add_co_ci_u32_e64 v1, null, s7, 0, s2
	s_mov_b32 s2, 0
	s_cbranch_vccnz .LBB9_864
; %bb.858:
	v_cmp_lt_i16_e32 vcc_lo, 25, v12
	s_mov_b32 s7, 0
	s_cbranch_vccz .LBB9_865
; %bb.859:
	v_cmp_lt_i16_e32 vcc_lo, 28, v12
	s_cbranch_vccz .LBB9_866
; %bb.860:
	v_cmp_lt_i16_e32 vcc_lo, 43, v12
	;; [unrolled: 3-line block ×3, first 2 shown]
	s_cbranch_vccz .LBB9_870
; %bb.862:
	v_cmp_eq_u16_e32 vcc_lo, 46, v12
	s_mov_b32 s3, 0
	s_cbranch_vccz .LBB9_873
; %bb.863:
	global_load_b32 v3, v[0:1], off
	s_mov_b32 s6, 0
	s_mov_b32 s2, -1
	s_waitcnt vmcnt(0)
	v_lshlrev_b32_e32 v3, 16, v3
	s_delay_alu instid0(VALU_DEP_1)
	v_cvt_f64_f32_e32 v[3:4], v3
	s_branch .LBB9_875
.LBB9_864:
	s_mov_b32 s3, -1
	s_mov_b32 s7, 0
	s_mov_b32 s6, s22
                                        ; implicit-def: $vgpr3_vgpr4
	s_branch .LBB9_938
.LBB9_865:
	s_mov_b32 s3, -1
	s_mov_b32 s6, s22
                                        ; implicit-def: $vgpr3_vgpr4
	s_branch .LBB9_906
.LBB9_866:
	s_mov_b32 s3, -1
	s_mov_b32 s6, s22
                                        ; implicit-def: $vgpr3_vgpr4
	s_branch .LBB9_885
.LBB9_867:
	s_mov_b32 s3, -1
	s_mov_b32 s6, s22
                                        ; implicit-def: $vgpr3_vgpr4
	s_branch .LBB9_880
.LBB9_868:
	s_or_saveexec_b32 s41, s41
                                        ; implicit-def: $sgpr42
	s_delay_alu instid0(SALU_CYCLE_1)
	s_xor_b32 exec_lo, exec_lo, s41
	s_cbranch_execz .LBB9_791
.LBB9_869:
	v_add_f32_e64 v3, 0x46000000, |v2|
	s_and_not1_b32 s23, s23, exec_lo
	s_mov_b32 s42, 0
	s_delay_alu instid0(VALU_DEP_1) | instskip(NEXT) | instid1(VALU_DEP_1)
	v_and_b32_e32 v3, 0xff, v3
	v_cmp_ne_u32_e32 vcc_lo, 0, v3
	s_and_b32 s43, vcc_lo, exec_lo
	s_delay_alu instid0(SALU_CYCLE_1)
	s_or_b32 s23, s23, s43
	s_or_b32 exec_lo, exec_lo, s41
	v_mov_b32_e32 v7, s42
	s_and_saveexec_b32 s41, s23
	s_cbranch_execnz .LBB9_792
	s_branch .LBB9_793
.LBB9_870:
	s_mov_b32 s3, -1
	s_mov_b32 s6, s22
	s_branch .LBB9_874
.LBB9_871:
	s_or_saveexec_b32 s41, s41
                                        ; implicit-def: $sgpr42
	s_delay_alu instid0(SALU_CYCLE_1)
	s_xor_b32 exec_lo, exec_lo, s41
	s_cbranch_execz .LBB9_804
.LBB9_872:
	v_add_f32_e64 v3, 0x42800000, |v2|
	s_and_not1_b32 s23, s23, exec_lo
	s_mov_b32 s42, 0
	s_delay_alu instid0(VALU_DEP_1) | instskip(NEXT) | instid1(VALU_DEP_1)
	v_and_b32_e32 v3, 0xff, v3
	v_cmp_ne_u32_e32 vcc_lo, 0, v3
	s_and_b32 s43, vcc_lo, exec_lo
	s_delay_alu instid0(SALU_CYCLE_1)
	s_or_b32 s23, s23, s43
	s_or_b32 exec_lo, exec_lo, s41
	v_mov_b32_e32 v7, s42
	s_and_saveexec_b32 s41, s23
	s_cbranch_execnz .LBB9_805
	s_branch .LBB9_806
.LBB9_873:
	s_mov_b32 s6, -1
.LBB9_874:
                                        ; implicit-def: $vgpr3_vgpr4
.LBB9_875:
	s_and_b32 vcc_lo, exec_lo, s3
	s_cbranch_vccz .LBB9_879
; %bb.876:
	v_cmp_eq_u16_e32 vcc_lo, 44, v12
	s_cbranch_vccz .LBB9_878
; %bb.877:
	global_load_u8 v5, v[0:1], off
	s_mov_b32 s6, 0
	s_mov_b32 s2, -1
	s_waitcnt vmcnt(0)
	v_cmp_ne_u32_e32 vcc_lo, 0xff, v5
	v_lshlrev_b32_e32 v3, 23, v5
	s_delay_alu instid0(VALU_DEP_1) | instskip(NEXT) | instid1(VALU_DEP_1)
	v_cvt_f64_f32_e32 v[3:4], v3
	v_cndmask_b32_e32 v4, 0x7ff80000, v4, vcc_lo
	s_delay_alu instid0(VALU_DEP_2) | instskip(SKIP_1) | instid1(VALU_DEP_3)
	v_cndmask_b32_e32 v3, 0x20000000, v3, vcc_lo
	v_cmp_ne_u32_e32 vcc_lo, 0, v5
	v_cndmask_b32_e32 v4, 0x38000000, v4, vcc_lo
	s_delay_alu instid0(VALU_DEP_3)
	v_cndmask_b32_e32 v3, 0, v3, vcc_lo
	s_branch .LBB9_879
.LBB9_878:
	s_mov_b32 s6, -1
                                        ; implicit-def: $vgpr3_vgpr4
.LBB9_879:
	s_mov_b32 s3, 0
.LBB9_880:
	s_delay_alu instid0(SALU_CYCLE_1)
	s_and_b32 vcc_lo, exec_lo, s3
	s_cbranch_vccz .LBB9_884
; %bb.881:
	v_cmp_eq_u16_e32 vcc_lo, 29, v12
	s_cbranch_vccz .LBB9_883
; %bb.882:
	global_load_b64 v[3:4], v[0:1], off
	s_mov_b32 s6, 0
	s_mov_b32 s2, -1
	s_mov_b32 s3, 0
	s_waitcnt vmcnt(0)
	v_cvt_f64_u32_e32 v[4:5], v4
	v_cvt_f64_u32_e32 v[6:7], v3
	s_delay_alu instid0(VALU_DEP_2) | instskip(NEXT) | instid1(VALU_DEP_1)
	v_ldexp_f64 v[4:5], v[4:5], 32
	v_add_f64 v[3:4], v[4:5], v[6:7]
	s_branch .LBB9_885
.LBB9_883:
	s_mov_b32 s6, -1
                                        ; implicit-def: $vgpr3_vgpr4
.LBB9_884:
	s_mov_b32 s3, 0
.LBB9_885:
	s_delay_alu instid0(SALU_CYCLE_1)
	s_and_b32 vcc_lo, exec_lo, s3
	s_cbranch_vccz .LBB9_905
; %bb.886:
	v_cmp_gt_i16_e32 vcc_lo, 27, v12
	s_cbranch_vccnz .LBB9_889
; %bb.887:
	v_cmp_lt_i16_e32 vcc_lo, 27, v12
	s_cbranch_vccz .LBB9_890
; %bb.888:
	global_load_b32 v3, v[0:1], off
	s_mov_b32 s2, 0
	s_waitcnt vmcnt(0)
	v_cvt_f64_u32_e32 v[3:4], v3
	s_branch .LBB9_891
.LBB9_889:
	s_mov_b32 s2, -1
                                        ; implicit-def: $vgpr3_vgpr4
	s_branch .LBB9_894
.LBB9_890:
	s_mov_b32 s2, -1
                                        ; implicit-def: $vgpr3_vgpr4
.LBB9_891:
	s_delay_alu instid0(SALU_CYCLE_1)
	s_and_not1_b32 vcc_lo, exec_lo, s2
	s_cbranch_vccnz .LBB9_893
; %bb.892:
	global_load_u16 v3, v[0:1], off
	s_waitcnt vmcnt(0)
	v_cvt_f64_u32_e32 v[3:4], v3
.LBB9_893:
	s_mov_b32 s2, 0
.LBB9_894:
	s_delay_alu instid0(SALU_CYCLE_1)
	s_and_not1_b32 vcc_lo, exec_lo, s2
	s_cbranch_vccnz .LBB9_904
; %bb.895:
	global_load_u8 v5, v[0:1], off
	s_mov_b32 s8, 0
	s_mov_b32 s9, exec_lo
                                        ; implicit-def: $sgpr2_sgpr3
	s_waitcnt vmcnt(0)
	v_cmpx_lt_i16_e32 0x7f, v5
	s_xor_b32 s9, exec_lo, s9
	s_cbranch_execz .LBB9_899
; %bb.896:
	s_mov_b32 s10, -1
	s_mov_b32 s8, exec_lo
                                        ; implicit-def: $sgpr2_sgpr3
	v_cmpx_eq_u16_e32 0x80, v5
; %bb.897:
	s_mov_b32 s3, 0x7ff80000
	s_brev_b32 s2, 4
	s_xor_b32 s10, exec_lo, -1
; %bb.898:
	s_or_b32 exec_lo, exec_lo, s8
	s_delay_alu instid0(SALU_CYCLE_1)
	s_and_b32 s8, s10, exec_lo
.LBB9_899:
	s_or_saveexec_b32 s9, s9
	v_dual_mov_b32 v4, s3 :: v_dual_mov_b32 v3, s2
	s_xor_b32 exec_lo, exec_lo, s9
; %bb.900:
	v_cmp_ne_u16_e32 vcc_lo, 0, v5
	v_mov_b32_e32 v3, 0
	v_mov_b32_e32 v4, 0
	s_and_not1_b32 s2, s8, exec_lo
	s_and_b32 s3, vcc_lo, exec_lo
	s_delay_alu instid0(SALU_CYCLE_1)
	s_or_b32 s8, s2, s3
; %bb.901:
	s_or_b32 exec_lo, exec_lo, s9
	s_and_saveexec_b32 s2, s8
	s_cbranch_execz .LBB9_903
; %bb.902:
	v_and_b32_e32 v3, 0xffff, v5
	v_lshlrev_b32_e32 v5, 24, v5
	s_delay_alu instid0(VALU_DEP_2) | instskip(NEXT) | instid1(VALU_DEP_2)
	v_and_b32_e32 v4, 7, v3
	v_and_b32_e32 v5, 0x80000000, v5
	s_delay_alu instid0(VALU_DEP_2) | instskip(NEXT) | instid1(VALU_DEP_1)
	v_clz_i32_u32_e32 v6, v4
	v_min_u32_e32 v6, 32, v6
	s_delay_alu instid0(VALU_DEP_1) | instskip(SKIP_1) | instid1(VALU_DEP_2)
	v_subrev_nc_u32_e32 v7, 28, v6
	v_sub_nc_u32_e32 v6, 29, v6
	v_lshlrev_b32_e32 v7, v7, v3
	v_bfe_u32 v3, v3, 3, 4
	s_delay_alu instid0(VALU_DEP_2) | instskip(NEXT) | instid1(VALU_DEP_2)
	v_and_b32_e32 v7, 7, v7
	v_cmp_eq_u32_e32 vcc_lo, 0, v3
	s_delay_alu instid0(VALU_DEP_2) | instskip(NEXT) | instid1(VALU_DEP_1)
	v_dual_cndmask_b32 v3, v3, v6 :: v_dual_cndmask_b32 v4, v4, v7
	v_lshl_add_u32 v3, v3, 23, 0x3b800000
	s_delay_alu instid0(VALU_DEP_2) | instskip(NEXT) | instid1(VALU_DEP_1)
	v_lshlrev_b32_e32 v4, 20, v4
	v_or3_b32 v3, v5, v3, v4
	s_delay_alu instid0(VALU_DEP_1)
	v_cvt_f64_f32_e32 v[3:4], v3
.LBB9_903:
	s_or_b32 exec_lo, exec_lo, s2
.LBB9_904:
	s_mov_b32 s2, -1
.LBB9_905:
	s_mov_b32 s3, 0
.LBB9_906:
	s_delay_alu instid0(SALU_CYCLE_1)
	s_and_b32 vcc_lo, exec_lo, s3
	s_cbranch_vccz .LBB9_937
; %bb.907:
	v_cmp_lt_i16_e32 vcc_lo, 22, v12
	s_cbranch_vccz .LBB9_919
; %bb.908:
	v_cmp_gt_i16_e32 vcc_lo, 24, v12
	s_cbranch_vccnz .LBB9_920
; %bb.909:
	v_cmp_lt_i16_e32 vcc_lo, 24, v12
	s_cbranch_vccz .LBB9_921
; %bb.910:
	global_load_u8 v5, v[0:1], off
	s_mov_b32 s8, exec_lo
                                        ; implicit-def: $sgpr2_sgpr3
	s_waitcnt vmcnt(0)
	v_cmpx_lt_i16_e32 0x7f, v5
	s_xor_b32 s8, exec_lo, s8
	s_cbranch_execz .LBB9_914
; %bb.911:
	s_mov_b32 s9, -1
	s_mov_b32 s7, exec_lo
                                        ; implicit-def: $sgpr2_sgpr3
	v_cmpx_eq_u16_e32 0x80, v5
; %bb.912:
	s_mov_b32 s3, 0x7ff80000
	s_brev_b32 s2, 4
	s_xor_b32 s9, exec_lo, -1
; %bb.913:
	s_or_b32 exec_lo, exec_lo, s7
	s_delay_alu instid0(SALU_CYCLE_1)
	s_and_b32 s7, s9, exec_lo
.LBB9_914:
	s_or_saveexec_b32 s8, s8
	v_dual_mov_b32 v4, s3 :: v_dual_mov_b32 v3, s2
	s_xor_b32 exec_lo, exec_lo, s8
; %bb.915:
	v_cmp_ne_u16_e32 vcc_lo, 0, v5
	v_mov_b32_e32 v3, 0
	v_mov_b32_e32 v4, 0
	s_and_not1_b32 s2, s7, exec_lo
	s_and_b32 s3, vcc_lo, exec_lo
	s_delay_alu instid0(SALU_CYCLE_1)
	s_or_b32 s7, s2, s3
; %bb.916:
	s_or_b32 exec_lo, exec_lo, s8
	s_and_saveexec_b32 s2, s7
	s_cbranch_execz .LBB9_918
; %bb.917:
	v_and_b32_e32 v3, 0xffff, v5
	v_lshlrev_b32_e32 v5, 24, v5
	s_delay_alu instid0(VALU_DEP_2) | instskip(NEXT) | instid1(VALU_DEP_2)
	v_and_b32_e32 v4, 3, v3
	v_and_b32_e32 v5, 0x80000000, v5
	s_delay_alu instid0(VALU_DEP_2) | instskip(NEXT) | instid1(VALU_DEP_1)
	v_clz_i32_u32_e32 v6, v4
	v_min_u32_e32 v6, 32, v6
	s_delay_alu instid0(VALU_DEP_1) | instskip(SKIP_1) | instid1(VALU_DEP_2)
	v_subrev_nc_u32_e32 v7, 29, v6
	v_sub_nc_u32_e32 v6, 30, v6
	v_lshlrev_b32_e32 v7, v7, v3
	v_bfe_u32 v3, v3, 2, 5
	s_delay_alu instid0(VALU_DEP_2) | instskip(NEXT) | instid1(VALU_DEP_2)
	v_and_b32_e32 v7, 3, v7
	v_cmp_eq_u32_e32 vcc_lo, 0, v3
	s_delay_alu instid0(VALU_DEP_2) | instskip(NEXT) | instid1(VALU_DEP_1)
	v_dual_cndmask_b32 v3, v3, v6 :: v_dual_cndmask_b32 v4, v4, v7
	v_lshl_add_u32 v3, v3, 23, 0x37800000
	s_delay_alu instid0(VALU_DEP_2) | instskip(NEXT) | instid1(VALU_DEP_1)
	v_lshlrev_b32_e32 v4, 21, v4
	v_or3_b32 v3, v5, v3, v4
	s_delay_alu instid0(VALU_DEP_1)
	v_cvt_f64_f32_e32 v[3:4], v3
.LBB9_918:
	s_or_b32 exec_lo, exec_lo, s2
	s_mov_b32 s2, 0
	s_branch .LBB9_922
.LBB9_919:
	s_mov_b32 s3, -1
                                        ; implicit-def: $vgpr3_vgpr4
	s_branch .LBB9_928
.LBB9_920:
	s_mov_b32 s2, -1
                                        ; implicit-def: $vgpr3_vgpr4
	s_branch .LBB9_925
.LBB9_921:
	s_mov_b32 s2, -1
                                        ; implicit-def: $vgpr3_vgpr4
.LBB9_922:
	s_delay_alu instid0(SALU_CYCLE_1)
	s_and_b32 vcc_lo, exec_lo, s2
	s_cbranch_vccz .LBB9_924
; %bb.923:
	global_load_u8 v3, v[0:1], off
	s_waitcnt vmcnt(0)
	v_lshlrev_b32_e32 v3, 24, v3
	s_delay_alu instid0(VALU_DEP_1) | instskip(NEXT) | instid1(VALU_DEP_1)
	v_and_b32_e32 v4, 0x7f000000, v3
	v_clz_i32_u32_e32 v5, v4
	v_add_nc_u32_e32 v7, 0x1000000, v4
	v_cmp_ne_u32_e32 vcc_lo, 0, v4
	s_delay_alu instid0(VALU_DEP_3) | instskip(NEXT) | instid1(VALU_DEP_1)
	v_min_u32_e32 v5, 32, v5
	v_sub_nc_u32_e64 v5, v5, 4 clamp
	s_delay_alu instid0(VALU_DEP_1) | instskip(SKIP_1) | instid1(VALU_DEP_2)
	v_lshlrev_b32_e32 v6, v5, v4
	v_lshlrev_b32_e32 v5, 23, v5
	v_lshrrev_b32_e32 v6, 4, v6
	s_delay_alu instid0(VALU_DEP_1) | instskip(SKIP_1) | instid1(VALU_DEP_2)
	v_sub_nc_u32_e32 v5, v6, v5
	v_ashrrev_i32_e32 v6, 8, v7
	v_add_nc_u32_e32 v5, 0x3c000000, v5
	s_delay_alu instid0(VALU_DEP_1) | instskip(NEXT) | instid1(VALU_DEP_1)
	v_and_or_b32 v5, 0x7f800000, v6, v5
	v_cndmask_b32_e32 v4, 0, v5, vcc_lo
	s_delay_alu instid0(VALU_DEP_1) | instskip(NEXT) | instid1(VALU_DEP_1)
	v_and_or_b32 v3, 0x80000000, v3, v4
	v_cvt_f64_f32_e32 v[3:4], v3
.LBB9_924:
	s_mov_b32 s2, 0
.LBB9_925:
	s_delay_alu instid0(SALU_CYCLE_1)
	s_and_not1_b32 vcc_lo, exec_lo, s2
	s_cbranch_vccnz .LBB9_927
; %bb.926:
	global_load_u8 v3, v[0:1], off
	s_waitcnt vmcnt(0)
	v_lshlrev_b32_e32 v4, 25, v3
	v_lshlrev_b16 v3, 8, v3
	s_delay_alu instid0(VALU_DEP_2) | instskip(NEXT) | instid1(VALU_DEP_2)
	v_lshrrev_b32_e32 v5, 4, v4
	v_and_or_b32 v6, 0x7f00, v3, 0.5
	v_bfe_i32 v3, v3, 0, 16
	s_delay_alu instid0(VALU_DEP_3) | instskip(NEXT) | instid1(VALU_DEP_1)
	v_or_b32_e32 v5, 0x70000000, v5
	v_dual_add_f32 v6, -0.5, v6 :: v_dual_mul_f32 v5, 0x7800000, v5
	v_cmp_gt_u32_e32 vcc_lo, 0x8000000, v4
	s_delay_alu instid0(VALU_DEP_2) | instskip(NEXT) | instid1(VALU_DEP_1)
	v_cndmask_b32_e32 v4, v5, v6, vcc_lo
	v_and_or_b32 v3, 0x80000000, v3, v4
	s_delay_alu instid0(VALU_DEP_1)
	v_cvt_f64_f32_e32 v[3:4], v3
.LBB9_927:
	s_mov_b32 s3, 0
	s_mov_b32 s2, -1
.LBB9_928:
	s_and_not1_b32 vcc_lo, exec_lo, s3
	s_mov_b32 s7, 0
	s_cbranch_vccnz .LBB9_937
; %bb.929:
	v_cmp_lt_i16_e32 vcc_lo, 14, v12
	s_cbranch_vccz .LBB9_932
; %bb.930:
	v_cmp_eq_u16_e32 vcc_lo, 15, v12
	s_cbranch_vccz .LBB9_933
; %bb.931:
	global_load_u16 v3, v[0:1], off
	s_mov_b32 s6, 0
	s_mov_b32 s2, -1
	s_waitcnt vmcnt(0)
	v_lshlrev_b32_e32 v3, 16, v3
	s_delay_alu instid0(VALU_DEP_1)
	v_cvt_f64_f32_e32 v[3:4], v3
	s_branch .LBB9_934
.LBB9_932:
	s_mov_b32 s3, -1
                                        ; implicit-def: $vgpr3_vgpr4
	s_branch .LBB9_935
.LBB9_933:
	s_mov_b32 s6, -1
                                        ; implicit-def: $vgpr3_vgpr4
.LBB9_934:
	s_mov_b32 s3, 0
.LBB9_935:
	s_delay_alu instid0(SALU_CYCLE_1)
	s_and_b32 vcc_lo, exec_lo, s3
	s_cbranch_vccz .LBB9_937
; %bb.936:
	v_cmp_ne_u16_e32 vcc_lo, 11, v12
	s_and_not1_b32 s3, s6, exec_lo
	s_mov_b32 s7, -1
                                        ; implicit-def: $vgpr3_vgpr4
	s_and_b32 s6, vcc_lo, exec_lo
	s_delay_alu instid0(SALU_CYCLE_1)
	s_or_b32 s6, s3, s6
.LBB9_937:
	s_mov_b32 s3, 0
.LBB9_938:
	s_and_not1_b32 s8, s22, exec_lo
	s_and_b32 s6, s6, exec_lo
	s_and_b32 s41, s2, exec_lo
	;; [unrolled: 1-line block ×4, first 2 shown]
	s_or_b32 s42, s8, s6
.LBB9_939:
	s_or_b32 exec_lo, exec_lo, s30
	s_waitcnt lgkmcnt(0)
	s_and_not1_b32 s6, s22, exec_lo
	s_and_b32 s7, s42, exec_lo
	s_and_b32 s41, s41, exec_lo
	;; [unrolled: 1-line block ×4, first 2 shown]
	s_or_b32 s22, s6, s7
.LBB9_940:
	s_or_b32 exec_lo, exec_lo, s40
	s_waitcnt lgkmcnt(0)
	s_and_not1_b32 s6, s38, exec_lo
	s_and_b32 s7, s23, exec_lo
	s_and_b32 s40, s41, exec_lo
	s_or_b32 s38, s6, s7
	s_and_not1_b32 s6, s37, exec_lo
	s_and_b32 s7, s22, exec_lo
	s_and_b32 s23, s3, exec_lo
	;; [unrolled: 1-line block ×3, first 2 shown]
	s_or_b32 s37, s6, s7
.LBB9_941:
	s_or_b32 exec_lo, exec_lo, s39
	s_delay_alu instid0(SALU_CYCLE_1)
	s_and_not1_b32 s2, s34, exec_lo
	s_waitcnt lgkmcnt(0)
	s_and_b32 s6, s38, exec_lo
	s_and_b32 s7, s37, exec_lo
	s_or_b32 s34, s2, s6
	s_and_not1_b32 s6, s35, exec_lo
	s_and_b32 s2, s40, exec_lo
	s_and_b32 s22, s23, exec_lo
	;; [unrolled: 1-line block ×3, first 2 shown]
	s_or_b32 s35, s6, s7
.LBB9_942:
	s_or_b32 exec_lo, exec_lo, s36
	s_mov_b32 s3, 0
	s_waitcnt lgkmcnt(0)
	s_and_saveexec_b32 s6, s35
	s_cbranch_execnz .LBB9_954
; %bb.943:
	s_or_b32 exec_lo, exec_lo, s6
	s_and_saveexec_b32 s6, s37
	s_delay_alu instid0(SALU_CYCLE_1)
	s_xor_b32 s6, exec_lo, s6
	s_cbranch_execz .LBB9_945
.LBB9_944:
	global_load_u8 v3, v[0:1], off
	s_or_b32 s2, s2, exec_lo
	s_waitcnt vmcnt(0)
	v_cmp_ne_u16_e32 vcc_lo, 0, v3
	v_mov_b32_e32 v3, 0
	v_cndmask_b32_e64 v4, 0, 0x3ff00000, vcc_lo
.LBB9_945:
	s_or_b32 exec_lo, exec_lo, s6
	s_and_saveexec_b32 s6, s22
	s_cbranch_execz .LBB9_993
; %bb.946:
	v_cmp_gt_i16_e32 vcc_lo, 5, v12
	s_cbranch_vccnz .LBB9_951
; %bb.947:
	v_cmp_gt_i16_e32 vcc_lo, 8, v12
	s_cbranch_vccnz .LBB9_952
	;; [unrolled: 3-line block ×3, first 2 shown]
; %bb.949:
	v_cmp_lt_i16_e32 vcc_lo, 9, v12
	s_cbranch_vccz .LBB9_956
; %bb.950:
	global_load_b64 v[3:4], v[0:1], off
	s_mov_b32 s7, 0
	s_branch .LBB9_957
.LBB9_951:
                                        ; implicit-def: $vgpr3_vgpr4
	s_branch .LBB9_974
.LBB9_952:
                                        ; implicit-def: $vgpr3_vgpr4
	s_branch .LBB9_963
.LBB9_953:
	s_mov_b32 s7, -1
                                        ; implicit-def: $vgpr3_vgpr4
	s_branch .LBB9_960
.LBB9_954:
	s_cbranch_execnz .LBB9_1236
; %bb.955:
	s_mov_b32 s3, exec_lo
	s_and_not1_b32 s37, s37, exec_lo
                                        ; implicit-def: $vgpr3_vgpr4
	s_or_b32 exec_lo, exec_lo, s6
	s_and_saveexec_b32 s6, s37
	s_delay_alu instid0(SALU_CYCLE_1)
	s_xor_b32 s6, exec_lo, s6
	s_cbranch_execnz .LBB9_944
	s_branch .LBB9_945
.LBB9_956:
	s_mov_b32 s7, -1
                                        ; implicit-def: $vgpr3_vgpr4
.LBB9_957:
	s_delay_alu instid0(SALU_CYCLE_1)
	s_and_not1_b32 vcc_lo, exec_lo, s7
	s_cbranch_vccnz .LBB9_959
; %bb.958:
	global_load_b32 v3, v[0:1], off
	s_waitcnt vmcnt(0)
	v_cvt_f64_f32_e32 v[3:4], v3
.LBB9_959:
	s_mov_b32 s7, 0
.LBB9_960:
	s_delay_alu instid0(SALU_CYCLE_1)
	s_and_not1_b32 vcc_lo, exec_lo, s7
	s_cbranch_vccnz .LBB9_962
; %bb.961:
	global_load_b32 v3, v[0:1], off
	s_waitcnt vmcnt(0)
	v_cvt_f32_f16_e32 v3, v3
	s_delay_alu instid0(VALU_DEP_1)
	v_cvt_f64_f32_e32 v[3:4], v3
.LBB9_962:
	s_cbranch_execnz .LBB9_973
.LBB9_963:
	v_cmp_gt_i16_e32 vcc_lo, 6, v12
	s_cbranch_vccnz .LBB9_966
; %bb.964:
	v_cmp_lt_i16_e32 vcc_lo, 6, v12
	s_cbranch_vccz .LBB9_967
; %bb.965:
	global_load_b64 v[3:4], v[0:1], off
	s_mov_b32 s7, 0
	s_branch .LBB9_968
.LBB9_966:
	s_mov_b32 s7, -1
                                        ; implicit-def: $vgpr3_vgpr4
	s_branch .LBB9_971
.LBB9_967:
	s_mov_b32 s7, -1
                                        ; implicit-def: $vgpr3_vgpr4
.LBB9_968:
	s_delay_alu instid0(SALU_CYCLE_1)
	s_and_not1_b32 vcc_lo, exec_lo, s7
	s_cbranch_vccnz .LBB9_970
; %bb.969:
	global_load_b32 v3, v[0:1], off
	s_waitcnt vmcnt(0)
	v_cvt_f64_f32_e32 v[3:4], v3
.LBB9_970:
	s_mov_b32 s7, 0
.LBB9_971:
	s_delay_alu instid0(SALU_CYCLE_1)
	s_and_not1_b32 vcc_lo, exec_lo, s7
	s_cbranch_vccnz .LBB9_973
; %bb.972:
	global_load_u16 v3, v[0:1], off
	s_waitcnt vmcnt(0)
	v_cvt_f32_f16_e32 v3, v3
	s_delay_alu instid0(VALU_DEP_1)
	v_cvt_f64_f32_e32 v[3:4], v3
.LBB9_973:
	s_cbranch_execnz .LBB9_992
.LBB9_974:
	v_cmp_gt_i16_e32 vcc_lo, 2, v12
	s_cbranch_vccnz .LBB9_978
; %bb.975:
	v_cmp_gt_i16_e32 vcc_lo, 3, v12
	s_cbranch_vccnz .LBB9_979
; %bb.976:
	v_cmp_lt_i16_e32 vcc_lo, 3, v12
	s_cbranch_vccz .LBB9_980
; %bb.977:
	global_load_b64 v[3:4], v[0:1], off
	s_mov_b32 s7, 0
	s_waitcnt vmcnt(0)
	v_cvt_f64_i32_e32 v[4:5], v4
	v_cvt_f64_u32_e32 v[6:7], v3
	s_delay_alu instid0(VALU_DEP_2) | instskip(NEXT) | instid1(VALU_DEP_1)
	v_ldexp_f64 v[4:5], v[4:5], 32
	v_add_f64 v[3:4], v[4:5], v[6:7]
	s_branch .LBB9_981
.LBB9_978:
                                        ; implicit-def: $vgpr3_vgpr4
	s_branch .LBB9_987
.LBB9_979:
	s_mov_b32 s7, -1
                                        ; implicit-def: $vgpr3_vgpr4
	s_branch .LBB9_984
.LBB9_980:
	s_mov_b32 s7, -1
                                        ; implicit-def: $vgpr3_vgpr4
.LBB9_981:
	s_delay_alu instid0(SALU_CYCLE_1)
	s_and_not1_b32 vcc_lo, exec_lo, s7
	s_cbranch_vccnz .LBB9_983
; %bb.982:
	global_load_b32 v3, v[0:1], off
	s_waitcnt vmcnt(0)
	v_cvt_f64_i32_e32 v[3:4], v3
.LBB9_983:
	s_mov_b32 s7, 0
.LBB9_984:
	s_delay_alu instid0(SALU_CYCLE_1)
	s_and_not1_b32 vcc_lo, exec_lo, s7
	s_cbranch_vccnz .LBB9_986
; %bb.985:
	global_load_i16 v3, v[0:1], off
	s_waitcnt vmcnt(0)
	v_cvt_f64_i32_e32 v[3:4], v3
.LBB9_986:
	s_cbranch_execnz .LBB9_992
.LBB9_987:
	v_cmp_lt_i16_e32 vcc_lo, 0, v12
	s_mov_b32 s7, 0
	s_cbranch_vccz .LBB9_989
; %bb.988:
	global_load_i8 v3, v[0:1], off
	s_waitcnt vmcnt(0)
	v_cvt_f64_i32_e32 v[3:4], v3
	s_branch .LBB9_990
.LBB9_989:
	s_mov_b32 s7, -1
                                        ; implicit-def: $vgpr3_vgpr4
.LBB9_990:
	s_delay_alu instid0(SALU_CYCLE_1)
	s_and_not1_b32 vcc_lo, exec_lo, s7
	s_cbranch_vccnz .LBB9_992
; %bb.991:
	global_load_u8 v0, v[0:1], off
	s_waitcnt vmcnt(0)
	v_cvt_f64_u32_e32 v[3:4], v0
.LBB9_992:
	s_or_b32 s2, s2, exec_lo
.LBB9_993:
	s_or_b32 exec_lo, exec_lo, s6
	s_mov_b32 s8, 0
	s_mov_b32 s7, 0
                                        ; implicit-def: $vgpr7
                                        ; implicit-def: $vgpr5_vgpr6
                                        ; implicit-def: $vgpr0_vgpr1
	s_and_saveexec_b32 s6, s2
	s_cbranch_execz .LBB9_1082
; %bb.994:
	s_waitcnt vmcnt(0)
	s_delay_alu instid0(VALU_DEP_1) | instskip(NEXT) | instid1(VALU_DEP_1)
	v_cmp_ge_f64_e64 s2, 0x40200000, |v[3:4]|
                                        ; implicit-def: $vgpr0_vgpr1
	s_and_saveexec_b32 s7, s2
	s_delay_alu instid0(SALU_CYCLE_1)
	s_xor_b32 s2, exec_lo, s7
	s_cbranch_execz .LBB9_1000
; %bb.995:
	v_fma_f64 v[0:1], |v[3:4]|, 0.5, -2.0
	s_mov_b32 s8, 0xc38a0576
	s_mov_b32 s9, 0xbc7857d0
	;; [unrolled: 1-line block ×4, first 2 shown]
	s_mov_b32 s7, exec_lo
	s_delay_alu instid0(VALU_DEP_1) | instskip(SKIP_3) | instid1(VALU_DEP_1)
	v_fma_f64 v[5:6], v[0:1], s[10:11], s[8:9]
	s_mov_b32 s11, 0xbc499f2a
	s_mov_b32 s8, 0xe593bfac
	s_mov_b32 s9, 0x3ca663e3
	v_fma_f64 v[7:8], v[0:1], v[5:6], s[10:11]
	s_delay_alu instid0(VALU_DEP_1) | instskip(SKIP_2) | instid1(VALU_DEP_1)
	v_add_f64 v[7:8], v[7:8], s[8:9]
	s_mov_b32 s8, 0x7e0d1573
	s_mov_b32 s9, 0xbcd3eaaa
	v_fma_f64 v[5:6], v[0:1], v[7:8], -v[5:6]
	s_delay_alu instid0(VALU_DEP_1) | instskip(SKIP_2) | instid1(VALU_DEP_1)
	v_add_f64 v[5:6], v[5:6], s[8:9]
	s_mov_b32 s8, 0x615290c
	s_mov_b32 s9, 0x3d011d7f
	v_fma_f64 v[7:8], v[0:1], v[5:6], -v[7:8]
	;; [unrolled: 5-line block ×26, first 2 shown]
	s_delay_alu instid0(VALU_DEP_1) | instskip(NEXT) | instid1(VALU_DEP_1)
	v_add_f64 v[0:1], v[0:1], s[8:9]
	v_add_f64 v[5:6], v[0:1], -v[7:8]
                                        ; implicit-def: $vgpr0_vgpr1
	v_cmpx_ngt_f64_e32 0, v[3:4]
	s_xor_b32 s7, exec_lo, s7
	s_cbranch_execz .LBB9_997
; %bb.996:
	s_mov_b32 s8, 0x652b82fe
	s_mov_b32 s9, 0x3ff71547
	;; [unrolled: 1-line block ×3, first 2 shown]
	v_mul_f64 v[0:1], |v[3:4]|, s[8:9]
	s_mov_b32 s8, 0xfefa39ef
	s_mov_b32 s9, 0xbfe62e42
	;; [unrolled: 1-line block ×3, first 2 shown]
	s_delay_alu instid0(VALU_DEP_3) | instskip(SKIP_1) | instid1(VALU_DEP_3)
	v_mul_f64 v[5:6], v[5:6], 0.5
	v_cmp_nlt_f64_e64 vcc_lo, 0x40900000, |v[3:4]|
	v_rndne_f64_e32 v[0:1], v[0:1]
	s_delay_alu instid0(VALU_DEP_1) | instskip(SKIP_4) | instid1(VALU_DEP_3)
	v_fma_f64 v[7:8], v[0:1], s[8:9], |v[3:4]|
	s_mov_b32 s8, 0x3b39803f
	s_mov_b32 s9, 0xbc7abc9e
	v_cvt_i32_f64_e32 v12, v[0:1]
	v_mul_f64 v[3:4], |v[3:4]|, v[5:6]
                                        ; implicit-def: $vgpr5_vgpr6
	v_fma_f64 v[7:8], v[0:1], s[8:9], v[7:8]
	s_mov_b32 s8, 0xfca7ab0c
	s_mov_b32 s9, 0x3e928af3
	s_delay_alu instid0(VALU_DEP_1) | instid1(SALU_CYCLE_1)
	v_fma_f64 v[9:10], v[7:8], s[10:11], s[8:9]
	s_mov_b32 s8, 0x623fde64
	s_mov_b32 s9, 0x3ec71dee
	s_delay_alu instid0(VALU_DEP_1) | instid1(SALU_CYCLE_1)
	;; [unrolled: 4-line block ×9, first 2 shown]
	v_fma_f64 v[9:10], v[7:8], v[9:10], s[8:9]
	s_delay_alu instid0(VALU_DEP_1) | instskip(NEXT) | instid1(VALU_DEP_1)
	v_fma_f64 v[9:10], v[7:8], v[9:10], 1.0
	v_fma_f64 v[0:1], v[7:8], v[9:10], 1.0
	s_delay_alu instid0(VALU_DEP_1) | instskip(NEXT) | instid1(VALU_DEP_1)
	v_ldexp_f64 v[0:1], v[0:1], v12
	v_cndmask_b32_e32 v1, 0x7ff00000, v1, vcc_lo
	s_delay_alu instid0(VALU_DEP_2) | instskip(NEXT) | instid1(VALU_DEP_1)
	v_cndmask_b32_e32 v0, 0, v0, vcc_lo
	v_mul_f64 v[0:1], v[0:1], v[3:4]
                                        ; implicit-def: $vgpr3_vgpr4
.LBB9_997:
	s_and_not1_saveexec_b32 s7, s7
	s_cbranch_execz .LBB9_999
; %bb.998:
	s_mov_b32 s8, 0x652b82fe
	s_mov_b32 s9, 0x3ff71547
	;; [unrolled: 1-line block ×3, first 2 shown]
	v_mul_f64 v[0:1], |v[3:4]|, s[8:9]
	s_mov_b32 s8, 0xfefa39ef
	s_mov_b32 s9, 0xbfe62e42
	;; [unrolled: 1-line block ×3, first 2 shown]
	s_delay_alu instid0(VALU_DEP_3) | instskip(SKIP_1) | instid1(VALU_DEP_3)
	v_mul_f64 v[5:6], v[5:6], -0.5
	v_cmp_nlt_f64_e64 vcc_lo, 0x40900000, |v[3:4]|
	v_rndne_f64_e32 v[0:1], v[0:1]
	s_delay_alu instid0(VALU_DEP_1) | instskip(SKIP_4) | instid1(VALU_DEP_3)
	v_fma_f64 v[7:8], v[0:1], s[8:9], |v[3:4]|
	s_mov_b32 s8, 0x3b39803f
	s_mov_b32 s9, 0xbc7abc9e
	v_cvt_i32_f64_e32 v12, v[0:1]
	v_mul_f64 v[3:4], |v[3:4]|, v[5:6]
	v_fma_f64 v[7:8], v[0:1], s[8:9], v[7:8]
	s_mov_b32 s8, 0xfca7ab0c
	s_mov_b32 s9, 0x3e928af3
	s_delay_alu instid0(VALU_DEP_1) | instid1(SALU_CYCLE_1)
	v_fma_f64 v[9:10], v[7:8], s[10:11], s[8:9]
	s_mov_b32 s8, 0x623fde64
	s_mov_b32 s9, 0x3ec71dee
	s_delay_alu instid0(VALU_DEP_1) | instid1(SALU_CYCLE_1)
	;; [unrolled: 4-line block ×9, first 2 shown]
	v_fma_f64 v[9:10], v[7:8], v[9:10], s[8:9]
	s_delay_alu instid0(VALU_DEP_1) | instskip(NEXT) | instid1(VALU_DEP_1)
	v_fma_f64 v[9:10], v[7:8], v[9:10], 1.0
	v_fma_f64 v[0:1], v[7:8], v[9:10], 1.0
	s_delay_alu instid0(VALU_DEP_1) | instskip(NEXT) | instid1(VALU_DEP_1)
	v_ldexp_f64 v[0:1], v[0:1], v12
	v_cndmask_b32_e32 v1, 0x7ff00000, v1, vcc_lo
	s_delay_alu instid0(VALU_DEP_2) | instskip(NEXT) | instid1(VALU_DEP_1)
	v_cndmask_b32_e32 v0, 0, v0, vcc_lo
	v_mul_f64 v[0:1], v[0:1], v[3:4]
.LBB9_999:
	s_or_b32 exec_lo, exec_lo, s7
                                        ; implicit-def: $vgpr3_vgpr4
.LBB9_1000:
	s_and_not1_saveexec_b32 s2, s2
	s_cbranch_execz .LBB9_1006
; %bb.1001:
	v_dual_mov_b32 v0, v3 :: v_dual_and_b32 v1, 0x7fffffff, v4
	s_mov_b32 s8, 0xea87b950
	s_mov_b32 s9, 0x3c545b8a
	;; [unrolled: 1-line block ×4, first 2 shown]
	v_div_scale_f64 v[5:6], null, v[0:1], v[0:1], 0x40400000
	v_div_scale_f64 v[0:1], vcc_lo, 0x40400000, v[0:1], 0x40400000
	s_mov_b32 s12, 0x2e9e5443
	s_mov_b32 s13, 0xbe90dbfd
	s_mov_b32 s7, exec_lo
	s_delay_alu instid0(VALU_DEP_2) | instskip(SKIP_2) | instid1(VALU_DEP_1)
	v_rcp_f64_e32 v[7:8], v[5:6]
	s_waitcnt_depctr 0xfff
	v_fma_f64 v[9:10], -v[5:6], v[7:8], 1.0
	v_fma_f64 v[7:8], v[7:8], v[9:10], v[7:8]
	s_delay_alu instid0(VALU_DEP_1) | instskip(NEXT) | instid1(VALU_DEP_1)
	v_fma_f64 v[9:10], -v[5:6], v[7:8], 1.0
	v_fma_f64 v[7:8], v[7:8], v[9:10], v[7:8]
	s_delay_alu instid0(VALU_DEP_1) | instskip(NEXT) | instid1(VALU_DEP_1)
	v_mul_f64 v[9:10], v[0:1], v[7:8]
	v_fma_f64 v[0:1], -v[5:6], v[9:10], v[0:1]
	s_delay_alu instid0(VALU_DEP_1) | instskip(NEXT) | instid1(VALU_DEP_1)
	v_div_fmas_f64 v[0:1], v[0:1], v[7:8], v[9:10]
	v_div_fixup_f64 v[0:1], v[0:1], |v[3:4]|, 0x40400000
	s_delay_alu instid0(VALU_DEP_1) | instskip(NEXT) | instid1(VALU_DEP_1)
	v_add_f64 v[0:1], v[0:1], -2.0
	v_fma_f64 v[5:6], v[0:1], s[10:11], s[8:9]
	s_mov_b32 s11, 0xbc61556d
	s_mov_b32 s8, 0xb2532277
	;; [unrolled: 1-line block ×3, first 2 shown]
	s_delay_alu instid0(VALU_DEP_1) | instskip(SKIP_2) | instid1(VALU_DEP_1)
	v_fma_f64 v[7:8], v[0:1], v[5:6], s[10:11]
	s_mov_b32 s10, 0x9ad53528
	s_mov_b32 s11, 0xbe30790b
	v_add_f64 v[7:8], v[7:8], s[8:9]
	s_mov_b32 s8, 0x9c773320
	s_mov_b32 s9, 0xbc82806c
	s_delay_alu instid0(VALU_DEP_1) | instskip(NEXT) | instid1(VALU_DEP_1)
	v_fma_f64 v[5:6], v[0:1], v[7:8], -v[5:6]
	v_add_f64 v[5:6], v[5:6], s[8:9]
	s_mov_b32 s8, 0xfceb588a
	s_mov_b32 s9, 0x3cb55915
	s_delay_alu instid0(VALU_DEP_1) | instskip(NEXT) | instid1(VALU_DEP_1)
	v_fma_f64 v[7:8], v[0:1], v[5:6], -v[7:8]
	;; [unrolled: 5-line block ×15, first 2 shown]
	v_add_f64 v[5:6], v[5:6], s[8:9]
	s_mov_b32 s8, 0x652b82fe
	s_mov_b32 s9, 0x3ff71547
	s_delay_alu instid0(SALU_CYCLE_1) | instskip(SKIP_2) | instid1(VALU_DEP_2)
	v_mul_f64 v[9:10], |v[3:4]|, s[8:9]
	s_mov_b32 s8, 0xfefa39ef
	s_mov_b32 s9, 0xbfe62e42
	v_fma_f64 v[7:8], v[0:1], v[5:6], -v[7:8]
	s_delay_alu instid0(VALU_DEP_2) | instskip(NEXT) | instid1(VALU_DEP_2)
	v_rndne_f64_e32 v[9:10], v[9:10]
	v_add_f64 v[7:8], v[7:8], s[10:11]
	s_mov_b32 s10, 0x94bb46c1
	s_mov_b32 s11, 0xbe5c4153
	s_delay_alu instid0(VALU_DEP_2) | instskip(SKIP_2) | instid1(VALU_DEP_2)
	v_fma_f64 v[12:13], v[9:10], s[8:9], |v[3:4]|
	s_mov_b32 s8, 0x3b39803f
	s_mov_b32 s9, 0xbc7abc9e
	v_fma_f64 v[5:6], v[0:1], v[7:8], -v[5:6]
	s_delay_alu instid0(VALU_DEP_2) | instskip(SKIP_3) | instid1(VALU_DEP_3)
	v_fma_f64 v[12:13], v[9:10], s[8:9], v[12:13]
	s_mov_b32 s8, 0xfca7ab0c
	s_mov_b32 s9, 0x3e928af3
	v_cvt_i32_f64_e32 v9, v[9:10]
	v_add_f64 v[5:6], v[5:6], s[10:11]
	s_mov_b32 s10, 0x6a5dcb37
	s_mov_b32 s11, 0x3e5ade15
	s_delay_alu instid0(VALU_DEP_3) | instid1(SALU_CYCLE_1)
	v_fma_f64 v[14:15], v[12:13], s[10:11], s[8:9]
	s_mov_b32 s8, 0x623fde64
	s_mov_b32 s9, 0x3ec71dee
	;; [unrolled: 1-line block ×4, first 2 shown]
	s_delay_alu instid0(VALU_DEP_2) | instskip(NEXT) | instid1(VALU_DEP_2)
	v_fma_f64 v[7:8], v[0:1], v[5:6], -v[7:8]
	v_fma_f64 v[14:15], v[12:13], v[14:15], s[8:9]
	s_mov_b32 s8, 0x7c89e6b0
	s_mov_b32 s9, 0x3efa0199
	s_delay_alu instid0(VALU_DEP_2) | instskip(NEXT) | instid1(VALU_DEP_2)
	v_add_f64 v[7:8], v[7:8], s[12:13]
	v_fma_f64 v[14:15], v[12:13], v[14:15], s[8:9]
	s_mov_b32 s8, 0x14761f6e
	s_mov_b32 s9, 0x3f2a01a0
	s_delay_alu instid0(VALU_DEP_2) | instskip(NEXT) | instid1(VALU_DEP_2)
	v_fma_f64 v[5:6], v[0:1], v[7:8], -v[5:6]
	v_fma_f64 v[14:15], v[12:13], v[14:15], s[8:9]
	s_mov_b32 s8, 0x1852b7b0
	s_mov_b32 s9, 0x3f56c16c
	s_delay_alu instid0(VALU_DEP_2) | instskip(SKIP_2) | instid1(VALU_DEP_2)
	v_add_f64 v[5:6], v[5:6], s[10:11]
	s_mov_b32 s10, 0x804aa9a6
	s_mov_b32 s11, 0xbf1cfd7f
	v_fma_f64 v[14:15], v[12:13], v[14:15], s[8:9]
	s_mov_b32 s8, 0x11122322
	s_mov_b32 s9, 0x3f811111
	s_delay_alu instid0(VALU_DEP_2) | instskip(NEXT) | instid1(VALU_DEP_2)
	v_fma_f64 v[7:8], v[0:1], v[5:6], -v[7:8]
	v_fma_f64 v[14:15], v[12:13], v[14:15], s[8:9]
	s_mov_b32 s8, 0x555502a1
	s_mov_b32 s9, 0x3fa55555
	s_delay_alu instid0(VALU_DEP_2) | instskip(SKIP_2) | instid1(VALU_DEP_2)
	v_add_f64 v[7:8], v[7:8], s[10:11]
	s_mov_b32 s10, 0x53fcdb4c
	s_mov_b32 s11, 0xbf83fda0
	v_fma_f64 v[14:15], v[12:13], v[14:15], s[8:9]
	s_mov_b32 s8, 0x55555511
	s_mov_b32 s9, 0x3fc55555
	s_delay_alu instid0(VALU_DEP_2) | instskip(NEXT) | instid1(VALU_DEP_2)
	v_fma_f64 v[5:6], v[0:1], v[7:8], -v[5:6]
	v_fma_f64 v[14:15], v[12:13], v[14:15], s[8:9]
	s_mov_b32 s8, 11
	s_mov_b32 s9, 0x3fe00000
	s_delay_alu instid0(VALU_DEP_2) | instskip(SKIP_2) | instid1(VALU_DEP_1)
	v_add_f64 v[5:6], v[5:6], s[10:11]
	s_mov_b32 s10, 0xb55b1514
	s_mov_b32 s11, 0x3fe8ea18
	v_fma_f64 v[0:1], v[0:1], v[5:6], -v[7:8]
	s_delay_alu instid0(VALU_DEP_3) | instskip(NEXT) | instid1(VALU_DEP_2)
	v_fma_f64 v[5:6], v[12:13], v[14:15], s[8:9]
	v_add_f64 v[0:1], v[0:1], s[10:11]
	s_delay_alu instid0(VALU_DEP_2) | instskip(NEXT) | instid1(VALU_DEP_2)
	v_fma_f64 v[5:6], v[12:13], v[5:6], 1.0
	v_add_f64 v[0:1], v[0:1], -v[7:8]
	s_delay_alu instid0(VALU_DEP_2) | instskip(NEXT) | instid1(VALU_DEP_2)
	v_fma_f64 v[7:8], v[12:13], v[5:6], 1.0
	v_mul_f64 v[5:6], v[0:1], 0.5
                                        ; implicit-def: $vgpr0_vgpr1
	v_cmpx_ngt_f64_e32 0, v[3:4]
	s_xor_b32 s7, exec_lo, s7
	s_cbranch_execz .LBB9_1003
; %bb.1002:
	v_cmp_gt_f64_e64 s8, 0x10000000, |v[3:4]|
	s_delay_alu instid0(VALU_DEP_4) | instskip(SKIP_1) | instid1(VALU_DEP_3)
	v_ldexp_f64 v[7:8], v[7:8], v9
	v_cmp_nlt_f64_e64 vcc_lo, 0x40900000, |v[3:4]|
	v_cndmask_b32_e64 v0, 0, 1, s8
	v_cndmask_b32_e64 v9, 0, 0xffffff80, s8
	s_delay_alu instid0(VALU_DEP_4) | instskip(NEXT) | instid1(VALU_DEP_3)
	v_cndmask_b32_e32 v8, 0x7ff00000, v8, vcc_lo
	v_dual_cndmask_b32 v7, 0, v7 :: v_dual_lshlrev_b32 v0, 8, v0
	s_delay_alu instid0(VALU_DEP_1) | instskip(NEXT) | instid1(VALU_DEP_2)
	v_mul_f64 v[5:6], v[7:8], v[5:6]
	v_ldexp_f64 v[0:1], |v[3:4]|, v0
	s_delay_alu instid0(VALU_DEP_1) | instskip(SKIP_4) | instid1(VALU_DEP_1)
	v_rsq_f64_e32 v[12:13], v[0:1]
	v_cmp_class_f64_e64 vcc_lo, v[0:1], 0x260
	s_waitcnt_depctr 0xfff
	v_mul_f64 v[14:15], v[0:1], v[12:13]
	v_mul_f64 v[12:13], v[12:13], 0.5
	v_fma_f64 v[16:17], -v[12:13], v[14:15], 0.5
	s_delay_alu instid0(VALU_DEP_1) | instskip(SKIP_1) | instid1(VALU_DEP_2)
	v_fma_f64 v[14:15], v[14:15], v[16:17], v[14:15]
	v_fma_f64 v[12:13], v[12:13], v[16:17], v[12:13]
	v_fma_f64 v[16:17], -v[14:15], v[14:15], v[0:1]
	s_delay_alu instid0(VALU_DEP_1) | instskip(NEXT) | instid1(VALU_DEP_1)
	v_fma_f64 v[14:15], v[16:17], v[12:13], v[14:15]
	v_fma_f64 v[16:17], -v[14:15], v[14:15], v[0:1]
	s_delay_alu instid0(VALU_DEP_1) | instskip(NEXT) | instid1(VALU_DEP_1)
	v_fma_f64 v[3:4], v[16:17], v[12:13], v[14:15]
	v_ldexp_f64 v[3:4], v[3:4], v9
	s_delay_alu instid0(VALU_DEP_1) | instskip(NEXT) | instid1(VALU_DEP_1)
	v_dual_cndmask_b32 v1, v4, v1 :: v_dual_cndmask_b32 v0, v3, v0
	v_div_scale_f64 v[3:4], null, v[0:1], v[0:1], v[5:6]
	s_delay_alu instid0(VALU_DEP_1) | instskip(SKIP_2) | instid1(VALU_DEP_1)
	v_rcp_f64_e32 v[7:8], v[3:4]
	s_waitcnt_depctr 0xfff
	v_fma_f64 v[9:10], -v[3:4], v[7:8], 1.0
	v_fma_f64 v[7:8], v[7:8], v[9:10], v[7:8]
	s_delay_alu instid0(VALU_DEP_1) | instskip(NEXT) | instid1(VALU_DEP_1)
	v_fma_f64 v[9:10], -v[3:4], v[7:8], 1.0
	v_fma_f64 v[7:8], v[7:8], v[9:10], v[7:8]
	v_div_scale_f64 v[9:10], vcc_lo, v[5:6], v[0:1], v[5:6]
	s_delay_alu instid0(VALU_DEP_1) | instskip(NEXT) | instid1(VALU_DEP_1)
	v_mul_f64 v[12:13], v[9:10], v[7:8]
	v_fma_f64 v[3:4], -v[3:4], v[12:13], v[9:10]
                                        ; implicit-def: $vgpr9
	s_delay_alu instid0(VALU_DEP_1) | instskip(NEXT) | instid1(VALU_DEP_1)
	v_div_fmas_f64 v[3:4], v[3:4], v[7:8], v[12:13]
                                        ; implicit-def: $vgpr7_vgpr8
	v_div_fixup_f64 v[0:1], v[3:4], v[0:1], v[5:6]
                                        ; implicit-def: $vgpr3_vgpr4
                                        ; implicit-def: $vgpr5_vgpr6
.LBB9_1003:
	s_and_not1_saveexec_b32 s7, s7
	s_cbranch_execz .LBB9_1005
; %bb.1004:
	v_cmp_gt_f64_e64 s8, 0x10000000, |v[3:4]|
	s_delay_alu instid0(VALU_DEP_4) | instskip(SKIP_1) | instid1(VALU_DEP_3)
	v_ldexp_f64 v[7:8], -v[7:8], v9
	v_cmp_nlt_f64_e64 vcc_lo, 0x40900000, |v[3:4]|
	v_cndmask_b32_e64 v0, 0, 1, s8
	v_cndmask_b32_e64 v9, 0, 0xffffff80, s8
	s_delay_alu instid0(VALU_DEP_4) | instskip(NEXT) | instid1(VALU_DEP_3)
	v_cndmask_b32_e32 v8, 0xfff00000, v8, vcc_lo
	v_dual_cndmask_b32 v7, 0, v7 :: v_dual_lshlrev_b32 v0, 8, v0
	s_delay_alu instid0(VALU_DEP_1) | instskip(NEXT) | instid1(VALU_DEP_2)
	v_mul_f64 v[5:6], v[7:8], v[5:6]
	v_ldexp_f64 v[0:1], |v[3:4]|, v0
	s_delay_alu instid0(VALU_DEP_1) | instskip(SKIP_4) | instid1(VALU_DEP_1)
	v_rsq_f64_e32 v[12:13], v[0:1]
	v_cmp_class_f64_e64 vcc_lo, v[0:1], 0x260
	s_waitcnt_depctr 0xfff
	v_mul_f64 v[14:15], v[0:1], v[12:13]
	v_mul_f64 v[12:13], v[12:13], 0.5
	v_fma_f64 v[16:17], -v[12:13], v[14:15], 0.5
	s_delay_alu instid0(VALU_DEP_1) | instskip(SKIP_1) | instid1(VALU_DEP_2)
	v_fma_f64 v[14:15], v[14:15], v[16:17], v[14:15]
	v_fma_f64 v[12:13], v[12:13], v[16:17], v[12:13]
	v_fma_f64 v[16:17], -v[14:15], v[14:15], v[0:1]
	s_delay_alu instid0(VALU_DEP_1) | instskip(NEXT) | instid1(VALU_DEP_1)
	v_fma_f64 v[14:15], v[16:17], v[12:13], v[14:15]
	v_fma_f64 v[16:17], -v[14:15], v[14:15], v[0:1]
	s_delay_alu instid0(VALU_DEP_1) | instskip(NEXT) | instid1(VALU_DEP_1)
	v_fma_f64 v[3:4], v[16:17], v[12:13], v[14:15]
	v_ldexp_f64 v[3:4], v[3:4], v9
	s_delay_alu instid0(VALU_DEP_1) | instskip(NEXT) | instid1(VALU_DEP_1)
	v_dual_cndmask_b32 v1, v4, v1 :: v_dual_cndmask_b32 v0, v3, v0
	v_div_scale_f64 v[3:4], null, v[0:1], v[0:1], v[5:6]
	s_delay_alu instid0(VALU_DEP_1) | instskip(SKIP_2) | instid1(VALU_DEP_1)
	v_rcp_f64_e32 v[7:8], v[3:4]
	s_waitcnt_depctr 0xfff
	v_fma_f64 v[9:10], -v[3:4], v[7:8], 1.0
	v_fma_f64 v[7:8], v[7:8], v[9:10], v[7:8]
	s_delay_alu instid0(VALU_DEP_1) | instskip(NEXT) | instid1(VALU_DEP_1)
	v_fma_f64 v[9:10], -v[3:4], v[7:8], 1.0
	v_fma_f64 v[7:8], v[7:8], v[9:10], v[7:8]
	v_div_scale_f64 v[9:10], vcc_lo, v[5:6], v[0:1], v[5:6]
	s_delay_alu instid0(VALU_DEP_1) | instskip(NEXT) | instid1(VALU_DEP_1)
	v_mul_f64 v[12:13], v[9:10], v[7:8]
	v_fma_f64 v[3:4], -v[3:4], v[12:13], v[9:10]
	s_delay_alu instid0(VALU_DEP_1) | instskip(NEXT) | instid1(VALU_DEP_1)
	v_div_fmas_f64 v[3:4], v[3:4], v[7:8], v[12:13]
	v_div_fixup_f64 v[0:1], v[3:4], v[0:1], v[5:6]
.LBB9_1005:
	s_or_b32 exec_lo, exec_lo, s7
.LBB9_1006:
	s_delay_alu instid0(SALU_CYCLE_1) | instskip(SKIP_2) | instid1(VALU_DEP_1)
	s_or_b32 exec_lo, exec_lo, s2
	v_and_b32_e32 v7, 0xff, v11
	v_add_co_u32 v5, s2, s4, v2
	v_add_co_ci_u32_e64 v6, null, s5, 0, s2
	s_delay_alu instid0(VALU_DEP_3)
	v_cmp_gt_i16_e32 vcc_lo, 11, v7
	s_mov_b32 s8, 0
	s_mov_b32 s4, -1
	s_mov_b32 s2, s34
	s_cbranch_vccnz .LBB9_1081
; %bb.1007:
	v_cmp_lt_i16_e32 vcc_lo, 25, v7
	s_mov_b32 s2, s34
	s_cbranch_vccz .LBB9_1040
; %bb.1008:
	v_cmp_lt_i16_e32 vcc_lo, 28, v7
	s_mov_b32 s2, s34
	s_cbranch_vccz .LBB9_1024
	;; [unrolled: 4-line block ×4, first 2 shown]
; %bb.1011:
	v_cmp_eq_u16_e32 vcc_lo, 46, v7
	s_mov_b32 s2, -1
	s_cbranch_vccz .LBB9_1013
; %bb.1012:
	v_cvt_f32_f64_e32 v2, v[0:1]
	s_mov_b32 s2, 0
	s_delay_alu instid0(VALU_DEP_1) | instskip(SKIP_1) | instid1(VALU_DEP_2)
	v_bfe_u32 v3, v2, 16, 1
	v_cmp_o_f32_e32 vcc_lo, v2, v2
	v_add3_u32 v3, v2, v3, 0x7fff
	s_delay_alu instid0(VALU_DEP_1) | instskip(NEXT) | instid1(VALU_DEP_1)
	v_lshrrev_b32_e32 v3, 16, v3
	v_cndmask_b32_e32 v2, 0x7fc0, v3, vcc_lo
	global_store_b32 v[5:6], v2, off
.LBB9_1013:
	s_mov_b32 s4, 0
.LBB9_1014:
	s_delay_alu instid0(SALU_CYCLE_1)
	s_and_b32 vcc_lo, exec_lo, s4
	s_cbranch_vccz .LBB9_1019
; %bb.1015:
	v_cmp_eq_u16_e32 vcc_lo, 44, v7
	s_mov_b32 s2, -1
	s_cbranch_vccz .LBB9_1019
; %bb.1016:
	v_cvt_f32_f64_e32 v2, v[0:1]
	v_mov_b32_e32 v3, 0xff
	s_mov_b32 s4, exec_lo
	s_delay_alu instid0(VALU_DEP_2) | instskip(NEXT) | instid1(VALU_DEP_1)
	v_bfe_u32 v4, v2, 23, 8
	v_cmpx_ne_u32_e32 0xff, v4
; %bb.1017:
	v_and_b32_e32 v3, 0x400000, v2
	v_and_or_b32 v4, 0x3fffff, v2, v4
	v_lshrrev_b32_e32 v2, 23, v2
	s_delay_alu instid0(VALU_DEP_3) | instskip(NEXT) | instid1(VALU_DEP_3)
	v_cmp_ne_u32_e32 vcc_lo, 0, v3
	v_cmp_ne_u32_e64 s2, 0, v4
	s_delay_alu instid0(VALU_DEP_1) | instskip(NEXT) | instid1(SALU_CYCLE_1)
	s_and_b32 s2, vcc_lo, s2
	v_cndmask_b32_e64 v3, 0, 1, s2
	s_delay_alu instid0(VALU_DEP_1)
	v_add_nc_u32_e32 v3, v2, v3
; %bb.1018:
	s_or_b32 exec_lo, exec_lo, s4
	s_mov_b32 s2, 0
	global_store_b8 v[5:6], v3, off
.LBB9_1019:
	s_mov_b32 s4, 0
.LBB9_1020:
	s_delay_alu instid0(SALU_CYCLE_1)
	s_and_b32 vcc_lo, exec_lo, s4
	s_cbranch_vccz .LBB9_1023
; %bb.1021:
	v_cmp_eq_u16_e32 vcc_lo, 29, v7
	s_mov_b32 s2, -1
	s_cbranch_vccz .LBB9_1023
; %bb.1022:
	v_trunc_f64_e32 v[2:3], v[0:1]
	s_mov_b32 s2, 0
	s_delay_alu instid0(VALU_DEP_1) | instskip(NEXT) | instid1(VALU_DEP_1)
	v_ldexp_f64 v[8:9], v[2:3], 0xffffffe0
	v_floor_f64_e32 v[8:9], v[8:9]
	s_delay_alu instid0(VALU_DEP_1) | instskip(SKIP_1) | instid1(VALU_DEP_2)
	v_fma_f64 v[2:3], 0xc1f00000, v[8:9], v[2:3]
	v_cvt_u32_f64_e32 v4, v[8:9]
	v_cvt_u32_f64_e32 v3, v[2:3]
	global_store_b64 v[5:6], v[3:4], off
.LBB9_1023:
	s_mov_b32 s4, 0
.LBB9_1024:
	s_delay_alu instid0(SALU_CYCLE_1)
	s_and_b32 vcc_lo, exec_lo, s4
	s_cbranch_vccz .LBB9_1039
; %bb.1025:
	v_cmp_gt_i16_e32 vcc_lo, 27, v7
	s_mov_b32 s4, -1
	s_cbranch_vccnz .LBB9_1031
; %bb.1026:
	v_cvt_u32_f64_e32 v2, v[0:1]
	v_cmp_lt_i16_e32 vcc_lo, 27, v7
	s_cbranch_vccz .LBB9_1028
; %bb.1027:
	s_mov_b32 s4, 0
	global_store_b32 v[5:6], v2, off
.LBB9_1028:
	s_and_not1_b32 vcc_lo, exec_lo, s4
	s_cbranch_vccnz .LBB9_1030
; %bb.1029:
	global_store_b16 v[5:6], v2, off
.LBB9_1030:
	s_mov_b32 s4, 0
.LBB9_1031:
	s_delay_alu instid0(SALU_CYCLE_1)
	s_and_not1_b32 vcc_lo, exec_lo, s4
	s_cbranch_vccnz .LBB9_1039
; %bb.1032:
	v_cvt_f32_f64_e32 v2, v[0:1]
	v_mov_b32_e32 v4, 0x80
	s_mov_b32 s4, exec_lo
	s_delay_alu instid0(VALU_DEP_2) | instskip(NEXT) | instid1(VALU_DEP_1)
	v_and_b32_e32 v3, 0x7fffffff, v2
	v_cmpx_gt_u32_e32 0x43800000, v3
	s_cbranch_execz .LBB9_1038
; %bb.1033:
	v_cmp_lt_u32_e32 vcc_lo, 0x3bffffff, v3
	s_mov_b32 s5, 0
                                        ; implicit-def: $vgpr3
	s_and_saveexec_b32 s7, vcc_lo
	s_delay_alu instid0(SALU_CYCLE_1)
	s_xor_b32 s7, exec_lo, s7
	s_cbranch_execz .LBB9_1339
; %bb.1034:
	v_bfe_u32 v3, v2, 20, 1
	s_mov_b32 s5, exec_lo
	s_delay_alu instid0(VALU_DEP_1) | instskip(NEXT) | instid1(VALU_DEP_1)
	v_add3_u32 v3, v2, v3, 0x487ffff
	v_lshrrev_b32_e32 v3, 20, v3
	s_or_saveexec_b32 s7, s7
                                        ; implicit-def: $sgpr8
	s_delay_alu instid0(SALU_CYCLE_1)
	s_xor_b32 exec_lo, exec_lo, s7
	s_cbranch_execnz .LBB9_1340
.LBB9_1035:
	s_or_b32 exec_lo, exec_lo, s7
	v_mov_b32_e32 v4, s8
	s_and_saveexec_b32 s7, s5
.LBB9_1036:
	v_lshrrev_b32_e32 v2, 24, v2
	s_delay_alu instid0(VALU_DEP_1)
	v_and_or_b32 v4, 0x80, v2, v3
.LBB9_1037:
	s_or_b32 exec_lo, exec_lo, s7
.LBB9_1038:
	s_delay_alu instid0(SALU_CYCLE_1)
	s_or_b32 exec_lo, exec_lo, s4
	global_store_b8 v[5:6], v4, off
.LBB9_1039:
	s_mov_b32 s4, 0
.LBB9_1040:
	s_delay_alu instid0(SALU_CYCLE_1)
	s_and_b32 vcc_lo, exec_lo, s4
	s_mov_b32 s4, 0
	s_cbranch_vccz .LBB9_1080
; %bb.1041:
	v_cmp_lt_i16_e32 vcc_lo, 22, v7
	s_mov_b32 s5, -1
	s_cbranch_vccz .LBB9_1073
; %bb.1042:
	v_cmp_gt_i16_e32 vcc_lo, 24, v7
	s_cbranch_vccnz .LBB9_1062
; %bb.1043:
	v_cmp_lt_i16_e32 vcc_lo, 24, v7
	s_cbranch_vccz .LBB9_1051
; %bb.1044:
	v_cvt_f32_f64_e32 v2, v[0:1]
	v_mov_b32_e32 v4, 0x80
	s_mov_b32 s5, exec_lo
	s_delay_alu instid0(VALU_DEP_2) | instskip(NEXT) | instid1(VALU_DEP_1)
	v_and_b32_e32 v3, 0x7fffffff, v2
	v_cmpx_gt_u32_e32 0x47800000, v3
	s_cbranch_execz .LBB9_1050
; %bb.1045:
	v_cmp_lt_u32_e32 vcc_lo, 0x37ffffff, v3
	s_mov_b32 s7, 0
                                        ; implicit-def: $vgpr3
	s_and_saveexec_b32 s8, vcc_lo
	s_delay_alu instid0(SALU_CYCLE_1)
	s_xor_b32 s8, exec_lo, s8
	s_cbranch_execz .LBB9_1383
; %bb.1046:
	v_bfe_u32 v3, v2, 21, 1
	s_mov_b32 s7, exec_lo
	s_delay_alu instid0(VALU_DEP_1) | instskip(NEXT) | instid1(VALU_DEP_1)
	v_add3_u32 v3, v2, v3, 0x88fffff
	v_lshrrev_b32_e32 v3, 21, v3
	s_or_saveexec_b32 s8, s8
                                        ; implicit-def: $sgpr9
	s_delay_alu instid0(SALU_CYCLE_1)
	s_xor_b32 exec_lo, exec_lo, s8
	s_cbranch_execnz .LBB9_1384
.LBB9_1047:
	s_or_b32 exec_lo, exec_lo, s8
	v_mov_b32_e32 v4, s9
	s_and_saveexec_b32 s8, s7
.LBB9_1048:
	v_lshrrev_b32_e32 v2, 24, v2
	s_delay_alu instid0(VALU_DEP_1)
	v_and_or_b32 v4, 0x80, v2, v3
.LBB9_1049:
	s_or_b32 exec_lo, exec_lo, s8
.LBB9_1050:
	s_delay_alu instid0(SALU_CYCLE_1)
	s_or_b32 exec_lo, exec_lo, s5
	s_mov_b32 s5, 0
	global_store_b8 v[5:6], v4, off
.LBB9_1051:
	s_and_b32 vcc_lo, exec_lo, s5
	s_cbranch_vccz .LBB9_1061
; %bb.1052:
	v_cvt_f32_f64_e32 v2, v[0:1]
	s_mov_b32 s5, exec_lo
                                        ; implicit-def: $vgpr3
	s_delay_alu instid0(VALU_DEP_1) | instskip(NEXT) | instid1(VALU_DEP_1)
	v_and_b32_e32 v4, 0x7fffffff, v2
	v_cmpx_gt_u32_e32 0x43f00000, v4
	s_xor_b32 s5, exec_lo, s5
	s_cbranch_execz .LBB9_1058
; %bb.1053:
	s_mov_b32 s7, exec_lo
                                        ; implicit-def: $vgpr3
	v_cmpx_lt_u32_e32 0x3c7fffff, v4
	s_xor_b32 s7, exec_lo, s7
; %bb.1054:
	v_bfe_u32 v3, v2, 20, 1
	s_delay_alu instid0(VALU_DEP_1) | instskip(NEXT) | instid1(VALU_DEP_1)
	v_add3_u32 v3, v2, v3, 0x407ffff
	v_and_b32_e32 v4, 0xff00000, v3
	v_lshrrev_b32_e32 v3, 20, v3
	s_delay_alu instid0(VALU_DEP_2) | instskip(NEXT) | instid1(VALU_DEP_2)
	v_cmp_ne_u32_e32 vcc_lo, 0x7f00000, v4
	v_cndmask_b32_e32 v3, 0x7e, v3, vcc_lo
; %bb.1055:
	s_and_not1_saveexec_b32 s7, s7
; %bb.1056:
	v_add_f32_e64 v3, 0x46800000, |v2|
; %bb.1057:
	s_or_b32 exec_lo, exec_lo, s7
                                        ; implicit-def: $vgpr4
.LBB9_1058:
	s_and_not1_saveexec_b32 s5, s5
; %bb.1059:
	v_mov_b32_e32 v3, 0x7f
	v_cmp_lt_u32_e32 vcc_lo, 0x7f800000, v4
	s_delay_alu instid0(VALU_DEP_2)
	v_cndmask_b32_e32 v3, 0x7e, v3, vcc_lo
; %bb.1060:
	s_or_b32 exec_lo, exec_lo, s5
	v_lshrrev_b32_e32 v2, 24, v2
	s_delay_alu instid0(VALU_DEP_1)
	v_and_or_b32 v2, 0x80, v2, v3
	global_store_b8 v[5:6], v2, off
.LBB9_1061:
	s_mov_b32 s5, 0
.LBB9_1062:
	s_delay_alu instid0(SALU_CYCLE_1)
	s_and_not1_b32 vcc_lo, exec_lo, s5
	s_cbranch_vccnz .LBB9_1072
; %bb.1063:
	v_cvt_f32_f64_e32 v2, v[0:1]
	s_mov_b32 s5, exec_lo
                                        ; implicit-def: $vgpr3
	s_delay_alu instid0(VALU_DEP_1) | instskip(NEXT) | instid1(VALU_DEP_1)
	v_and_b32_e32 v4, 0x7fffffff, v2
	v_cmpx_gt_u32_e32 0x47800000, v4
	s_xor_b32 s5, exec_lo, s5
	s_cbranch_execz .LBB9_1069
; %bb.1064:
	s_mov_b32 s7, exec_lo
                                        ; implicit-def: $vgpr3
	v_cmpx_lt_u32_e32 0x387fffff, v4
	s_xor_b32 s7, exec_lo, s7
; %bb.1065:
	v_bfe_u32 v3, v2, 21, 1
	s_delay_alu instid0(VALU_DEP_1) | instskip(NEXT) | instid1(VALU_DEP_1)
	v_add3_u32 v3, v2, v3, 0x80fffff
	v_lshrrev_b32_e32 v3, 21, v3
; %bb.1066:
	s_and_not1_saveexec_b32 s7, s7
; %bb.1067:
	v_add_f32_e64 v3, 0x43000000, |v2|
; %bb.1068:
	s_or_b32 exec_lo, exec_lo, s7
                                        ; implicit-def: $vgpr4
.LBB9_1069:
	s_and_not1_saveexec_b32 s5, s5
; %bb.1070:
	v_mov_b32_e32 v3, 0x7f
	v_cmp_lt_u32_e32 vcc_lo, 0x7f800000, v4
	s_delay_alu instid0(VALU_DEP_2)
	v_cndmask_b32_e32 v3, 0x7c, v3, vcc_lo
; %bb.1071:
	s_or_b32 exec_lo, exec_lo, s5
	v_lshrrev_b32_e32 v2, 24, v2
	s_delay_alu instid0(VALU_DEP_1)
	v_and_or_b32 v2, 0x80, v2, v3
	global_store_b8 v[5:6], v2, off
.LBB9_1072:
	s_mov_b32 s5, 0
.LBB9_1073:
	s_delay_alu instid0(SALU_CYCLE_1)
	s_and_not1_b32 vcc_lo, exec_lo, s5
	s_mov_b32 s8, 0
	s_cbranch_vccnz .LBB9_1081
; %bb.1074:
	v_cmp_lt_i16_e32 vcc_lo, 14, v7
	s_mov_b32 s5, -1
	s_cbranch_vccz .LBB9_1078
; %bb.1075:
	v_cmp_eq_u16_e32 vcc_lo, 15, v7
	s_mov_b32 s2, -1
	s_cbranch_vccz .LBB9_1077
; %bb.1076:
	v_cvt_f32_f64_e32 v2, v[0:1]
	s_mov_b32 s2, 0
	s_delay_alu instid0(VALU_DEP_1) | instskip(SKIP_1) | instid1(VALU_DEP_2)
	v_bfe_u32 v3, v2, 16, 1
	v_cmp_o_f32_e32 vcc_lo, v2, v2
	v_add3_u32 v3, v2, v3, 0x7fff
	s_delay_alu instid0(VALU_DEP_1) | instskip(NEXT) | instid1(VALU_DEP_1)
	v_lshrrev_b32_e32 v3, 16, v3
	v_cndmask_b32_e32 v2, 0x7fc0, v3, vcc_lo
	global_store_b16 v[5:6], v2, off
.LBB9_1077:
	s_mov_b32 s5, 0
.LBB9_1078:
	s_delay_alu instid0(SALU_CYCLE_1)
	s_and_b32 vcc_lo, exec_lo, s5
	s_cbranch_vccz .LBB9_1081
; %bb.1079:
	v_cmp_ne_u16_e32 vcc_lo, 11, v7
	s_and_not1_b32 s2, s2, exec_lo
	s_mov_b32 s8, -1
	s_and_b32 s5, vcc_lo, exec_lo
	s_delay_alu instid0(SALU_CYCLE_1)
	s_or_b32 s2, s2, s5
	s_branch .LBB9_1081
.LBB9_1080:
	s_mov_b32 s8, 0
.LBB9_1081:
	s_and_b32 s7, s4, exec_lo
	s_and_not1_b32 s4, s34, exec_lo
	s_and_b32 s2, s2, exec_lo
	s_and_b32 s8, s8, exec_lo
	s_or_b32 s34, s4, s2
.LBB9_1082:
	s_or_b32 exec_lo, exec_lo, s6
	s_and_saveexec_b32 s2, s34
	s_cbranch_execnz .LBB9_1196
; %bb.1083:
	s_or_b32 exec_lo, exec_lo, s2
	s_and_saveexec_b32 s2, s8
	s_delay_alu instid0(SALU_CYCLE_1)
	s_xor_b32 s2, exec_lo, s2
	s_cbranch_execz .LBB9_1085
.LBB9_1084:
	v_cmp_neq_f64_e32 vcc_lo, 0, v[0:1]
	v_cndmask_b32_e64 v2, 0, 1, vcc_lo
	global_store_b8 v[5:6], v2, off
.LBB9_1085:
	s_or_b32 exec_lo, exec_lo, s2
	s_and_saveexec_b32 s2, s7
	s_delay_alu instid0(SALU_CYCLE_1)
	s_xor_b32 s2, exec_lo, s2
	s_cbranch_execz .LBB9_1123
; %bb.1086:
	v_cmp_gt_i16_e32 vcc_lo, 5, v7
	s_mov_b32 s4, -1
	s_cbranch_vccnz .LBB9_1107
; %bb.1087:
	v_cmp_gt_i16_e32 vcc_lo, 8, v7
	s_cbranch_vccnz .LBB9_1097
; %bb.1088:
	v_cmp_gt_i16_e32 vcc_lo, 9, v7
	s_cbranch_vccnz .LBB9_1094
; %bb.1089:
	v_cmp_lt_i16_e32 vcc_lo, 9, v7
	s_cbranch_vccz .LBB9_1091
; %bb.1090:
	v_mov_b32_e32 v2, 0
	s_mov_b32 s4, 0
	s_waitcnt vmcnt(0)
	s_delay_alu instid0(VALU_DEP_1)
	v_mov_b32_e32 v3, v2
	global_store_b128 v[5:6], v[0:3], off
.LBB9_1091:
	s_and_not1_b32 vcc_lo, exec_lo, s4
	s_cbranch_vccnz .LBB9_1093
; %bb.1092:
	v_cvt_f32_f64_e32 v2, v[0:1]
	s_waitcnt vmcnt(0)
	v_mov_b32_e32 v3, 0
	global_store_b64 v[5:6], v[2:3], off
.LBB9_1093:
	s_mov_b32 s4, 0
.LBB9_1094:
	s_delay_alu instid0(SALU_CYCLE_1)
	s_and_not1_b32 vcc_lo, exec_lo, s4
	s_cbranch_vccnz .LBB9_1096
; %bb.1095:
	v_cvt_f32_f64_e32 v2, v[0:1]
	s_delay_alu instid0(VALU_DEP_1) | instskip(NEXT) | instid1(VALU_DEP_1)
	v_cvt_f16_f32_e32 v2, v2
	v_and_b32_e32 v2, 0xffff, v2
	global_store_b32 v[5:6], v2, off
.LBB9_1096:
	s_mov_b32 s4, 0
.LBB9_1097:
	s_delay_alu instid0(SALU_CYCLE_1)
	s_and_not1_b32 vcc_lo, exec_lo, s4
	s_cbranch_vccnz .LBB9_1106
; %bb.1098:
	v_cmp_gt_i16_e32 vcc_lo, 6, v7
	s_mov_b32 s4, -1
	s_cbranch_vccnz .LBB9_1104
; %bb.1099:
	v_cmp_lt_i16_e32 vcc_lo, 6, v7
	s_cbranch_vccz .LBB9_1101
; %bb.1100:
	s_mov_b32 s4, 0
	global_store_b64 v[5:6], v[0:1], off
.LBB9_1101:
	s_and_not1_b32 vcc_lo, exec_lo, s4
	s_cbranch_vccnz .LBB9_1103
; %bb.1102:
	v_cvt_f32_f64_e32 v2, v[0:1]
	global_store_b32 v[5:6], v2, off
.LBB9_1103:
	s_mov_b32 s4, 0
.LBB9_1104:
	s_delay_alu instid0(SALU_CYCLE_1)
	s_and_not1_b32 vcc_lo, exec_lo, s4
	s_cbranch_vccnz .LBB9_1106
; %bb.1105:
	v_cvt_f32_f64_e32 v2, v[0:1]
	s_delay_alu instid0(VALU_DEP_1)
	v_cvt_f16_f32_e32 v2, v2
	global_store_b16 v[5:6], v2, off
.LBB9_1106:
	s_mov_b32 s4, 0
.LBB9_1107:
	s_delay_alu instid0(SALU_CYCLE_1)
	s_and_not1_b32 vcc_lo, exec_lo, s4
	s_cbranch_vccnz .LBB9_1123
; %bb.1108:
	v_cmp_gt_i16_e32 vcc_lo, 2, v7
	s_mov_b32 s4, -1
	s_cbranch_vccnz .LBB9_1118
; %bb.1109:
	v_cmp_gt_i16_e32 vcc_lo, 3, v7
	s_cbranch_vccnz .LBB9_1115
; %bb.1110:
	v_cmp_lt_i16_e32 vcc_lo, 3, v7
	s_cbranch_vccz .LBB9_1112
; %bb.1111:
	s_waitcnt vmcnt(0)
	v_trunc_f64_e32 v[2:3], v[0:1]
	s_mov_b32 s4, 0
	s_delay_alu instid0(VALU_DEP_1) | instskip(NEXT) | instid1(VALU_DEP_1)
	v_ldexp_f64 v[8:9], v[2:3], 0xffffffe0
	v_floor_f64_e32 v[8:9], v[8:9]
	s_delay_alu instid0(VALU_DEP_1) | instskip(SKIP_1) | instid1(VALU_DEP_2)
	v_fma_f64 v[2:3], 0xc1f00000, v[8:9], v[2:3]
	v_cvt_i32_f64_e32 v4, v[8:9]
	v_cvt_u32_f64_e32 v3, v[2:3]
	global_store_b64 v[5:6], v[3:4], off
.LBB9_1112:
	s_and_not1_b32 vcc_lo, exec_lo, s4
	s_cbranch_vccnz .LBB9_1114
; %bb.1113:
	v_cvt_i32_f64_e32 v2, v[0:1]
	global_store_b32 v[5:6], v2, off
.LBB9_1114:
	s_mov_b32 s4, 0
.LBB9_1115:
	s_delay_alu instid0(SALU_CYCLE_1)
	s_and_not1_b32 vcc_lo, exec_lo, s4
	s_cbranch_vccnz .LBB9_1117
; %bb.1116:
	v_cvt_i32_f64_e32 v2, v[0:1]
	global_store_b16 v[5:6], v2, off
.LBB9_1117:
	s_mov_b32 s4, 0
.LBB9_1118:
	s_delay_alu instid0(SALU_CYCLE_1)
	s_and_not1_b32 vcc_lo, exec_lo, s4
	s_cbranch_vccnz .LBB9_1123
; %bb.1119:
	v_cmp_lt_i16_e32 vcc_lo, 0, v7
	s_mov_b32 s4, -1
	s_cbranch_vccz .LBB9_1121
; %bb.1120:
	v_cvt_i32_f64_e32 v2, v[0:1]
	s_mov_b32 s4, 0
	global_store_b8 v[5:6], v2, off
.LBB9_1121:
	s_and_not1_b32 vcc_lo, exec_lo, s4
	s_cbranch_vccnz .LBB9_1123
; %bb.1122:
	v_trunc_f64_e32 v[0:1], v[0:1]
	s_waitcnt vmcnt(0)
	s_delay_alu instid0(VALU_DEP_1) | instskip(NEXT) | instid1(VALU_DEP_1)
	v_ldexp_f64 v[2:3], v[0:1], 0xffffffe0
	v_floor_f64_e32 v[2:3], v[2:3]
	s_delay_alu instid0(VALU_DEP_1) | instskip(NEXT) | instid1(VALU_DEP_1)
	v_fma_f64 v[0:1], 0xc1f00000, v[2:3], v[0:1]
	v_cvt_u32_f64_e32 v0, v[0:1]
	global_store_b8 v[5:6], v0, off
.LBB9_1123:
	s_or_b32 exec_lo, exec_lo, s2
	s_delay_alu instid0(SALU_CYCLE_1)
	s_and_b32 s8, s3, exec_lo
                                        ; implicit-def: $vgpr5
                                        ; implicit-def: $vgpr14
.LBB9_1124:
	s_or_saveexec_b32 s9, s28
	s_mov_b32 s3, 0
                                        ; implicit-def: $vgpr0_vgpr1
                                        ; implicit-def: $vgpr17
                                        ; implicit-def: $vgpr12_vgpr13
	s_xor_b32 exec_lo, exec_lo, s9
	s_cbranch_execz .LBB9_2188
; %bb.1125:
	v_cndmask_b32_e64 v1, 0, 1, s27
	s_and_not1_b32 vcc_lo, exec_lo, s27
	s_cbranch_vccnz .LBB9_1131
; %bb.1126:
	v_mov_b32_e32 v2, 0
	v_mov_b32_e32 v0, 0
	s_cmp_lg_u32 s24, 0
	s_mov_b32 s6, 0
	s_cbranch_scc0 .LBB9_1135
; %bb.1127:
	s_min_u32 s7, s25, 15
	v_mov_b32_e32 v2, 0
	s_add_i32 s7, s7, 1
	s_cmp_eq_u32 s25, 2
	s_mov_b32 s10, 0
	s_cbranch_scc1 .LBB9_1132
; %bb.1128:
	s_waitcnt vmcnt(0)
	v_dual_mov_b32 v0, 0 :: v_dual_mov_b32 v3, v14
	v_mov_b32_e32 v2, 0
	s_add_u32 s2, s16, 0xc4
	s_addc_u32 s3, s17, 0
	s_and_b32 s10, s7, 28
	s_mov_b32 s11, 0
	s_mov_b64 s[4:5], s[16:17]
.LBB9_1129:                             ; =>This Inner Loop Header: Depth=1
	s_clause 0x1
	s_load_b256 s[36:43], s[4:5], 0x4
	s_load_b128 s[12:15], s[4:5], 0x24
	s_load_b256 s[44:51], s[2:3], 0x0
	s_add_u32 s4, s4, 48
	s_addc_u32 s5, s5, 0
	s_add_i32 s11, s11, 4
	s_add_u32 s2, s2, 32
	s_addc_u32 s3, s3, 0
	s_cmp_lg_u32 s10, s11
	s_waitcnt lgkmcnt(0)
	v_mul_hi_u32 v4, s37, v3
	s_delay_alu instid0(VALU_DEP_1) | instskip(NEXT) | instid1(VALU_DEP_1)
	v_add_nc_u32_e32 v4, v3, v4
	v_lshrrev_b32_e32 v4, s38, v4
	s_delay_alu instid0(VALU_DEP_1) | instskip(SKIP_1) | instid1(VALU_DEP_2)
	v_mul_hi_u32 v6, s40, v4
	v_mul_lo_u32 v8, v4, s36
	v_add_nc_u32_e32 v6, v4, v6
	s_delay_alu instid0(VALU_DEP_2) | instskip(NEXT) | instid1(VALU_DEP_2)
	v_sub_nc_u32_e32 v3, v3, v8
	v_lshrrev_b32_e32 v6, s41, v6
	s_delay_alu instid0(VALU_DEP_2) | instskip(SKIP_1) | instid1(VALU_DEP_3)
	v_mul_lo_u32 v8, v3, s44
	v_mul_lo_u32 v10, v3, s45
	v_mul_hi_u32 v7, s43, v6
	s_delay_alu instid0(VALU_DEP_1) | instskip(NEXT) | instid1(VALU_DEP_1)
	v_add_nc_u32_e32 v7, v6, v7
	v_lshrrev_b32_e32 v7, s12, v7
	s_delay_alu instid0(VALU_DEP_1) | instskip(SKIP_1) | instid1(VALU_DEP_2)
	v_mul_hi_u32 v9, s14, v7
	v_mul_lo_u32 v11, v7, s42
	v_add_nc_u32_e32 v3, v7, v9
	v_mul_lo_u32 v9, v6, s39
	s_delay_alu instid0(VALU_DEP_3) | instskip(NEXT) | instid1(VALU_DEP_3)
	v_sub_nc_u32_e32 v6, v6, v11
	v_lshrrev_b32_e32 v3, s15, v3
	s_delay_alu instid0(VALU_DEP_2) | instskip(SKIP_2) | instid1(VALU_DEP_4)
	v_mul_lo_u32 v11, v6, s48
	v_mul_lo_u32 v6, v6, s49
	v_sub_nc_u32_e32 v4, v4, v9
	v_mul_lo_u32 v12, v3, s13
	s_delay_alu instid0(VALU_DEP_2) | instskip(SKIP_1) | instid1(VALU_DEP_3)
	v_mul_lo_u32 v9, v4, s46
	v_mul_lo_u32 v4, v4, s47
	v_sub_nc_u32_e32 v7, v7, v12
	s_delay_alu instid0(VALU_DEP_3) | instskip(NEXT) | instid1(VALU_DEP_2)
	v_add3_u32 v2, v8, v2, v9
	v_mul_lo_u32 v12, v7, s50
	v_mul_lo_u32 v7, v7, s51
	v_add3_u32 v0, v10, v0, v4
	s_delay_alu instid0(VALU_DEP_3) | instskip(NEXT) | instid1(VALU_DEP_2)
	v_add3_u32 v2, v11, v2, v12
	v_add3_u32 v0, v6, v0, v7
	s_cbranch_scc1 .LBB9_1129
; %bb.1130:
	s_and_b32 s7, s7, 3
	s_delay_alu instid0(SALU_CYCLE_1)
	s_cmp_eq_u32 s7, 0
	s_cbranch_scc0 .LBB9_1133
	s_branch .LBB9_1135
.LBB9_1131:
	s_mov_b32 s6, -1
                                        ; implicit-def: $vgpr2
                                        ; implicit-def: $vgpr0
	s_branch .LBB9_1135
.LBB9_1132:
	s_waitcnt vmcnt(0)
	v_dual_mov_b32 v3, v14 :: v_dual_mov_b32 v0, 0
	s_and_b32 s7, s7, 3
	s_delay_alu instid0(SALU_CYCLE_1)
	s_cmp_eq_u32 s7, 0
	s_cbranch_scc1 .LBB9_1135
.LBB9_1133:
	s_lshl_b32 s2, s10, 3
	s_mul_i32 s4, s10, 12
	s_add_u32 s2, s2, s16
	s_addc_u32 s3, 0, s17
	s_add_u32 s2, s2, 0xc4
	s_addc_u32 s3, s3, 0
	;; [unrolled: 2-line block ×3, first 2 shown]
	.p2align	6
.LBB9_1134:                             ; =>This Inner Loop Header: Depth=1
	s_clause 0x1
	s_load_b64 s[10:11], s[4:5], 0x4
	s_load_b32 s14, s[4:5], 0xc
	s_load_b64 s[12:13], s[2:3], 0x0
	s_add_u32 s4, s4, 12
	s_addc_u32 s5, s5, 0
	s_add_u32 s2, s2, 8
	s_addc_u32 s3, s3, 0
	s_add_i32 s7, s7, -1
	s_delay_alu instid0(SALU_CYCLE_1) | instskip(SKIP_2) | instid1(VALU_DEP_1)
	s_cmp_lg_u32 s7, 0
	s_waitcnt lgkmcnt(0)
	v_mul_hi_u32 v4, s11, v3
	v_add_nc_u32_e32 v4, v3, v4
	s_delay_alu instid0(VALU_DEP_1) | instskip(NEXT) | instid1(VALU_DEP_1)
	v_lshrrev_b32_e32 v4, s14, v4
	v_mul_lo_u32 v6, v4, s10
	s_delay_alu instid0(VALU_DEP_1) | instskip(NEXT) | instid1(VALU_DEP_1)
	v_sub_nc_u32_e32 v3, v3, v6
	v_mad_u64_u32 v[6:7], null, v3, s12, v[2:3]
	v_mad_u64_u32 v[7:8], null, v3, s13, v[0:1]
	s_delay_alu instid0(VALU_DEP_2) | instskip(NEXT) | instid1(VALU_DEP_2)
	v_dual_mov_b32 v3, v4 :: v_dual_mov_b32 v2, v6
	v_mov_b32_e32 v0, v7
	s_cbranch_scc1 .LBB9_1134
.LBB9_1135:
	s_and_not1_b32 vcc_lo, exec_lo, s6
	s_cbranch_vccnz .LBB9_1138
; %bb.1136:
	s_clause 0x1
	s_load_b128 s[4:7], s[16:17], 0x4
	s_load_b64 s[2:3], s[16:17], 0xc4
	s_cmp_lt_u32 s24, 2
	s_waitcnt lgkmcnt(0)
	v_mul_hi_u32 v0, s5, v14
	s_delay_alu instid0(VALU_DEP_1) | instskip(SKIP_1) | instid1(VALU_DEP_1)
	v_add_nc_u32_e32 v0, v14, v0
	s_waitcnt vmcnt(0)
	v_lshrrev_b32_e32 v3, s6, v0
	s_delay_alu instid0(VALU_DEP_1) | instskip(NEXT) | instid1(VALU_DEP_1)
	v_mul_lo_u32 v0, v3, s4
	v_sub_nc_u32_e32 v0, v14, v0
	s_delay_alu instid0(VALU_DEP_1)
	v_mul_lo_u32 v2, v0, s2
	v_mul_lo_u32 v0, v0, s3
	s_cbranch_scc1 .LBB9_1138
; %bb.1137:
	s_clause 0x1
	s_load_b128 s[4:7], s[16:17], 0x10
	s_load_b64 s[2:3], s[16:17], 0xcc
	s_waitcnt lgkmcnt(0)
	v_mul_hi_u32 v4, s5, v3
	s_delay_alu instid0(VALU_DEP_1) | instskip(NEXT) | instid1(VALU_DEP_1)
	v_add_nc_u32_e32 v4, v3, v4
	v_lshrrev_b32_e32 v4, s6, v4
	s_delay_alu instid0(VALU_DEP_1) | instskip(NEXT) | instid1(VALU_DEP_1)
	v_mul_lo_u32 v4, v4, s4
	v_sub_nc_u32_e32 v8, v3, v4
	s_delay_alu instid0(VALU_DEP_1) | instskip(SKIP_1) | instid1(VALU_DEP_2)
	v_mad_u64_u32 v[3:4], null, v8, s2, v[2:3]
	v_mad_u64_u32 v[6:7], null, v8, s3, v[0:1]
	v_mov_b32_e32 v2, v3
	s_delay_alu instid0(VALU_DEP_2)
	v_mov_b32_e32 v0, v6
.LBB9_1138:
	v_cmp_ne_u32_e32 vcc_lo, 1, v1
	s_waitcnt vmcnt(0)
	v_add_nc_u32_e32 v3, 0x80, v14
	s_cbranch_vccnz .LBB9_1144
; %bb.1139:
	v_mov_b32_e32 v6, 0
	v_mov_b32_e32 v4, 0
	s_cmp_lg_u32 s24, 0
	s_mov_b32 s6, 0
	s_cbranch_scc0 .LBB9_1148
; %bb.1140:
	s_min_u32 s7, s25, 15
	v_mov_b32_e32 v6, 0
	s_add_i32 s7, s7, 1
	s_cmp_eq_u32 s25, 2
	s_mov_b32 s10, 0
	s_cbranch_scc1 .LBB9_1145
; %bb.1141:
	v_dual_mov_b32 v4, 0 :: v_dual_mov_b32 v7, v3
	v_mov_b32_e32 v6, 0
	s_add_u32 s2, s16, 0xc4
	s_addc_u32 s3, s17, 0
	s_and_b32 s10, s7, 28
	s_mov_b32 s11, 0
	s_mov_b64 s[4:5], s[16:17]
.LBB9_1142:                             ; =>This Inner Loop Header: Depth=1
	s_clause 0x1
	s_load_b256 s[36:43], s[4:5], 0x4
	s_load_b128 s[12:15], s[4:5], 0x24
	s_load_b256 s[44:51], s[2:3], 0x0
	s_add_u32 s4, s4, 48
	s_addc_u32 s5, s5, 0
	s_add_i32 s11, s11, 4
	s_add_u32 s2, s2, 32
	s_addc_u32 s3, s3, 0
	s_cmp_lg_u32 s10, s11
	s_waitcnt lgkmcnt(0)
	v_mul_hi_u32 v8, s37, v7
	s_delay_alu instid0(VALU_DEP_1) | instskip(NEXT) | instid1(VALU_DEP_1)
	v_add_nc_u32_e32 v8, v7, v8
	v_lshrrev_b32_e32 v8, s38, v8
	s_delay_alu instid0(VALU_DEP_1) | instskip(SKIP_1) | instid1(VALU_DEP_2)
	v_mul_hi_u32 v9, s40, v8
	v_mul_lo_u32 v11, v8, s36
	v_add_nc_u32_e32 v9, v8, v9
	s_delay_alu instid0(VALU_DEP_2) | instskip(NEXT) | instid1(VALU_DEP_2)
	v_sub_nc_u32_e32 v7, v7, v11
	v_lshrrev_b32_e32 v9, s41, v9
	s_delay_alu instid0(VALU_DEP_2) | instskip(SKIP_1) | instid1(VALU_DEP_3)
	v_mul_lo_u32 v11, v7, s44
	v_mul_lo_u32 v13, v7, s45
	v_mul_hi_u32 v10, s43, v9
	s_delay_alu instid0(VALU_DEP_1) | instskip(NEXT) | instid1(VALU_DEP_1)
	v_add_nc_u32_e32 v10, v9, v10
	v_lshrrev_b32_e32 v10, s12, v10
	s_delay_alu instid0(VALU_DEP_1) | instskip(SKIP_1) | instid1(VALU_DEP_2)
	v_mul_hi_u32 v12, s14, v10
	v_mul_lo_u32 v15, v10, s42
	v_add_nc_u32_e32 v7, v10, v12
	v_mul_lo_u32 v12, v9, s39
	s_delay_alu instid0(VALU_DEP_3) | instskip(NEXT) | instid1(VALU_DEP_3)
	v_sub_nc_u32_e32 v9, v9, v15
	v_lshrrev_b32_e32 v7, s15, v7
	s_delay_alu instid0(VALU_DEP_2) | instskip(SKIP_2) | instid1(VALU_DEP_4)
	v_mul_lo_u32 v15, v9, s48
	v_mul_lo_u32 v9, v9, s49
	v_sub_nc_u32_e32 v8, v8, v12
	v_mul_lo_u32 v16, v7, s13
	s_delay_alu instid0(VALU_DEP_2) | instskip(SKIP_1) | instid1(VALU_DEP_3)
	v_mul_lo_u32 v12, v8, s46
	v_mul_lo_u32 v8, v8, s47
	v_sub_nc_u32_e32 v10, v10, v16
	s_delay_alu instid0(VALU_DEP_3) | instskip(NEXT) | instid1(VALU_DEP_2)
	v_add3_u32 v6, v11, v6, v12
	v_mul_lo_u32 v16, v10, s50
	v_mul_lo_u32 v10, v10, s51
	v_add3_u32 v4, v13, v4, v8
	s_delay_alu instid0(VALU_DEP_3) | instskip(NEXT) | instid1(VALU_DEP_2)
	v_add3_u32 v6, v15, v6, v16
	v_add3_u32 v4, v9, v4, v10
	s_cbranch_scc1 .LBB9_1142
; %bb.1143:
	s_and_b32 s7, s7, 3
	s_delay_alu instid0(SALU_CYCLE_1)
	s_cmp_eq_u32 s7, 0
	s_cbranch_scc0 .LBB9_1146
	s_branch .LBB9_1148
.LBB9_1144:
	s_mov_b32 s6, -1
                                        ; implicit-def: $vgpr6
                                        ; implicit-def: $vgpr4
	s_branch .LBB9_1148
.LBB9_1145:
	v_dual_mov_b32 v7, v3 :: v_dual_mov_b32 v4, 0
	s_and_b32 s7, s7, 3
	s_delay_alu instid0(SALU_CYCLE_1)
	s_cmp_eq_u32 s7, 0
	s_cbranch_scc1 .LBB9_1148
.LBB9_1146:
	s_lshl_b32 s2, s10, 3
	s_mul_i32 s4, s10, 12
	s_add_u32 s2, s2, s16
	s_addc_u32 s3, 0, s17
	s_add_u32 s2, s2, 0xc4
	s_addc_u32 s3, s3, 0
	;; [unrolled: 2-line block ×3, first 2 shown]
	.p2align	6
.LBB9_1147:                             ; =>This Inner Loop Header: Depth=1
	s_clause 0x1
	s_load_b64 s[10:11], s[4:5], 0x4
	s_load_b32 s14, s[4:5], 0xc
	s_load_b64 s[12:13], s[2:3], 0x0
	s_add_u32 s4, s4, 12
	s_addc_u32 s5, s5, 0
	s_add_u32 s2, s2, 8
	s_addc_u32 s3, s3, 0
	s_add_i32 s7, s7, -1
	s_delay_alu instid0(SALU_CYCLE_1) | instskip(SKIP_2) | instid1(VALU_DEP_1)
	s_cmp_lg_u32 s7, 0
	s_waitcnt lgkmcnt(0)
	v_mul_hi_u32 v8, s11, v7
	v_add_nc_u32_e32 v8, v7, v8
	s_delay_alu instid0(VALU_DEP_1) | instskip(NEXT) | instid1(VALU_DEP_1)
	v_lshrrev_b32_e32 v11, s14, v8
	v_mul_lo_u32 v8, v11, s10
	s_delay_alu instid0(VALU_DEP_1) | instskip(NEXT) | instid1(VALU_DEP_1)
	v_sub_nc_u32_e32 v7, v7, v8
	v_mad_u64_u32 v[8:9], null, v7, s12, v[6:7]
	v_mad_u64_u32 v[9:10], null, v7, s13, v[4:5]
	s_delay_alu instid0(VALU_DEP_2) | instskip(NEXT) | instid1(VALU_DEP_2)
	v_dual_mov_b32 v7, v11 :: v_dual_mov_b32 v6, v8
	v_mov_b32_e32 v4, v9
	s_cbranch_scc1 .LBB9_1147
.LBB9_1148:
	s_and_not1_b32 vcc_lo, exec_lo, s6
	s_cbranch_vccnz .LBB9_1151
; %bb.1149:
	s_clause 0x1
	s_load_b128 s[4:7], s[16:17], 0x4
	s_load_b64 s[2:3], s[16:17], 0xc4
	s_cmp_lt_u32 s24, 2
	s_waitcnt lgkmcnt(0)
	v_mul_hi_u32 v4, s5, v3
	s_delay_alu instid0(VALU_DEP_1) | instskip(NEXT) | instid1(VALU_DEP_1)
	v_add_nc_u32_e32 v4, v3, v4
	v_lshrrev_b32_e32 v7, s6, v4
	s_delay_alu instid0(VALU_DEP_1) | instskip(NEXT) | instid1(VALU_DEP_1)
	v_mul_lo_u32 v4, v7, s4
	v_sub_nc_u32_e32 v3, v3, v4
	s_delay_alu instid0(VALU_DEP_1)
	v_mul_lo_u32 v6, v3, s2
	v_mul_lo_u32 v4, v3, s3
	s_cbranch_scc1 .LBB9_1151
; %bb.1150:
	s_clause 0x1
	s_load_b128 s[4:7], s[16:17], 0x10
	s_load_b64 s[2:3], s[16:17], 0xcc
	s_waitcnt lgkmcnt(0)
	v_mul_hi_u32 v3, s5, v7
	s_delay_alu instid0(VALU_DEP_1) | instskip(NEXT) | instid1(VALU_DEP_1)
	v_add_nc_u32_e32 v3, v7, v3
	v_lshrrev_b32_e32 v3, s6, v3
	s_delay_alu instid0(VALU_DEP_1) | instskip(NEXT) | instid1(VALU_DEP_1)
	v_mul_lo_u32 v3, v3, s4
	v_sub_nc_u32_e32 v3, v7, v3
	s_delay_alu instid0(VALU_DEP_1) | instskip(SKIP_1) | instid1(VALU_DEP_2)
	v_mad_u64_u32 v[7:8], null, v3, s2, v[6:7]
	v_mad_u64_u32 v[8:9], null, v3, s3, v[4:5]
	v_mov_b32_e32 v6, v7
	s_delay_alu instid0(VALU_DEP_2)
	v_mov_b32_e32 v4, v8
.LBB9_1151:
	v_cmp_ne_u32_e32 vcc_lo, 1, v1
	v_add_nc_u32_e32 v3, 0x100, v14
	s_cbranch_vccnz .LBB9_1157
; %bb.1152:
	v_dual_mov_b32 v10, 0 :: v_dual_mov_b32 v7, 0
	s_cmp_lg_u32 s24, 0
	s_mov_b32 s6, 0
	s_cbranch_scc0 .LBB9_1161
; %bb.1153:
	s_min_u32 s7, s25, 15
	v_mov_b32_e32 v10, 0
	s_add_i32 s7, s7, 1
	s_cmp_eq_u32 s25, 2
	s_mov_b32 s10, 0
	s_cbranch_scc1 .LBB9_1158
; %bb.1154:
	v_dual_mov_b32 v7, 0 :: v_dual_mov_b32 v10, 0
	v_mov_b32_e32 v8, v3
	s_add_u32 s2, s16, 0xc4
	s_addc_u32 s3, s17, 0
	s_and_b32 s10, s7, 28
	s_mov_b32 s11, 0
	s_mov_b64 s[4:5], s[16:17]
.LBB9_1155:                             ; =>This Inner Loop Header: Depth=1
	s_clause 0x1
	s_load_b256 s[36:43], s[4:5], 0x4
	s_load_b128 s[12:15], s[4:5], 0x24
	s_load_b256 s[44:51], s[2:3], 0x0
	s_add_u32 s4, s4, 48
	s_addc_u32 s5, s5, 0
	s_add_i32 s11, s11, 4
	s_add_u32 s2, s2, 32
	s_addc_u32 s3, s3, 0
	s_cmp_lg_u32 s10, s11
	s_waitcnt lgkmcnt(0)
	v_mul_hi_u32 v9, s37, v8
	s_delay_alu instid0(VALU_DEP_1) | instskip(NEXT) | instid1(VALU_DEP_1)
	v_add_nc_u32_e32 v9, v8, v9
	v_lshrrev_b32_e32 v9, s38, v9
	s_delay_alu instid0(VALU_DEP_1) | instskip(SKIP_1) | instid1(VALU_DEP_2)
	v_mul_hi_u32 v11, s40, v9
	v_mul_lo_u32 v13, v9, s36
	v_add_nc_u32_e32 v11, v9, v11
	s_delay_alu instid0(VALU_DEP_2) | instskip(NEXT) | instid1(VALU_DEP_2)
	v_sub_nc_u32_e32 v8, v8, v13
	v_lshrrev_b32_e32 v11, s41, v11
	s_delay_alu instid0(VALU_DEP_2) | instskip(SKIP_1) | instid1(VALU_DEP_3)
	v_mul_lo_u32 v13, v8, s44
	v_mul_lo_u32 v15, v8, s45
	v_mul_hi_u32 v12, s43, v11
	s_delay_alu instid0(VALU_DEP_1) | instskip(NEXT) | instid1(VALU_DEP_1)
	v_add_nc_u32_e32 v12, v11, v12
	v_lshrrev_b32_e32 v12, s12, v12
	s_delay_alu instid0(VALU_DEP_1) | instskip(SKIP_1) | instid1(VALU_DEP_2)
	v_mul_hi_u32 v14, s14, v12
	v_mul_lo_u32 v16, v12, s42
	v_add_nc_u32_e32 v8, v12, v14
	v_mul_lo_u32 v14, v11, s39
	s_delay_alu instid0(VALU_DEP_3) | instskip(NEXT) | instid1(VALU_DEP_3)
	v_sub_nc_u32_e32 v11, v11, v16
	v_lshrrev_b32_e32 v8, s15, v8
	s_delay_alu instid0(VALU_DEP_2) | instskip(SKIP_2) | instid1(VALU_DEP_4)
	v_mul_lo_u32 v16, v11, s48
	v_mul_lo_u32 v11, v11, s49
	v_sub_nc_u32_e32 v9, v9, v14
	v_mul_lo_u32 v17, v8, s13
	s_delay_alu instid0(VALU_DEP_2) | instskip(SKIP_1) | instid1(VALU_DEP_3)
	v_mul_lo_u32 v14, v9, s46
	v_mul_lo_u32 v9, v9, s47
	v_sub_nc_u32_e32 v12, v12, v17
	s_delay_alu instid0(VALU_DEP_3) | instskip(NEXT) | instid1(VALU_DEP_2)
	v_add3_u32 v10, v13, v10, v14
	v_mul_lo_u32 v17, v12, s50
	v_mul_lo_u32 v12, v12, s51
	v_add3_u32 v7, v15, v7, v9
	s_delay_alu instid0(VALU_DEP_3) | instskip(NEXT) | instid1(VALU_DEP_2)
	v_add3_u32 v10, v16, v10, v17
	v_add3_u32 v7, v11, v7, v12
	s_cbranch_scc1 .LBB9_1155
; %bb.1156:
	s_and_b32 s7, s7, 3
	s_delay_alu instid0(SALU_CYCLE_1)
	s_cmp_eq_u32 s7, 0
	s_cbranch_scc0 .LBB9_1159
	s_branch .LBB9_1161
.LBB9_1157:
	s_mov_b32 s6, -1
                                        ; implicit-def: $vgpr10
                                        ; implicit-def: $vgpr7
	s_branch .LBB9_1161
.LBB9_1158:
	v_dual_mov_b32 v8, v3 :: v_dual_mov_b32 v7, 0
	s_and_b32 s7, s7, 3
	s_delay_alu instid0(SALU_CYCLE_1)
	s_cmp_eq_u32 s7, 0
	s_cbranch_scc1 .LBB9_1161
.LBB9_1159:
	s_lshl_b32 s2, s10, 3
	s_mul_i32 s4, s10, 12
	s_add_u32 s2, s2, s16
	s_addc_u32 s3, 0, s17
	s_add_u32 s2, s2, 0xc4
	s_addc_u32 s3, s3, 0
	s_add_u32 s4, s16, s4
	s_addc_u32 s5, 0, s17
	.p2align	6
.LBB9_1160:                             ; =>This Inner Loop Header: Depth=1
	s_clause 0x1
	s_load_b64 s[10:11], s[4:5], 0x4
	s_load_b32 s14, s[4:5], 0xc
	s_load_b64 s[12:13], s[2:3], 0x0
	s_add_u32 s4, s4, 12
	s_addc_u32 s5, s5, 0
	s_add_u32 s2, s2, 8
	s_addc_u32 s3, s3, 0
	s_add_i32 s7, s7, -1
	s_delay_alu instid0(SALU_CYCLE_1) | instskip(SKIP_2) | instid1(VALU_DEP_1)
	s_cmp_lg_u32 s7, 0
	s_waitcnt lgkmcnt(0)
	v_mul_hi_u32 v9, s11, v8
	v_add_nc_u32_e32 v9, v8, v9
	s_delay_alu instid0(VALU_DEP_1) | instskip(NEXT) | instid1(VALU_DEP_1)
	v_lshrrev_b32_e32 v13, s14, v9
	v_mul_lo_u32 v9, v13, s10
	s_delay_alu instid0(VALU_DEP_1) | instskip(NEXT) | instid1(VALU_DEP_1)
	v_sub_nc_u32_e32 v8, v8, v9
	v_mad_u64_u32 v[11:12], null, v8, s12, v[10:11]
	v_mad_u64_u32 v[9:10], null, v8, s13, v[7:8]
	v_mov_b32_e32 v8, v13
	s_delay_alu instid0(VALU_DEP_2)
	v_dual_mov_b32 v10, v11 :: v_dual_mov_b32 v7, v9
	s_cbranch_scc1 .LBB9_1160
.LBB9_1161:
	s_and_not1_b32 vcc_lo, exec_lo, s6
	s_cbranch_vccnz .LBB9_1164
; %bb.1162:
	s_clause 0x1
	s_load_b128 s[4:7], s[16:17], 0x4
	s_load_b64 s[2:3], s[16:17], 0xc4
	s_cmp_lt_u32 s24, 2
	s_waitcnt lgkmcnt(0)
	v_mul_hi_u32 v7, s5, v3
	s_delay_alu instid0(VALU_DEP_1) | instskip(NEXT) | instid1(VALU_DEP_1)
	v_add_nc_u32_e32 v7, v3, v7
	v_lshrrev_b32_e32 v8, s6, v7
	s_delay_alu instid0(VALU_DEP_1) | instskip(NEXT) | instid1(VALU_DEP_1)
	v_mul_lo_u32 v7, v8, s4
	v_sub_nc_u32_e32 v3, v3, v7
	s_delay_alu instid0(VALU_DEP_1)
	v_mul_lo_u32 v10, v3, s2
	v_mul_lo_u32 v7, v3, s3
	s_cbranch_scc1 .LBB9_1164
; %bb.1163:
	s_clause 0x1
	s_load_b128 s[4:7], s[16:17], 0x10
	s_load_b64 s[2:3], s[16:17], 0xcc
	s_waitcnt lgkmcnt(0)
	v_mul_hi_u32 v3, s5, v8
	s_delay_alu instid0(VALU_DEP_1) | instskip(NEXT) | instid1(VALU_DEP_1)
	v_add_nc_u32_e32 v3, v8, v3
	v_lshrrev_b32_e32 v3, s6, v3
	s_delay_alu instid0(VALU_DEP_1) | instskip(NEXT) | instid1(VALU_DEP_1)
	v_mul_lo_u32 v3, v3, s4
	v_sub_nc_u32_e32 v3, v8, v3
	s_delay_alu instid0(VALU_DEP_1) | instskip(NEXT) | instid1(VALU_DEP_1)
	v_mad_u64_u32 v[8:9], null, v3, s2, v[10:11]
	v_mad_u64_u32 v[9:10], null, v3, s3, v[7:8]
	s_delay_alu instid0(VALU_DEP_1)
	v_dual_mov_b32 v10, v8 :: v_dual_mov_b32 v7, v9
.LBB9_1164:
	v_cmp_ne_u32_e32 vcc_lo, 1, v1
	s_cbranch_vccnz .LBB9_1170
; %bb.1165:
	v_dual_mov_b32 v14, 0 :: v_dual_mov_b32 v3, 0
	s_cmp_lg_u32 s24, 0
	s_mov_b32 s6, 0
	s_cbranch_scc0 .LBB9_1174
; %bb.1166:
	s_min_u32 s7, s25, 15
	v_mov_b32_e32 v14, 0
	s_add_i32 s7, s7, 1
	s_cmp_eq_u32 s25, 2
	s_mov_b32 s10, 0
	s_cbranch_scc1 .LBB9_1171
; %bb.1167:
	v_dual_mov_b32 v3, 0 :: v_dual_mov_b32 v14, 0
	v_mov_b32_e32 v1, v5
	s_add_u32 s2, s16, 0xc4
	s_addc_u32 s3, s17, 0
	s_and_b32 s10, s7, 28
	s_mov_b32 s11, 0
	s_mov_b64 s[4:5], s[16:17]
.LBB9_1168:                             ; =>This Inner Loop Header: Depth=1
	s_clause 0x1
	s_load_b256 s[36:43], s[4:5], 0x4
	s_load_b128 s[12:15], s[4:5], 0x24
	s_load_b256 s[44:51], s[2:3], 0x0
	s_add_u32 s4, s4, 48
	s_addc_u32 s5, s5, 0
	s_add_i32 s11, s11, 4
	s_add_u32 s2, s2, 32
	s_addc_u32 s3, s3, 0
	s_cmp_lg_u32 s10, s11
	s_waitcnt lgkmcnt(0)
	v_mul_hi_u32 v8, s37, v1
	s_delay_alu instid0(VALU_DEP_1) | instskip(NEXT) | instid1(VALU_DEP_1)
	v_add_nc_u32_e32 v8, v1, v8
	v_lshrrev_b32_e32 v8, s38, v8
	s_delay_alu instid0(VALU_DEP_1) | instskip(SKIP_1) | instid1(VALU_DEP_2)
	v_mul_hi_u32 v9, s40, v8
	v_mul_lo_u32 v12, v8, s36
	v_add_nc_u32_e32 v9, v8, v9
	s_delay_alu instid0(VALU_DEP_2) | instskip(NEXT) | instid1(VALU_DEP_2)
	v_sub_nc_u32_e32 v1, v1, v12
	v_lshrrev_b32_e32 v9, s41, v9
	s_delay_alu instid0(VALU_DEP_2) | instskip(SKIP_1) | instid1(VALU_DEP_3)
	v_mul_lo_u32 v12, v1, s44
	v_mul_lo_u32 v15, v1, s45
	v_mul_hi_u32 v11, s43, v9
	s_delay_alu instid0(VALU_DEP_1) | instskip(NEXT) | instid1(VALU_DEP_1)
	v_add_nc_u32_e32 v11, v9, v11
	v_lshrrev_b32_e32 v11, s12, v11
	s_delay_alu instid0(VALU_DEP_1) | instskip(SKIP_1) | instid1(VALU_DEP_2)
	v_mul_hi_u32 v13, s14, v11
	v_mul_lo_u32 v16, v11, s42
	v_add_nc_u32_e32 v1, v11, v13
	v_mul_lo_u32 v13, v9, s39
	s_delay_alu instid0(VALU_DEP_3) | instskip(NEXT) | instid1(VALU_DEP_3)
	v_sub_nc_u32_e32 v9, v9, v16
	v_lshrrev_b32_e32 v1, s15, v1
	s_delay_alu instid0(VALU_DEP_2) | instskip(SKIP_2) | instid1(VALU_DEP_4)
	v_mul_lo_u32 v16, v9, s48
	v_mul_lo_u32 v9, v9, s49
	v_sub_nc_u32_e32 v8, v8, v13
	v_mul_lo_u32 v17, v1, s13
	s_delay_alu instid0(VALU_DEP_2) | instskip(SKIP_1) | instid1(VALU_DEP_3)
	v_mul_lo_u32 v13, v8, s46
	v_mul_lo_u32 v8, v8, s47
	v_sub_nc_u32_e32 v11, v11, v17
	s_delay_alu instid0(VALU_DEP_3) | instskip(NEXT) | instid1(VALU_DEP_2)
	v_add3_u32 v12, v12, v14, v13
	v_mul_lo_u32 v17, v11, s50
	v_mul_lo_u32 v11, v11, s51
	v_add3_u32 v3, v15, v3, v8
	s_delay_alu instid0(VALU_DEP_3) | instskip(NEXT) | instid1(VALU_DEP_2)
	v_add3_u32 v14, v16, v12, v17
	v_add3_u32 v3, v9, v3, v11
	s_cbranch_scc1 .LBB9_1168
; %bb.1169:
	s_and_b32 s7, s7, 3
	s_delay_alu instid0(SALU_CYCLE_1)
	s_cmp_eq_u32 s7, 0
	s_cbranch_scc0 .LBB9_1172
	s_branch .LBB9_1174
.LBB9_1170:
	s_mov_b32 s6, -1
                                        ; implicit-def: $vgpr14
                                        ; implicit-def: $vgpr3
	s_branch .LBB9_1174
.LBB9_1171:
	v_mov_b32_e32 v1, v5
	v_mov_b32_e32 v3, 0
	s_and_b32 s7, s7, 3
	s_delay_alu instid0(SALU_CYCLE_1)
	s_cmp_eq_u32 s7, 0
	s_cbranch_scc1 .LBB9_1174
.LBB9_1172:
	s_lshl_b32 s2, s10, 3
	s_mul_i32 s4, s10, 12
	s_add_u32 s2, s2, s16
	s_addc_u32 s3, 0, s17
	s_add_u32 s2, s2, 0xc4
	s_addc_u32 s3, s3, 0
	s_add_u32 s4, s16, s4
	s_addc_u32 s5, 0, s17
	.p2align	6
.LBB9_1173:                             ; =>This Inner Loop Header: Depth=1
	s_clause 0x1
	s_load_b64 s[10:11], s[4:5], 0x4
	s_load_b32 s14, s[4:5], 0xc
	s_load_b64 s[12:13], s[2:3], 0x0
	s_add_u32 s4, s4, 12
	s_addc_u32 s5, s5, 0
	s_add_u32 s2, s2, 8
	s_addc_u32 s3, s3, 0
	s_add_i32 s7, s7, -1
	s_delay_alu instid0(SALU_CYCLE_1) | instskip(SKIP_2) | instid1(VALU_DEP_1)
	s_cmp_lg_u32 s7, 0
	s_waitcnt lgkmcnt(0)
	v_mul_hi_u32 v8, s11, v1
	v_add_nc_u32_e32 v8, v1, v8
	s_delay_alu instid0(VALU_DEP_1) | instskip(NEXT) | instid1(VALU_DEP_1)
	v_lshrrev_b32_e32 v13, s14, v8
	v_mul_lo_u32 v8, v13, s10
	s_delay_alu instid0(VALU_DEP_1) | instskip(NEXT) | instid1(VALU_DEP_1)
	v_sub_nc_u32_e32 v1, v1, v8
	v_mad_u64_u32 v[8:9], null, v1, s12, v[14:15]
	v_mad_u64_u32 v[11:12], null, v1, s13, v[3:4]
	s_delay_alu instid0(VALU_DEP_2) | instskip(NEXT) | instid1(VALU_DEP_2)
	v_dual_mov_b32 v1, v13 :: v_dual_mov_b32 v14, v8
	v_mov_b32_e32 v3, v11
	s_cbranch_scc1 .LBB9_1173
.LBB9_1174:
	s_and_not1_b32 vcc_lo, exec_lo, s6
	s_cbranch_vccnz .LBB9_1177
; %bb.1175:
	s_clause 0x1
	s_load_b128 s[4:7], s[16:17], 0x4
	s_load_b64 s[2:3], s[16:17], 0xc4
	s_cmp_lt_u32 s24, 2
	s_waitcnt lgkmcnt(0)
	v_mul_hi_u32 v1, s5, v5
	s_delay_alu instid0(VALU_DEP_1) | instskip(NEXT) | instid1(VALU_DEP_1)
	v_add_nc_u32_e32 v1, v5, v1
	v_lshrrev_b32_e32 v1, s6, v1
	s_delay_alu instid0(VALU_DEP_1) | instskip(NEXT) | instid1(VALU_DEP_1)
	v_mul_lo_u32 v3, v1, s4
	v_sub_nc_u32_e32 v3, v5, v3
	s_delay_alu instid0(VALU_DEP_1)
	v_mul_lo_u32 v14, v3, s2
	v_mul_lo_u32 v3, v3, s3
	s_cbranch_scc1 .LBB9_1177
; %bb.1176:
	s_clause 0x1
	s_load_b128 s[4:7], s[16:17], 0x10
	s_load_b64 s[2:3], s[16:17], 0xcc
	s_waitcnt lgkmcnt(0)
	v_mul_hi_u32 v5, s5, v1
	s_delay_alu instid0(VALU_DEP_1) | instskip(NEXT) | instid1(VALU_DEP_1)
	v_add_nc_u32_e32 v5, v1, v5
	v_lshrrev_b32_e32 v5, s6, v5
	s_delay_alu instid0(VALU_DEP_1) | instskip(NEXT) | instid1(VALU_DEP_1)
	v_mul_lo_u32 v5, v5, s4
	v_sub_nc_u32_e32 v1, v1, v5
	s_delay_alu instid0(VALU_DEP_1) | instskip(SKIP_1) | instid1(VALU_DEP_1)
	v_mad_u64_u32 v[8:9], null, v1, s2, v[14:15]
	v_mad_u64_u32 v[11:12], null, v1, s3, v[3:4]
	v_dual_mov_b32 v14, v8 :: v_dual_mov_b32 v3, v11
.LBB9_1177:
	s_clause 0x1
	s_load_b32 s3, s[0:1], 0x160
	s_load_b128 s[4:7], s[16:17], 0x148
	s_waitcnt lgkmcnt(0)
	s_lshr_b32 s0, s3, 16
	s_delay_alu instid0(SALU_CYCLE_1) | instskip(SKIP_1) | instid1(VALU_DEP_1)
	v_and_b32_e64 v13, 0xff, s0
	v_add_co_u32 v0, s0, s6, v0
	v_add_co_ci_u32_e64 v1, null, s7, 0, s0
	s_delay_alu instid0(VALU_DEP_3)
	v_cmp_gt_i16_e32 vcc_lo, 11, v13
	s_mov_b32 s0, 0
	s_cbranch_vccnz .LBB9_1184
; %bb.1178:
	v_cmp_lt_i16_e32 vcc_lo, 25, v13
	s_mov_b32 s10, 0
	s_cbranch_vccz .LBB9_1190
; %bb.1179:
	v_cmp_lt_i16_e32 vcc_lo, 28, v13
	s_cbranch_vccz .LBB9_1192
; %bb.1180:
	v_cmp_lt_i16_e32 vcc_lo, 43, v13
	;; [unrolled: 3-line block ×3, first 2 shown]
	s_cbranch_vccz .LBB9_1198
; %bb.1182:
	v_cmp_eq_u16_e32 vcc_lo, 46, v13
	s_mov_b32 s1, 0
	s_cbranch_vccz .LBB9_1240
; %bb.1183:
	global_load_b32 v5, v[0:1], off
	s_mov_b32 s2, 0
	s_mov_b32 s0, -1
	s_waitcnt vmcnt(0)
	v_lshlrev_b32_e32 v5, 16, v5
	s_delay_alu instid0(VALU_DEP_1)
	v_cvt_f64_f32_e32 v[8:9], v5
	s_branch .LBB9_1242
.LBB9_1184:
	s_mov_b32 s2, s8
                                        ; implicit-def: $vgpr8_vgpr9
	s_cbranch_execz .LBB9_1305
; %bb.1185:
	v_cmp_gt_i16_e32 vcc_lo, 5, v13
	s_cbranch_vccnz .LBB9_1191
; %bb.1186:
	v_cmp_gt_i16_e32 vcc_lo, 8, v13
	s_cbranch_vccnz .LBB9_1193
	;; [unrolled: 3-line block ×3, first 2 shown]
; %bb.1188:
	v_cmp_lt_i16_e32 vcc_lo, 9, v13
	s_cbranch_vccz .LBB9_1199
; %bb.1189:
	global_load_b64 v[8:9], v[0:1], off
	s_mov_b32 s0, 0
	s_branch .LBB9_1200
.LBB9_1190:
	s_mov_b32 s2, 0
                                        ; implicit-def: $vgpr8_vgpr9
	s_cbranch_execnz .LBB9_1272
	s_branch .LBB9_1301
.LBB9_1191:
                                        ; implicit-def: $vgpr8_vgpr9
	s_branch .LBB9_1217
.LBB9_1192:
	s_mov_b32 s1, -1
	s_mov_b32 s2, 0
                                        ; implicit-def: $vgpr8_vgpr9
	s_branch .LBB9_1251
.LBB9_1193:
                                        ; implicit-def: $vgpr8_vgpr9
	s_branch .LBB9_1206
.LBB9_1194:
	s_mov_b32 s2, 0
                                        ; implicit-def: $vgpr8_vgpr9
	s_cbranch_execnz .LBB9_1247
	s_branch .LBB9_1250
.LBB9_1195:
	s_mov_b32 s0, -1
                                        ; implicit-def: $vgpr8_vgpr9
	s_branch .LBB9_1203
.LBB9_1196:
	s_cbranch_execnz .LBB9_1238
; %bb.1197:
	s_or_b32 s3, s3, exec_lo
	s_and_not1_b32 s8, s8, exec_lo
	s_or_b32 exec_lo, exec_lo, s2
	s_and_saveexec_b32 s2, s8
	s_delay_alu instid0(SALU_CYCLE_1)
	s_xor_b32 s2, exec_lo, s2
	s_cbranch_execnz .LBB9_1084
	s_branch .LBB9_1085
.LBB9_1198:
	s_mov_b32 s1, -1
	s_mov_b32 s2, 0
	s_branch .LBB9_1241
.LBB9_1199:
	s_mov_b32 s0, -1
                                        ; implicit-def: $vgpr8_vgpr9
.LBB9_1200:
	s_delay_alu instid0(SALU_CYCLE_1)
	s_and_not1_b32 vcc_lo, exec_lo, s0
	s_cbranch_vccnz .LBB9_1202
; %bb.1201:
	global_load_b32 v5, v[0:1], off
	s_waitcnt vmcnt(0)
	v_cvt_f64_f32_e32 v[8:9], v5
.LBB9_1202:
	s_mov_b32 s0, 0
.LBB9_1203:
	s_delay_alu instid0(SALU_CYCLE_1)
	s_and_not1_b32 vcc_lo, exec_lo, s0
	s_cbranch_vccnz .LBB9_1205
; %bb.1204:
	global_load_b32 v5, v[0:1], off
	s_waitcnt vmcnt(0)
	v_cvt_f32_f16_e32 v5, v5
	s_delay_alu instid0(VALU_DEP_1)
	v_cvt_f64_f32_e32 v[8:9], v5
.LBB9_1205:
	s_cbranch_execnz .LBB9_1216
.LBB9_1206:
	v_cmp_gt_i16_e32 vcc_lo, 6, v13
	s_cbranch_vccnz .LBB9_1209
; %bb.1207:
	v_cmp_lt_i16_e32 vcc_lo, 6, v13
	s_cbranch_vccz .LBB9_1210
; %bb.1208:
	global_load_b64 v[8:9], v[0:1], off
	s_mov_b32 s0, 0
	s_branch .LBB9_1211
.LBB9_1209:
	s_mov_b32 s0, -1
                                        ; implicit-def: $vgpr8_vgpr9
	s_branch .LBB9_1214
.LBB9_1210:
	s_mov_b32 s0, -1
                                        ; implicit-def: $vgpr8_vgpr9
.LBB9_1211:
	s_delay_alu instid0(SALU_CYCLE_1)
	s_and_not1_b32 vcc_lo, exec_lo, s0
	s_cbranch_vccnz .LBB9_1213
; %bb.1212:
	global_load_b32 v5, v[0:1], off
	s_waitcnt vmcnt(0)
	v_cvt_f64_f32_e32 v[8:9], v5
.LBB9_1213:
	s_mov_b32 s0, 0
.LBB9_1214:
	s_delay_alu instid0(SALU_CYCLE_1)
	s_and_not1_b32 vcc_lo, exec_lo, s0
	s_cbranch_vccnz .LBB9_1216
; %bb.1215:
	global_load_u16 v5, v[0:1], off
	s_waitcnt vmcnt(0)
	v_cvt_f32_f16_e32 v5, v5
	s_delay_alu instid0(VALU_DEP_1)
	v_cvt_f64_f32_e32 v[8:9], v5
.LBB9_1216:
	s_cbranch_execnz .LBB9_1235
.LBB9_1217:
	v_cmp_gt_i16_e32 vcc_lo, 2, v13
	s_cbranch_vccnz .LBB9_1221
; %bb.1218:
	v_cmp_gt_i16_e32 vcc_lo, 3, v13
	s_cbranch_vccnz .LBB9_1222
; %bb.1219:
	v_cmp_lt_i16_e32 vcc_lo, 3, v13
	s_cbranch_vccz .LBB9_1223
; %bb.1220:
	global_load_b64 v[8:9], v[0:1], off
	s_mov_b32 s0, 0
	s_waitcnt vmcnt(0)
	v_cvt_f64_i32_e32 v[11:12], v9
	v_cvt_f64_u32_e32 v[8:9], v8
	s_delay_alu instid0(VALU_DEP_2) | instskip(NEXT) | instid1(VALU_DEP_1)
	v_ldexp_f64 v[11:12], v[11:12], 32
	v_add_f64 v[8:9], v[11:12], v[8:9]
	s_branch .LBB9_1224
.LBB9_1221:
                                        ; implicit-def: $vgpr8_vgpr9
	s_branch .LBB9_1230
.LBB9_1222:
	s_mov_b32 s0, -1
                                        ; implicit-def: $vgpr8_vgpr9
	s_branch .LBB9_1227
.LBB9_1223:
	s_mov_b32 s0, -1
                                        ; implicit-def: $vgpr8_vgpr9
.LBB9_1224:
	s_delay_alu instid0(SALU_CYCLE_1)
	s_and_not1_b32 vcc_lo, exec_lo, s0
	s_cbranch_vccnz .LBB9_1226
; %bb.1225:
	global_load_b32 v5, v[0:1], off
	s_waitcnt vmcnt(0)
	v_cvt_f64_i32_e32 v[8:9], v5
.LBB9_1226:
	s_mov_b32 s0, 0
.LBB9_1227:
	s_delay_alu instid0(SALU_CYCLE_1)
	s_and_not1_b32 vcc_lo, exec_lo, s0
	s_cbranch_vccnz .LBB9_1229
; %bb.1228:
	global_load_i16 v5, v[0:1], off
	s_waitcnt vmcnt(0)
	v_cvt_f64_i32_e32 v[8:9], v5
.LBB9_1229:
	s_cbranch_execnz .LBB9_1235
.LBB9_1230:
	v_cmp_lt_i16_e32 vcc_lo, 0, v13
	s_mov_b32 s0, 0
	s_cbranch_vccz .LBB9_1232
; %bb.1231:
	global_load_i8 v5, v[0:1], off
	s_waitcnt vmcnt(0)
	v_cvt_f64_i32_e32 v[8:9], v5
	s_branch .LBB9_1233
.LBB9_1232:
	s_mov_b32 s0, -1
                                        ; implicit-def: $vgpr8_vgpr9
.LBB9_1233:
	s_delay_alu instid0(SALU_CYCLE_1)
	s_and_not1_b32 vcc_lo, exec_lo, s0
	s_cbranch_vccnz .LBB9_1235
; %bb.1234:
	global_load_u8 v0, v[0:1], off
	s_waitcnt vmcnt(0)
	v_cvt_f64_u32_e32 v[8:9], v0
.LBB9_1235:
	s_branch .LBB9_1306
.LBB9_1236:
	s_trap 2
	s_sendmsg_rtn_b32 s0, sendmsg(MSG_RTN_GET_DOORBELL)
	s_mov_b32 ttmp2, m0
	s_waitcnt lgkmcnt(0)
	s_and_b32 s0, s0, 0x3ff
	s_delay_alu instid0(SALU_CYCLE_1) | instskip(NEXT) | instid1(SALU_CYCLE_1)
	s_bitset1_b32 s0, 10
	s_mov_b32 m0, s0
	s_sendmsg sendmsg(MSG_INTERRUPT)
	s_mov_b32 m0, ttmp2
.LBB9_1237:                             ; =>This Inner Loop Header: Depth=1
	s_sethalt 5
	s_branch .LBB9_1237
.LBB9_1238:
	s_trap 2
	s_sendmsg_rtn_b32 s0, sendmsg(MSG_RTN_GET_DOORBELL)
	s_mov_b32 ttmp2, m0
	s_waitcnt lgkmcnt(0)
	s_and_b32 s0, s0, 0x3ff
	s_delay_alu instid0(SALU_CYCLE_1) | instskip(NEXT) | instid1(SALU_CYCLE_1)
	s_bitset1_b32 s0, 10
	s_mov_b32 m0, s0
	s_sendmsg sendmsg(MSG_INTERRUPT)
	s_mov_b32 m0, ttmp2
.LBB9_1239:                             ; =>This Inner Loop Header: Depth=1
	s_sethalt 5
	s_branch .LBB9_1239
.LBB9_1240:
	s_mov_b32 s2, -1
.LBB9_1241:
                                        ; implicit-def: $vgpr8_vgpr9
.LBB9_1242:
	s_and_b32 vcc_lo, exec_lo, s1
	s_cbranch_vccz .LBB9_1245
; %bb.1243:
	v_cmp_eq_u16_e32 vcc_lo, 44, v13
	s_cbranch_vccz .LBB9_1246
; %bb.1244:
	global_load_u8 v5, v[0:1], off
	s_mov_b32 s2, 0
	s_mov_b32 s0, -1
	s_waitcnt vmcnt(0)
	v_lshlrev_b32_e32 v8, 23, v5
	v_cmp_ne_u32_e32 vcc_lo, 0xff, v5
	s_delay_alu instid0(VALU_DEP_2) | instskip(NEXT) | instid1(VALU_DEP_1)
	v_cvt_f64_f32_e32 v[8:9], v8
	v_cndmask_b32_e32 v8, 0x20000000, v8, vcc_lo
	s_delay_alu instid0(VALU_DEP_2) | instskip(SKIP_1) | instid1(VALU_DEP_2)
	v_cndmask_b32_e32 v9, 0x7ff80000, v9, vcc_lo
	v_cmp_ne_u32_e32 vcc_lo, 0, v5
	v_cndmask_b32_e32 v9, 0x38000000, v9, vcc_lo
	s_delay_alu instid0(VALU_DEP_4)
	v_cndmask_b32_e32 v8, 0, v8, vcc_lo
.LBB9_1245:
	s_branch .LBB9_1250
.LBB9_1246:
	s_mov_b32 s2, -1
                                        ; implicit-def: $vgpr8_vgpr9
	s_branch .LBB9_1250
.LBB9_1247:
	v_cmp_eq_u16_e32 vcc_lo, 29, v13
	s_cbranch_vccz .LBB9_1249
; %bb.1248:
	global_load_b64 v[8:9], v[0:1], off
	s_mov_b32 s2, 0
	s_mov_b32 s0, -1
	s_mov_b32 s1, 0
	s_waitcnt vmcnt(0)
	v_cvt_f64_u32_e32 v[11:12], v9
	v_cvt_f64_u32_e32 v[8:9], v8
	s_delay_alu instid0(VALU_DEP_2) | instskip(NEXT) | instid1(VALU_DEP_1)
	v_ldexp_f64 v[11:12], v[11:12], 32
	v_add_f64 v[8:9], v[11:12], v[8:9]
	s_branch .LBB9_1251
.LBB9_1249:
	s_mov_b32 s2, -1
                                        ; implicit-def: $vgpr8_vgpr9
.LBB9_1250:
	s_mov_b32 s1, 0
.LBB9_1251:
	s_delay_alu instid0(SALU_CYCLE_1)
	s_and_b32 vcc_lo, exec_lo, s1
	s_cbranch_vccz .LBB9_1271
; %bb.1252:
	v_cmp_gt_i16_e32 vcc_lo, 27, v13
	s_cbranch_vccnz .LBB9_1255
; %bb.1253:
	v_cmp_lt_i16_e32 vcc_lo, 27, v13
	s_cbranch_vccz .LBB9_1256
; %bb.1254:
	global_load_b32 v5, v[0:1], off
	s_mov_b32 s0, 0
	s_waitcnt vmcnt(0)
	v_cvt_f64_u32_e32 v[8:9], v5
	s_branch .LBB9_1257
.LBB9_1255:
	s_mov_b32 s0, -1
                                        ; implicit-def: $vgpr8_vgpr9
	s_branch .LBB9_1260
.LBB9_1256:
	s_mov_b32 s0, -1
                                        ; implicit-def: $vgpr8_vgpr9
.LBB9_1257:
	s_delay_alu instid0(SALU_CYCLE_1)
	s_and_not1_b32 vcc_lo, exec_lo, s0
	s_cbranch_vccnz .LBB9_1259
; %bb.1258:
	global_load_u16 v5, v[0:1], off
	s_waitcnt vmcnt(0)
	v_cvt_f64_u32_e32 v[8:9], v5
.LBB9_1259:
	s_mov_b32 s0, 0
.LBB9_1260:
	s_delay_alu instid0(SALU_CYCLE_1)
	s_and_not1_b32 vcc_lo, exec_lo, s0
	s_cbranch_vccnz .LBB9_1270
; %bb.1261:
	global_load_u8 v5, v[0:1], off
	s_mov_b32 s11, 0
	s_mov_b32 s12, exec_lo
                                        ; implicit-def: $sgpr0_sgpr1
	s_waitcnt vmcnt(0)
	v_cmpx_lt_i16_e32 0x7f, v5
	s_xor_b32 s12, exec_lo, s12
	s_cbranch_execz .LBB9_1265
; %bb.1262:
	s_mov_b32 s13, -1
	s_mov_b32 s11, exec_lo
                                        ; implicit-def: $sgpr0_sgpr1
	v_cmpx_eq_u16_e32 0x80, v5
; %bb.1263:
	s_mov_b32 s1, 0x7ff80000
	s_brev_b32 s0, 4
	s_xor_b32 s13, exec_lo, -1
; %bb.1264:
	s_or_b32 exec_lo, exec_lo, s11
	s_delay_alu instid0(SALU_CYCLE_1)
	s_and_b32 s11, s13, exec_lo
.LBB9_1265:
	s_or_saveexec_b32 s12, s12
	v_dual_mov_b32 v9, s1 :: v_dual_mov_b32 v8, s0
	s_xor_b32 exec_lo, exec_lo, s12
; %bb.1266:
	v_cmp_ne_u16_e32 vcc_lo, 0, v5
	v_mov_b32_e32 v8, 0
	v_mov_b32_e32 v9, 0
	s_and_not1_b32 s0, s11, exec_lo
	s_and_b32 s1, vcc_lo, exec_lo
	s_delay_alu instid0(SALU_CYCLE_1)
	s_or_b32 s11, s0, s1
; %bb.1267:
	s_or_b32 exec_lo, exec_lo, s12
	s_and_saveexec_b32 s0, s11
	s_cbranch_execz .LBB9_1269
; %bb.1268:
	v_and_b32_e32 v8, 0xffff, v5
	v_lshlrev_b32_e32 v5, 24, v5
	s_delay_alu instid0(VALU_DEP_2) | instskip(NEXT) | instid1(VALU_DEP_2)
	v_and_b32_e32 v9, 7, v8
	v_and_b32_e32 v5, 0x80000000, v5
	s_delay_alu instid0(VALU_DEP_2) | instskip(NEXT) | instid1(VALU_DEP_1)
	v_clz_i32_u32_e32 v11, v9
	v_min_u32_e32 v11, 32, v11
	s_delay_alu instid0(VALU_DEP_1) | instskip(SKIP_1) | instid1(VALU_DEP_2)
	v_subrev_nc_u32_e32 v12, 28, v11
	v_sub_nc_u32_e32 v11, 29, v11
	v_lshlrev_b32_e32 v12, v12, v8
	v_bfe_u32 v8, v8, 3, 4
	s_delay_alu instid0(VALU_DEP_2) | instskip(NEXT) | instid1(VALU_DEP_2)
	v_and_b32_e32 v12, 7, v12
	v_cmp_eq_u32_e32 vcc_lo, 0, v8
	s_delay_alu instid0(VALU_DEP_2) | instskip(NEXT) | instid1(VALU_DEP_1)
	v_dual_cndmask_b32 v8, v8, v11 :: v_dual_cndmask_b32 v9, v9, v12
	v_lshl_add_u32 v8, v8, 23, 0x3b800000
	s_delay_alu instid0(VALU_DEP_2) | instskip(NEXT) | instid1(VALU_DEP_1)
	v_lshlrev_b32_e32 v9, 20, v9
	v_or3_b32 v5, v5, v8, v9
	s_delay_alu instid0(VALU_DEP_1)
	v_cvt_f64_f32_e32 v[8:9], v5
.LBB9_1269:
	s_or_b32 exec_lo, exec_lo, s0
.LBB9_1270:
	s_mov_b32 s0, -1
.LBB9_1271:
	s_branch .LBB9_1301
.LBB9_1272:
	v_cmp_lt_i16_e32 vcc_lo, 22, v13
	s_cbranch_vccz .LBB9_1284
; %bb.1273:
	v_cmp_gt_i16_e32 vcc_lo, 24, v13
	s_cbranch_vccnz .LBB9_1285
; %bb.1274:
	v_cmp_lt_i16_e32 vcc_lo, 24, v13
	s_cbranch_vccz .LBB9_1286
; %bb.1275:
	global_load_u8 v5, v[0:1], off
	s_mov_b32 s11, exec_lo
                                        ; implicit-def: $sgpr0_sgpr1
	s_waitcnt vmcnt(0)
	v_cmpx_lt_i16_e32 0x7f, v5
	s_xor_b32 s11, exec_lo, s11
	s_cbranch_execz .LBB9_1279
; %bb.1276:
	s_mov_b32 s12, -1
	s_mov_b32 s10, exec_lo
                                        ; implicit-def: $sgpr0_sgpr1
	v_cmpx_eq_u16_e32 0x80, v5
; %bb.1277:
	s_mov_b32 s1, 0x7ff80000
	s_brev_b32 s0, 4
	s_xor_b32 s12, exec_lo, -1
; %bb.1278:
	s_or_b32 exec_lo, exec_lo, s10
	s_delay_alu instid0(SALU_CYCLE_1)
	s_and_b32 s10, s12, exec_lo
.LBB9_1279:
	s_or_saveexec_b32 s11, s11
	v_dual_mov_b32 v9, s1 :: v_dual_mov_b32 v8, s0
	s_xor_b32 exec_lo, exec_lo, s11
; %bb.1280:
	v_cmp_ne_u16_e32 vcc_lo, 0, v5
	v_mov_b32_e32 v8, 0
	v_mov_b32_e32 v9, 0
	s_and_not1_b32 s0, s10, exec_lo
	s_and_b32 s1, vcc_lo, exec_lo
	s_delay_alu instid0(SALU_CYCLE_1)
	s_or_b32 s10, s0, s1
; %bb.1281:
	s_or_b32 exec_lo, exec_lo, s11
	s_and_saveexec_b32 s0, s10
	s_cbranch_execz .LBB9_1283
; %bb.1282:
	v_and_b32_e32 v8, 0xffff, v5
	v_lshlrev_b32_e32 v5, 24, v5
	s_delay_alu instid0(VALU_DEP_2) | instskip(NEXT) | instid1(VALU_DEP_2)
	v_and_b32_e32 v9, 3, v8
	v_and_b32_e32 v5, 0x80000000, v5
	s_delay_alu instid0(VALU_DEP_2) | instskip(NEXT) | instid1(VALU_DEP_1)
	v_clz_i32_u32_e32 v11, v9
	v_min_u32_e32 v11, 32, v11
	s_delay_alu instid0(VALU_DEP_1) | instskip(SKIP_1) | instid1(VALU_DEP_2)
	v_subrev_nc_u32_e32 v12, 29, v11
	v_sub_nc_u32_e32 v11, 30, v11
	v_lshlrev_b32_e32 v12, v12, v8
	v_bfe_u32 v8, v8, 2, 5
	s_delay_alu instid0(VALU_DEP_2) | instskip(NEXT) | instid1(VALU_DEP_2)
	v_and_b32_e32 v12, 3, v12
	v_cmp_eq_u32_e32 vcc_lo, 0, v8
	s_delay_alu instid0(VALU_DEP_2) | instskip(NEXT) | instid1(VALU_DEP_1)
	v_dual_cndmask_b32 v8, v8, v11 :: v_dual_cndmask_b32 v9, v9, v12
	v_lshl_add_u32 v8, v8, 23, 0x37800000
	s_delay_alu instid0(VALU_DEP_2) | instskip(NEXT) | instid1(VALU_DEP_1)
	v_lshlrev_b32_e32 v9, 21, v9
	v_or3_b32 v5, v5, v8, v9
	s_delay_alu instid0(VALU_DEP_1)
	v_cvt_f64_f32_e32 v[8:9], v5
.LBB9_1283:
	s_or_b32 exec_lo, exec_lo, s0
	s_mov_b32 s0, 0
	s_branch .LBB9_1287
.LBB9_1284:
                                        ; implicit-def: $vgpr8_vgpr9
	s_mov_b32 s10, 0
	s_branch .LBB9_1293
.LBB9_1285:
	s_mov_b32 s0, -1
                                        ; implicit-def: $vgpr8_vgpr9
	s_branch .LBB9_1290
.LBB9_1286:
	s_mov_b32 s0, -1
                                        ; implicit-def: $vgpr8_vgpr9
.LBB9_1287:
	s_delay_alu instid0(SALU_CYCLE_1)
	s_and_b32 vcc_lo, exec_lo, s0
	s_cbranch_vccz .LBB9_1289
; %bb.1288:
	global_load_u8 v5, v[0:1], off
	s_waitcnt vmcnt(0)
	v_lshlrev_b32_e32 v5, 24, v5
	s_delay_alu instid0(VALU_DEP_1) | instskip(NEXT) | instid1(VALU_DEP_1)
	v_and_b32_e32 v8, 0x7f000000, v5
	v_clz_i32_u32_e32 v9, v8
	v_cmp_ne_u32_e32 vcc_lo, 0, v8
	v_add_nc_u32_e32 v12, 0x1000000, v8
	s_delay_alu instid0(VALU_DEP_3) | instskip(NEXT) | instid1(VALU_DEP_1)
	v_min_u32_e32 v9, 32, v9
	v_sub_nc_u32_e64 v9, v9, 4 clamp
	s_delay_alu instid0(VALU_DEP_1) | instskip(SKIP_1) | instid1(VALU_DEP_2)
	v_lshlrev_b32_e32 v11, v9, v8
	v_lshlrev_b32_e32 v9, 23, v9
	v_lshrrev_b32_e32 v11, 4, v11
	s_delay_alu instid0(VALU_DEP_1) | instskip(SKIP_1) | instid1(VALU_DEP_2)
	v_sub_nc_u32_e32 v9, v11, v9
	v_ashrrev_i32_e32 v11, 8, v12
	v_add_nc_u32_e32 v9, 0x3c000000, v9
	s_delay_alu instid0(VALU_DEP_1) | instskip(NEXT) | instid1(VALU_DEP_1)
	v_and_or_b32 v9, 0x7f800000, v11, v9
	v_cndmask_b32_e32 v8, 0, v9, vcc_lo
	s_delay_alu instid0(VALU_DEP_1) | instskip(NEXT) | instid1(VALU_DEP_1)
	v_and_or_b32 v5, 0x80000000, v5, v8
	v_cvt_f64_f32_e32 v[8:9], v5
.LBB9_1289:
	s_mov_b32 s0, 0
.LBB9_1290:
	s_delay_alu instid0(SALU_CYCLE_1)
	s_and_not1_b32 vcc_lo, exec_lo, s0
	s_cbranch_vccnz .LBB9_1292
; %bb.1291:
	global_load_u8 v5, v[0:1], off
	s_waitcnt vmcnt(0)
	v_lshlrev_b32_e32 v8, 25, v5
	v_lshlrev_b16 v5, 8, v5
	s_delay_alu instid0(VALU_DEP_1) | instskip(SKIP_1) | instid1(VALU_DEP_2)
	v_and_or_b32 v11, 0x7f00, v5, 0.5
	v_bfe_i32 v5, v5, 0, 16
	v_add_f32_e32 v11, -0.5, v11
	v_lshrrev_b32_e32 v9, 4, v8
	v_cmp_gt_u32_e32 vcc_lo, 0x8000000, v8
	s_delay_alu instid0(VALU_DEP_2) | instskip(NEXT) | instid1(VALU_DEP_1)
	v_or_b32_e32 v9, 0x70000000, v9
	v_mul_f32_e32 v9, 0x7800000, v9
	s_delay_alu instid0(VALU_DEP_1) | instskip(NEXT) | instid1(VALU_DEP_1)
	v_cndmask_b32_e32 v8, v9, v11, vcc_lo
	v_and_or_b32 v5, 0x80000000, v5, v8
	s_delay_alu instid0(VALU_DEP_1)
	v_cvt_f64_f32_e32 v[8:9], v5
.LBB9_1292:
	s_mov_b32 s0, -1
	s_mov_b32 s10, 0
	s_cbranch_execnz .LBB9_1301
.LBB9_1293:
	v_cmp_lt_i16_e32 vcc_lo, 14, v13
	s_cbranch_vccz .LBB9_1296
; %bb.1294:
	v_cmp_eq_u16_e32 vcc_lo, 15, v13
	s_cbranch_vccz .LBB9_1297
; %bb.1295:
	global_load_u16 v5, v[0:1], off
	s_mov_b32 s2, 0
	s_mov_b32 s0, -1
	s_waitcnt vmcnt(0)
	v_lshlrev_b32_e32 v5, 16, v5
	s_delay_alu instid0(VALU_DEP_1)
	v_cvt_f64_f32_e32 v[8:9], v5
	s_branch .LBB9_1298
.LBB9_1296:
	s_mov_b32 s1, -1
                                        ; implicit-def: $vgpr8_vgpr9
	s_branch .LBB9_1299
.LBB9_1297:
	s_mov_b32 s2, -1
                                        ; implicit-def: $vgpr8_vgpr9
.LBB9_1298:
	s_mov_b32 s1, 0
.LBB9_1299:
	s_delay_alu instid0(SALU_CYCLE_1)
	s_and_b32 vcc_lo, exec_lo, s1
	s_cbranch_vccz .LBB9_1301
; %bb.1300:
	v_cmp_ne_u16_e64 s2, 11, v13
	s_mov_b32 s10, -1
                                        ; implicit-def: $vgpr8_vgpr9
.LBB9_1301:
	s_delay_alu instid0(VALU_DEP_1)
	s_and_b32 vcc_lo, exec_lo, s2
	s_mov_b32 s2, s8
	s_cbranch_vccnz .LBB9_1337
; %bb.1302:
	s_and_not1_b32 vcc_lo, exec_lo, s10
	s_cbranch_vccnz .LBB9_1304
.LBB9_1303:
	global_load_u8 v5, v[0:1], off
	v_mov_b32_e32 v8, 0
	s_mov_b32 s0, -1
	s_waitcnt vmcnt(0)
	v_cmp_ne_u16_e32 vcc_lo, 0, v5
	v_cndmask_b32_e64 v9, 0, 0x3ff00000, vcc_lo
.LBB9_1304:
.LBB9_1305:
	s_and_not1_b32 vcc_lo, exec_lo, s0
	s_cbranch_vccnz .LBB9_2186
.LBB9_1306:
	s_waitcnt vmcnt(0)
	s_delay_alu instid0(VALU_DEP_1) | instskip(NEXT) | instid1(VALU_DEP_1)
	v_cmp_ge_f64_e64 s0, 0x40200000, |v[8:9]|
                                        ; implicit-def: $vgpr0_vgpr1
	s_and_saveexec_b32 s1, s0
	s_delay_alu instid0(SALU_CYCLE_1)
	s_xor_b32 s0, exec_lo, s1
	s_cbranch_execz .LBB9_1312
; %bb.1307:
	v_fma_f64 v[0:1], |v[8:9]|, 0.5, -2.0
	s_mov_b32 s10, 0xc38a0576
	s_mov_b32 s11, 0xbc7857d0
	s_mov_b32 s13, 0x3c499f2a
	s_mov_b32 s12, 0xc3c4014
	s_mov_b32 s1, exec_lo
	s_delay_alu instid0(VALU_DEP_1) | instskip(SKIP_3) | instid1(VALU_DEP_1)
	v_fma_f64 v[11:12], v[0:1], s[12:13], s[10:11]
	s_mov_b32 s13, 0xbc499f2a
	s_mov_b32 s10, 0xe593bfac
	;; [unrolled: 1-line block ×3, first 2 shown]
	v_fma_f64 v[15:16], v[0:1], v[11:12], s[12:13]
	s_delay_alu instid0(VALU_DEP_1) | instskip(SKIP_2) | instid1(VALU_DEP_1)
	v_add_f64 v[15:16], v[15:16], s[10:11]
	s_mov_b32 s10, 0x7e0d1573
	s_mov_b32 s11, 0xbcd3eaaa
	v_fma_f64 v[11:12], v[0:1], v[15:16], -v[11:12]
	s_delay_alu instid0(VALU_DEP_1) | instskip(SKIP_2) | instid1(VALU_DEP_1)
	v_add_f64 v[11:12], v[11:12], s[10:11]
	s_mov_b32 s10, 0x615290c
	s_mov_b32 s11, 0x3d011d7f
	v_fma_f64 v[15:16], v[0:1], v[11:12], -v[15:16]
	;; [unrolled: 5-line block ×26, first 2 shown]
	s_delay_alu instid0(VALU_DEP_1) | instskip(NEXT) | instid1(VALU_DEP_1)
	v_add_f64 v[0:1], v[0:1], s[10:11]
	v_add_f64 v[11:12], v[0:1], -v[15:16]
                                        ; implicit-def: $vgpr0_vgpr1
	v_cmpx_ngt_f64_e32 0, v[8:9]
	s_xor_b32 s1, exec_lo, s1
	s_cbranch_execz .LBB9_1309
; %bb.1308:
	s_mov_b32 s10, 0x652b82fe
	s_mov_b32 s11, 0x3ff71547
	;; [unrolled: 1-line block ×3, first 2 shown]
	v_mul_f64 v[0:1], |v[8:9]|, s[10:11]
	s_mov_b32 s10, 0xfefa39ef
	s_mov_b32 s11, 0xbfe62e42
	;; [unrolled: 1-line block ×3, first 2 shown]
	s_delay_alu instid0(VALU_DEP_3) | instskip(SKIP_1) | instid1(VALU_DEP_3)
	v_mul_f64 v[11:12], v[11:12], 0.5
	v_cmp_nlt_f64_e64 vcc_lo, 0x40900000, |v[8:9]|
	v_rndne_f64_e32 v[0:1], v[0:1]
	s_delay_alu instid0(VALU_DEP_1) | instskip(SKIP_4) | instid1(VALU_DEP_3)
	v_fma_f64 v[15:16], v[0:1], s[10:11], |v[8:9]|
	s_mov_b32 s10, 0x3b39803f
	s_mov_b32 s11, 0xbc7abc9e
	v_cvt_i32_f64_e32 v5, v[0:1]
	v_mul_f64 v[8:9], |v[8:9]|, v[11:12]
                                        ; implicit-def: $vgpr11_vgpr12
	v_fma_f64 v[15:16], v[0:1], s[10:11], v[15:16]
	s_mov_b32 s10, 0xfca7ab0c
	s_mov_b32 s11, 0x3e928af3
	s_delay_alu instid0(VALU_DEP_1) | instid1(SALU_CYCLE_1)
	v_fma_f64 v[17:18], v[15:16], s[12:13], s[10:11]
	s_mov_b32 s10, 0x623fde64
	s_mov_b32 s11, 0x3ec71dee
	s_delay_alu instid0(VALU_DEP_1) | instid1(SALU_CYCLE_1)
	;; [unrolled: 4-line block ×9, first 2 shown]
	v_fma_f64 v[17:18], v[15:16], v[17:18], s[10:11]
	s_delay_alu instid0(VALU_DEP_1) | instskip(NEXT) | instid1(VALU_DEP_1)
	v_fma_f64 v[17:18], v[15:16], v[17:18], 1.0
	v_fma_f64 v[0:1], v[15:16], v[17:18], 1.0
	s_delay_alu instid0(VALU_DEP_1) | instskip(NEXT) | instid1(VALU_DEP_1)
	v_ldexp_f64 v[0:1], v[0:1], v5
	v_cndmask_b32_e32 v1, 0x7ff00000, v1, vcc_lo
	s_delay_alu instid0(VALU_DEP_2) | instskip(NEXT) | instid1(VALU_DEP_1)
	v_cndmask_b32_e32 v0, 0, v0, vcc_lo
	v_mul_f64 v[0:1], v[0:1], v[8:9]
                                        ; implicit-def: $vgpr8_vgpr9
.LBB9_1309:
	s_and_not1_saveexec_b32 s1, s1
	s_cbranch_execz .LBB9_1311
; %bb.1310:
	s_mov_b32 s10, 0x652b82fe
	s_mov_b32 s11, 0x3ff71547
	;; [unrolled: 1-line block ×3, first 2 shown]
	v_mul_f64 v[0:1], |v[8:9]|, s[10:11]
	s_mov_b32 s10, 0xfefa39ef
	s_mov_b32 s11, 0xbfe62e42
	;; [unrolled: 1-line block ×3, first 2 shown]
	s_delay_alu instid0(VALU_DEP_3) | instskip(SKIP_1) | instid1(VALU_DEP_3)
	v_mul_f64 v[11:12], v[11:12], -0.5
	v_cmp_nlt_f64_e64 vcc_lo, 0x40900000, |v[8:9]|
	v_rndne_f64_e32 v[0:1], v[0:1]
	s_delay_alu instid0(VALU_DEP_1) | instskip(SKIP_4) | instid1(VALU_DEP_3)
	v_fma_f64 v[15:16], v[0:1], s[10:11], |v[8:9]|
	s_mov_b32 s10, 0x3b39803f
	s_mov_b32 s11, 0xbc7abc9e
	v_cvt_i32_f64_e32 v5, v[0:1]
	v_mul_f64 v[8:9], |v[8:9]|, v[11:12]
	v_fma_f64 v[15:16], v[0:1], s[10:11], v[15:16]
	s_mov_b32 s10, 0xfca7ab0c
	s_mov_b32 s11, 0x3e928af3
	s_delay_alu instid0(VALU_DEP_1) | instid1(SALU_CYCLE_1)
	v_fma_f64 v[17:18], v[15:16], s[12:13], s[10:11]
	s_mov_b32 s10, 0x623fde64
	s_mov_b32 s11, 0x3ec71dee
	s_delay_alu instid0(VALU_DEP_1) | instid1(SALU_CYCLE_1)
	;; [unrolled: 4-line block ×9, first 2 shown]
	v_fma_f64 v[17:18], v[15:16], v[17:18], s[10:11]
	s_delay_alu instid0(VALU_DEP_1) | instskip(NEXT) | instid1(VALU_DEP_1)
	v_fma_f64 v[17:18], v[15:16], v[17:18], 1.0
	v_fma_f64 v[0:1], v[15:16], v[17:18], 1.0
	s_delay_alu instid0(VALU_DEP_1) | instskip(NEXT) | instid1(VALU_DEP_1)
	v_ldexp_f64 v[0:1], v[0:1], v5
	v_cndmask_b32_e32 v1, 0x7ff00000, v1, vcc_lo
	s_delay_alu instid0(VALU_DEP_2) | instskip(NEXT) | instid1(VALU_DEP_1)
	v_cndmask_b32_e32 v0, 0, v0, vcc_lo
	v_mul_f64 v[0:1], v[0:1], v[8:9]
.LBB9_1311:
	s_or_b32 exec_lo, exec_lo, s1
                                        ; implicit-def: $vgpr8_vgpr9
.LBB9_1312:
	s_and_not1_saveexec_b32 s0, s0
	s_cbranch_execz .LBB9_1318
; %bb.1313:
	v_dual_mov_b32 v0, v8 :: v_dual_and_b32 v1, 0x7fffffff, v9
	s_mov_b32 s10, 0xea87b950
	s_mov_b32 s11, 0x3c545b8a
	s_mov_b32 s13, 0x3c61556d
	s_mov_b32 s12, 0xb352e8e6
	v_div_scale_f64 v[11:12], null, v[0:1], v[0:1], 0x40400000
	v_div_scale_f64 v[0:1], vcc_lo, 0x40400000, v[0:1], 0x40400000
	s_mov_b32 s14, 0x2e9e5443
	s_mov_b32 s15, 0xbe90dbfd
	s_mov_b32 s1, exec_lo
	s_delay_alu instid0(VALU_DEP_2) | instskip(SKIP_2) | instid1(VALU_DEP_1)
	v_rcp_f64_e32 v[15:16], v[11:12]
	s_waitcnt_depctr 0xfff
	v_fma_f64 v[17:18], -v[11:12], v[15:16], 1.0
	v_fma_f64 v[15:16], v[15:16], v[17:18], v[15:16]
	s_delay_alu instid0(VALU_DEP_1) | instskip(NEXT) | instid1(VALU_DEP_1)
	v_fma_f64 v[17:18], -v[11:12], v[15:16], 1.0
	v_fma_f64 v[15:16], v[15:16], v[17:18], v[15:16]
	s_delay_alu instid0(VALU_DEP_1) | instskip(NEXT) | instid1(VALU_DEP_1)
	v_mul_f64 v[17:18], v[0:1], v[15:16]
	v_fma_f64 v[0:1], -v[11:12], v[17:18], v[0:1]
	s_delay_alu instid0(VALU_DEP_1) | instskip(NEXT) | instid1(VALU_DEP_1)
	v_div_fmas_f64 v[0:1], v[0:1], v[15:16], v[17:18]
	v_div_fixup_f64 v[0:1], v[0:1], |v[8:9]|, 0x40400000
	s_delay_alu instid0(VALU_DEP_1) | instskip(NEXT) | instid1(VALU_DEP_1)
	v_add_f64 v[0:1], v[0:1], -2.0
	v_fma_f64 v[11:12], v[0:1], s[12:13], s[10:11]
	s_mov_b32 s13, 0xbc61556d
	s_mov_b32 s10, 0xb2532277
	;; [unrolled: 1-line block ×3, first 2 shown]
	s_delay_alu instid0(VALU_DEP_1) | instskip(SKIP_2) | instid1(VALU_DEP_1)
	v_fma_f64 v[15:16], v[0:1], v[11:12], s[12:13]
	s_mov_b32 s12, 0x9ad53528
	s_mov_b32 s13, 0xbe30790b
	v_add_f64 v[15:16], v[15:16], s[10:11]
	s_mov_b32 s10, 0x9c773320
	s_mov_b32 s11, 0xbc82806c
	s_delay_alu instid0(VALU_DEP_1) | instskip(NEXT) | instid1(VALU_DEP_1)
	v_fma_f64 v[11:12], v[0:1], v[15:16], -v[11:12]
	v_add_f64 v[11:12], v[11:12], s[10:11]
	s_mov_b32 s10, 0xfceb588a
	s_mov_b32 s11, 0x3cb55915
	s_delay_alu instid0(VALU_DEP_1) | instskip(NEXT) | instid1(VALU_DEP_1)
	v_fma_f64 v[15:16], v[0:1], v[11:12], -v[15:16]
	v_add_f64 v[15:16], v[15:16], s[10:11]
	s_mov_b32 s10, 0x5f04a2d1
	s_mov_b32 s11, 0x3cb7d68e
	s_delay_alu instid0(VALU_DEP_1) | instskip(NEXT) | instid1(VALU_DEP_1)
	v_fma_f64 v[11:12], v[0:1], v[15:16], -v[11:12]
	v_add_f64 v[11:12], v[11:12], s[10:11]
	s_mov_b32 s10, 0x8bc4d22a
	s_mov_b32 s11, 0xbce0efcd
	s_delay_alu instid0(VALU_DEP_1) | instskip(NEXT) | instid1(VALU_DEP_1)
	v_fma_f64 v[15:16], v[0:1], v[11:12], -v[15:16]
	v_add_f64 v[15:16], v[15:16], s[10:11]
	s_mov_b32 s10, 0x138afbc7
	s_mov_b32 s11, 0xbcf12db5
	s_delay_alu instid0(VALU_DEP_1) | instskip(NEXT) | instid1(VALU_DEP_1)
	v_fma_f64 v[11:12], v[0:1], v[15:16], -v[11:12]
	v_add_f64 v[11:12], v[11:12], s[10:11]
	s_mov_b32 s10, 0x762d31e8
	s_mov_b32 s11, 0x3d0776e1
	s_delay_alu instid0(VALU_DEP_1) | instskip(NEXT) | instid1(VALU_DEP_1)
	v_fma_f64 v[15:16], v[0:1], v[11:12], -v[15:16]
	v_add_f64 v[15:16], v[15:16], s[10:11]
	s_mov_b32 s10, 0x26b3281e
	s_mov_b32 s11, 0x3d280d3c
	s_delay_alu instid0(VALU_DEP_1) | instskip(NEXT) | instid1(VALU_DEP_1)
	v_fma_f64 v[11:12], v[0:1], v[15:16], -v[11:12]
	v_add_f64 v[11:12], v[11:12], s[10:11]
	s_mov_b32 s10, 0x2e6d22a0
	s_mov_b32 s11, 0xbd17a948
	s_delay_alu instid0(VALU_DEP_1) | instskip(NEXT) | instid1(VALU_DEP_1)
	v_fma_f64 v[15:16], v[0:1], v[11:12], -v[15:16]
	v_add_f64 v[15:16], v[15:16], s[10:11]
	s_mov_b32 s10, 0x8e73e255
	s_mov_b32 s11, 0xbd5cbc45
	s_delay_alu instid0(VALU_DEP_1) | instskip(NEXT) | instid1(VALU_DEP_1)
	v_fma_f64 v[11:12], v[0:1], v[15:16], -v[11:12]
	v_add_f64 v[11:12], v[11:12], s[10:11]
	s_mov_b32 s10, 0x76ab493
	s_mov_b32 s11, 0xbd6953e1
	s_delay_alu instid0(VALU_DEP_1) | instskip(NEXT) | instid1(VALU_DEP_1)
	v_fma_f64 v[15:16], v[0:1], v[11:12], -v[15:16]
	v_add_f64 v[15:16], v[15:16], s[10:11]
	s_mov_b32 s10, 0xf6439fa3
	s_mov_b32 s11, 0x3d81e7d3
	s_delay_alu instid0(VALU_DEP_1) | instskip(NEXT) | instid1(VALU_DEP_1)
	v_fma_f64 v[11:12], v[0:1], v[15:16], -v[11:12]
	v_add_f64 v[11:12], v[11:12], s[10:11]
	s_mov_b32 s10, 0x653c457b
	s_mov_b32 s11, 0x3daf101f
	s_delay_alu instid0(VALU_DEP_1) | instskip(NEXT) | instid1(VALU_DEP_1)
	v_fma_f64 v[15:16], v[0:1], v[11:12], -v[15:16]
	v_add_f64 v[15:16], v[15:16], s[10:11]
	s_mov_b32 s10, 0xf1587865
	s_mov_b32 s11, 0x3dc1e1a1
	s_delay_alu instid0(VALU_DEP_1) | instskip(NEXT) | instid1(VALU_DEP_1)
	v_fma_f64 v[11:12], v[0:1], v[15:16], -v[11:12]
	v_add_f64 v[11:12], v[11:12], s[10:11]
	s_mov_b32 s10, 0xd4504c0c
	s_mov_b32 s11, 0xbdb4dcf9
	s_delay_alu instid0(VALU_DEP_1) | instskip(NEXT) | instid1(VALU_DEP_1)
	v_fma_f64 v[15:16], v[0:1], v[11:12], -v[15:16]
	v_add_f64 v[15:16], v[15:16], s[10:11]
	s_mov_b32 s10, 0x5423dd80
	s_mov_b32 s11, 0xbe0334ca
	s_delay_alu instid0(VALU_DEP_1) | instskip(NEXT) | instid1(VALU_DEP_1)
	v_fma_f64 v[11:12], v[0:1], v[15:16], -v[11:12]
	v_add_f64 v[11:12], v[11:12], s[10:11]
	s_mov_b32 s10, 0x652b82fe
	s_mov_b32 s11, 0x3ff71547
	s_delay_alu instid0(SALU_CYCLE_1) | instskip(SKIP_2) | instid1(VALU_DEP_2)
	v_mul_f64 v[17:18], |v[8:9]|, s[10:11]
	s_mov_b32 s10, 0xfefa39ef
	s_mov_b32 s11, 0xbfe62e42
	v_fma_f64 v[15:16], v[0:1], v[11:12], -v[15:16]
	s_delay_alu instid0(VALU_DEP_2) | instskip(NEXT) | instid1(VALU_DEP_2)
	v_rndne_f64_e32 v[17:18], v[17:18]
	v_add_f64 v[15:16], v[15:16], s[12:13]
	s_mov_b32 s12, 0x94bb46c1
	s_mov_b32 s13, 0xbe5c4153
	s_delay_alu instid0(VALU_DEP_2) | instskip(SKIP_3) | instid1(VALU_DEP_3)
	v_fma_f64 v[19:20], v[17:18], s[10:11], |v[8:9]|
	s_mov_b32 s10, 0x3b39803f
	s_mov_b32 s11, 0xbc7abc9e
	v_cvt_i32_f64_e32 v5, v[17:18]
	v_fma_f64 v[11:12], v[0:1], v[15:16], -v[11:12]
	s_delay_alu instid0(VALU_DEP_3) | instskip(SKIP_2) | instid1(VALU_DEP_2)
	v_fma_f64 v[19:20], v[17:18], s[10:11], v[19:20]
	s_mov_b32 s10, 0xfca7ab0c
	s_mov_b32 s11, 0x3e928af3
	v_add_f64 v[11:12], v[11:12], s[12:13]
	s_mov_b32 s12, 0x6a5dcb37
	s_mov_b32 s13, 0x3e5ade15
	s_delay_alu instid0(VALU_DEP_2) | instid1(SALU_CYCLE_1)
	v_fma_f64 v[21:22], v[19:20], s[12:13], s[10:11]
	s_mov_b32 s10, 0x623fde64
	s_mov_b32 s11, 0x3ec71dee
	;; [unrolled: 1-line block ×4, first 2 shown]
	s_delay_alu instid0(VALU_DEP_2) | instskip(NEXT) | instid1(VALU_DEP_2)
	v_fma_f64 v[15:16], v[0:1], v[11:12], -v[15:16]
	v_fma_f64 v[21:22], v[19:20], v[21:22], s[10:11]
	s_mov_b32 s10, 0x7c89e6b0
	s_mov_b32 s11, 0x3efa0199
	s_delay_alu instid0(VALU_DEP_2) | instskip(NEXT) | instid1(VALU_DEP_2)
	v_add_f64 v[15:16], v[15:16], s[14:15]
	v_fma_f64 v[21:22], v[19:20], v[21:22], s[10:11]
	s_mov_b32 s10, 0x14761f6e
	s_mov_b32 s11, 0x3f2a01a0
	s_delay_alu instid0(VALU_DEP_2) | instskip(NEXT) | instid1(VALU_DEP_2)
	v_fma_f64 v[11:12], v[0:1], v[15:16], -v[11:12]
	v_fma_f64 v[21:22], v[19:20], v[21:22], s[10:11]
	s_mov_b32 s10, 0x1852b7b0
	s_mov_b32 s11, 0x3f56c16c
	s_delay_alu instid0(VALU_DEP_2) | instskip(SKIP_2) | instid1(VALU_DEP_2)
	v_add_f64 v[11:12], v[11:12], s[12:13]
	s_mov_b32 s12, 0x804aa9a6
	s_mov_b32 s13, 0xbf1cfd7f
	v_fma_f64 v[21:22], v[19:20], v[21:22], s[10:11]
	s_mov_b32 s10, 0x11122322
	s_mov_b32 s11, 0x3f811111
	s_delay_alu instid0(VALU_DEP_2) | instskip(NEXT) | instid1(VALU_DEP_2)
	v_fma_f64 v[15:16], v[0:1], v[11:12], -v[15:16]
	v_fma_f64 v[21:22], v[19:20], v[21:22], s[10:11]
	s_mov_b32 s10, 0x555502a1
	s_mov_b32 s11, 0x3fa55555
	s_delay_alu instid0(VALU_DEP_2) | instskip(SKIP_2) | instid1(VALU_DEP_2)
	v_add_f64 v[15:16], v[15:16], s[12:13]
	s_mov_b32 s12, 0x53fcdb4c
	s_mov_b32 s13, 0xbf83fda0
	v_fma_f64 v[21:22], v[19:20], v[21:22], s[10:11]
	s_mov_b32 s10, 0x55555511
	s_mov_b32 s11, 0x3fc55555
	s_delay_alu instid0(VALU_DEP_2) | instskip(NEXT) | instid1(VALU_DEP_2)
	v_fma_f64 v[11:12], v[0:1], v[15:16], -v[11:12]
	v_fma_f64 v[21:22], v[19:20], v[21:22], s[10:11]
	s_mov_b32 s10, 11
	s_mov_b32 s11, 0x3fe00000
	s_delay_alu instid0(VALU_DEP_2) | instskip(SKIP_2) | instid1(VALU_DEP_1)
	v_add_f64 v[11:12], v[11:12], s[12:13]
	s_mov_b32 s12, 0xb55b1514
	s_mov_b32 s13, 0x3fe8ea18
	v_fma_f64 v[0:1], v[0:1], v[11:12], -v[15:16]
	s_delay_alu instid0(VALU_DEP_3) | instskip(NEXT) | instid1(VALU_DEP_2)
	v_fma_f64 v[11:12], v[19:20], v[21:22], s[10:11]
	v_add_f64 v[0:1], v[0:1], s[12:13]
	s_delay_alu instid0(VALU_DEP_2) | instskip(NEXT) | instid1(VALU_DEP_2)
	v_fma_f64 v[11:12], v[19:20], v[11:12], 1.0
	v_add_f64 v[0:1], v[0:1], -v[15:16]
	s_delay_alu instid0(VALU_DEP_2) | instskip(NEXT) | instid1(VALU_DEP_2)
	v_fma_f64 v[15:16], v[19:20], v[11:12], 1.0
	v_mul_f64 v[11:12], v[0:1], 0.5
                                        ; implicit-def: $vgpr0_vgpr1
	v_cmpx_ngt_f64_e32 0, v[8:9]
	s_xor_b32 s1, exec_lo, s1
	s_cbranch_execz .LBB9_1315
; %bb.1314:
	v_cmp_gt_f64_e64 s10, 0x10000000, |v[8:9]|
	s_delay_alu instid0(VALU_DEP_4) | instskip(SKIP_1) | instid1(VALU_DEP_3)
	v_ldexp_f64 v[15:16], v[15:16], v5
	v_cmp_nlt_f64_e64 vcc_lo, 0x40900000, |v[8:9]|
	v_cndmask_b32_e64 v0, 0, 1, s10
	v_cndmask_b32_e64 v5, 0, 0xffffff80, s10
	s_delay_alu instid0(VALU_DEP_4) | instskip(NEXT) | instid1(VALU_DEP_3)
	v_cndmask_b32_e32 v16, 0x7ff00000, v16, vcc_lo
	v_dual_cndmask_b32 v15, 0, v15 :: v_dual_lshlrev_b32 v0, 8, v0
	s_delay_alu instid0(VALU_DEP_1) | instskip(NEXT) | instid1(VALU_DEP_2)
	v_mul_f64 v[11:12], v[15:16], v[11:12]
	v_ldexp_f64 v[0:1], |v[8:9]|, v0
	s_delay_alu instid0(VALU_DEP_1) | instskip(SKIP_4) | instid1(VALU_DEP_1)
	v_rsq_f64_e32 v[17:18], v[0:1]
	v_cmp_class_f64_e64 vcc_lo, v[0:1], 0x260
	s_waitcnt_depctr 0xfff
	v_mul_f64 v[19:20], v[0:1], v[17:18]
	v_mul_f64 v[17:18], v[17:18], 0.5
	v_fma_f64 v[21:22], -v[17:18], v[19:20], 0.5
	s_delay_alu instid0(VALU_DEP_1) | instskip(SKIP_1) | instid1(VALU_DEP_2)
	v_fma_f64 v[19:20], v[19:20], v[21:22], v[19:20]
	v_fma_f64 v[17:18], v[17:18], v[21:22], v[17:18]
	v_fma_f64 v[21:22], -v[19:20], v[19:20], v[0:1]
	s_delay_alu instid0(VALU_DEP_1) | instskip(NEXT) | instid1(VALU_DEP_1)
	v_fma_f64 v[19:20], v[21:22], v[17:18], v[19:20]
	v_fma_f64 v[21:22], -v[19:20], v[19:20], v[0:1]
	s_delay_alu instid0(VALU_DEP_1) | instskip(NEXT) | instid1(VALU_DEP_1)
	v_fma_f64 v[8:9], v[21:22], v[17:18], v[19:20]
	v_ldexp_f64 v[8:9], v[8:9], v5
                                        ; implicit-def: $vgpr5
	s_delay_alu instid0(VALU_DEP_1) | instskip(NEXT) | instid1(VALU_DEP_1)
	v_dual_cndmask_b32 v1, v9, v1 :: v_dual_cndmask_b32 v0, v8, v0
	v_div_scale_f64 v[8:9], null, v[0:1], v[0:1], v[11:12]
	s_delay_alu instid0(VALU_DEP_1) | instskip(SKIP_2) | instid1(VALU_DEP_1)
	v_rcp_f64_e32 v[15:16], v[8:9]
	s_waitcnt_depctr 0xfff
	v_fma_f64 v[17:18], -v[8:9], v[15:16], 1.0
	v_fma_f64 v[15:16], v[15:16], v[17:18], v[15:16]
	s_delay_alu instid0(VALU_DEP_1) | instskip(NEXT) | instid1(VALU_DEP_1)
	v_fma_f64 v[17:18], -v[8:9], v[15:16], 1.0
	v_fma_f64 v[15:16], v[15:16], v[17:18], v[15:16]
	v_div_scale_f64 v[17:18], vcc_lo, v[11:12], v[0:1], v[11:12]
	s_delay_alu instid0(VALU_DEP_1) | instskip(NEXT) | instid1(VALU_DEP_1)
	v_mul_f64 v[19:20], v[17:18], v[15:16]
	v_fma_f64 v[8:9], -v[8:9], v[19:20], v[17:18]
	s_delay_alu instid0(VALU_DEP_1) | instskip(NEXT) | instid1(VALU_DEP_1)
	v_div_fmas_f64 v[8:9], v[8:9], v[15:16], v[19:20]
                                        ; implicit-def: $vgpr15_vgpr16
	v_div_fixup_f64 v[0:1], v[8:9], v[0:1], v[11:12]
                                        ; implicit-def: $vgpr8_vgpr9
                                        ; implicit-def: $vgpr11_vgpr12
.LBB9_1315:
	s_and_not1_saveexec_b32 s1, s1
	s_cbranch_execz .LBB9_1317
; %bb.1316:
	v_cmp_gt_f64_e64 s10, 0x10000000, |v[8:9]|
	s_delay_alu instid0(VALU_DEP_4) | instskip(SKIP_1) | instid1(VALU_DEP_3)
	v_ldexp_f64 v[15:16], -v[15:16], v5
	v_cmp_nlt_f64_e64 vcc_lo, 0x40900000, |v[8:9]|
	v_cndmask_b32_e64 v0, 0, 1, s10
	v_cndmask_b32_e64 v5, 0, 0xffffff80, s10
	s_delay_alu instid0(VALU_DEP_4) | instskip(NEXT) | instid1(VALU_DEP_3)
	v_cndmask_b32_e32 v16, 0xfff00000, v16, vcc_lo
	v_dual_cndmask_b32 v15, 0, v15 :: v_dual_lshlrev_b32 v0, 8, v0
	s_delay_alu instid0(VALU_DEP_1) | instskip(NEXT) | instid1(VALU_DEP_2)
	v_mul_f64 v[11:12], v[15:16], v[11:12]
	v_ldexp_f64 v[0:1], |v[8:9]|, v0
	s_delay_alu instid0(VALU_DEP_1) | instskip(SKIP_4) | instid1(VALU_DEP_1)
	v_rsq_f64_e32 v[17:18], v[0:1]
	v_cmp_class_f64_e64 vcc_lo, v[0:1], 0x260
	s_waitcnt_depctr 0xfff
	v_mul_f64 v[19:20], v[0:1], v[17:18]
	v_mul_f64 v[17:18], v[17:18], 0.5
	v_fma_f64 v[21:22], -v[17:18], v[19:20], 0.5
	s_delay_alu instid0(VALU_DEP_1) | instskip(SKIP_1) | instid1(VALU_DEP_2)
	v_fma_f64 v[19:20], v[19:20], v[21:22], v[19:20]
	v_fma_f64 v[17:18], v[17:18], v[21:22], v[17:18]
	v_fma_f64 v[21:22], -v[19:20], v[19:20], v[0:1]
	s_delay_alu instid0(VALU_DEP_1) | instskip(NEXT) | instid1(VALU_DEP_1)
	v_fma_f64 v[19:20], v[21:22], v[17:18], v[19:20]
	v_fma_f64 v[21:22], -v[19:20], v[19:20], v[0:1]
	s_delay_alu instid0(VALU_DEP_1) | instskip(NEXT) | instid1(VALU_DEP_1)
	v_fma_f64 v[8:9], v[21:22], v[17:18], v[19:20]
	v_ldexp_f64 v[8:9], v[8:9], v5
	s_delay_alu instid0(VALU_DEP_1) | instskip(NEXT) | instid1(VALU_DEP_1)
	v_dual_cndmask_b32 v1, v9, v1 :: v_dual_cndmask_b32 v0, v8, v0
	v_div_scale_f64 v[8:9], null, v[0:1], v[0:1], v[11:12]
	s_delay_alu instid0(VALU_DEP_1) | instskip(SKIP_2) | instid1(VALU_DEP_1)
	v_rcp_f64_e32 v[15:16], v[8:9]
	s_waitcnt_depctr 0xfff
	v_fma_f64 v[17:18], -v[8:9], v[15:16], 1.0
	v_fma_f64 v[15:16], v[15:16], v[17:18], v[15:16]
	s_delay_alu instid0(VALU_DEP_1) | instskip(NEXT) | instid1(VALU_DEP_1)
	v_fma_f64 v[17:18], -v[8:9], v[15:16], 1.0
	v_fma_f64 v[15:16], v[15:16], v[17:18], v[15:16]
	v_div_scale_f64 v[17:18], vcc_lo, v[11:12], v[0:1], v[11:12]
	s_delay_alu instid0(VALU_DEP_1) | instskip(NEXT) | instid1(VALU_DEP_1)
	v_mul_f64 v[19:20], v[17:18], v[15:16]
	v_fma_f64 v[8:9], -v[8:9], v[19:20], v[17:18]
	s_delay_alu instid0(VALU_DEP_1) | instskip(NEXT) | instid1(VALU_DEP_1)
	v_div_fmas_f64 v[8:9], v[8:9], v[15:16], v[19:20]
	v_div_fixup_f64 v[0:1], v[8:9], v[0:1], v[11:12]
.LBB9_1317:
	s_or_b32 exec_lo, exec_lo, s1
.LBB9_1318:
	s_delay_alu instid0(SALU_CYCLE_1) | instskip(SKIP_2) | instid1(VALU_DEP_1)
	s_or_b32 exec_lo, exec_lo, s0
	v_cmp_gt_i16_e32 vcc_lo, 11, v13
	v_add_co_u32 v4, s0, s6, v4
	v_add_co_ci_u32_e64 v5, null, s7, 0, s0
	s_mov_b32 s0, 0
	s_cbranch_vccnz .LBB9_1325
; %bb.1319:
	v_cmp_lt_i16_e32 vcc_lo, 25, v13
	s_mov_b32 s11, 0
	s_cbranch_vccz .LBB9_1331
; %bb.1320:
	v_cmp_lt_i16_e32 vcc_lo, 28, v13
	s_cbranch_vccz .LBB9_1333
; %bb.1321:
	v_cmp_lt_i16_e32 vcc_lo, 43, v13
	;; [unrolled: 3-line block ×3, first 2 shown]
	s_cbranch_vccz .LBB9_1341
; %bb.1323:
	v_cmp_eq_u16_e32 vcc_lo, 46, v13
	s_mov_b32 s1, 0
	s_cbranch_vccz .LBB9_1385
; %bb.1324:
	global_load_b32 v8, v[4:5], off
	s_mov_b32 s10, 0
	s_mov_b32 s0, -1
	s_waitcnt vmcnt(0)
	v_lshlrev_b32_e32 v8, 16, v8
	s_delay_alu instid0(VALU_DEP_1)
	v_cvt_f64_f32_e32 v[8:9], v8
	s_branch .LBB9_1387
.LBB9_1325:
                                        ; implicit-def: $vgpr8_vgpr9
	s_cbranch_execz .LBB9_1452
; %bb.1326:
	v_cmp_gt_i16_e32 vcc_lo, 5, v13
	s_cbranch_vccnz .LBB9_1332
; %bb.1327:
	v_cmp_gt_i16_e32 vcc_lo, 8, v13
	s_cbranch_vccnz .LBB9_1334
	;; [unrolled: 3-line block ×3, first 2 shown]
; %bb.1329:
	v_cmp_lt_i16_e32 vcc_lo, 9, v13
	s_cbranch_vccz .LBB9_1342
; %bb.1330:
	global_load_b64 v[8:9], v[4:5], off
	s_mov_b32 s0, 0
	s_branch .LBB9_1343
.LBB9_1331:
	s_mov_b32 s10, 0
                                        ; implicit-def: $vgpr8_vgpr9
	s_cbranch_execnz .LBB9_1418
	s_branch .LBB9_1448
.LBB9_1332:
                                        ; implicit-def: $vgpr8_vgpr9
	s_branch .LBB9_1361
.LBB9_1333:
	s_mov_b32 s1, -1
	s_mov_b32 s10, 0
                                        ; implicit-def: $vgpr8_vgpr9
	s_branch .LBB9_1397
.LBB9_1334:
	s_mov_b32 s0, -1
                                        ; implicit-def: $vgpr8_vgpr9
	s_branch .LBB9_1349
.LBB9_1335:
	s_mov_b32 s1, -1
	s_mov_b32 s10, 0
                                        ; implicit-def: $vgpr8_vgpr9
	s_branch .LBB9_1392
.LBB9_1336:
	s_mov_b32 s0, -1
                                        ; implicit-def: $vgpr8_vgpr9
	s_branch .LBB9_1346
.LBB9_1337:
	s_cbranch_execnz .LBB9_1381
; %bb.1338:
	s_or_b32 s2, s8, exec_lo
                                        ; implicit-def: $vgpr8_vgpr9
	s_cbranch_execz .LBB9_1303
	s_branch .LBB9_1304
.LBB9_1339:
	s_or_saveexec_b32 s7, s7
                                        ; implicit-def: $sgpr8
	s_delay_alu instid0(SALU_CYCLE_1)
	s_xor_b32 exec_lo, exec_lo, s7
	s_cbranch_execz .LBB9_1035
.LBB9_1340:
	v_add_f32_e64 v3, 0x46000000, |v2|
	s_and_not1_b32 s5, s5, exec_lo
	s_mov_b32 s8, 0
	s_delay_alu instid0(VALU_DEP_1) | instskip(NEXT) | instid1(VALU_DEP_1)
	v_and_b32_e32 v3, 0xff, v3
	v_cmp_ne_u32_e32 vcc_lo, 0, v3
	s_and_b32 s9, vcc_lo, exec_lo
	s_delay_alu instid0(SALU_CYCLE_1)
	s_or_b32 s5, s5, s9
	s_or_b32 exec_lo, exec_lo, s7
	v_mov_b32_e32 v4, s8
	s_and_saveexec_b32 s7, s5
	s_cbranch_execnz .LBB9_1036
	s_branch .LBB9_1037
.LBB9_1341:
	s_mov_b32 s1, -1
	s_mov_b32 s10, 0
	s_branch .LBB9_1386
.LBB9_1342:
	s_mov_b32 s0, -1
                                        ; implicit-def: $vgpr8_vgpr9
.LBB9_1343:
	s_delay_alu instid0(SALU_CYCLE_1)
	s_and_not1_b32 vcc_lo, exec_lo, s0
	s_cbranch_vccnz .LBB9_1345
; %bb.1344:
	global_load_b32 v8, v[4:5], off
	s_waitcnt vmcnt(0)
	v_cvt_f64_f32_e32 v[8:9], v8
.LBB9_1345:
	s_mov_b32 s0, 0
.LBB9_1346:
	s_delay_alu instid0(SALU_CYCLE_1)
	s_and_not1_b32 vcc_lo, exec_lo, s0
	s_cbranch_vccnz .LBB9_1348
; %bb.1347:
	global_load_b32 v8, v[4:5], off
	s_waitcnt vmcnt(0)
	v_cvt_f32_f16_e32 v8, v8
	s_delay_alu instid0(VALU_DEP_1)
	v_cvt_f64_f32_e32 v[8:9], v8
.LBB9_1348:
	s_mov_b32 s0, 0
.LBB9_1349:
	s_delay_alu instid0(SALU_CYCLE_1)
	s_and_not1_b32 vcc_lo, exec_lo, s0
	s_cbranch_vccnz .LBB9_1360
; %bb.1350:
	v_cmp_gt_i16_e32 vcc_lo, 6, v13
	s_cbranch_vccnz .LBB9_1353
; %bb.1351:
	v_cmp_lt_i16_e32 vcc_lo, 6, v13
	s_cbranch_vccz .LBB9_1354
; %bb.1352:
	global_load_b64 v[8:9], v[4:5], off
	s_mov_b32 s0, 0
	s_branch .LBB9_1355
.LBB9_1353:
	s_mov_b32 s0, -1
                                        ; implicit-def: $vgpr8_vgpr9
	s_branch .LBB9_1358
.LBB9_1354:
	s_mov_b32 s0, -1
                                        ; implicit-def: $vgpr8_vgpr9
.LBB9_1355:
	s_delay_alu instid0(SALU_CYCLE_1)
	s_and_not1_b32 vcc_lo, exec_lo, s0
	s_cbranch_vccnz .LBB9_1357
; %bb.1356:
	global_load_b32 v8, v[4:5], off
	s_waitcnt vmcnt(0)
	v_cvt_f64_f32_e32 v[8:9], v8
.LBB9_1357:
	s_mov_b32 s0, 0
.LBB9_1358:
	s_delay_alu instid0(SALU_CYCLE_1)
	s_and_not1_b32 vcc_lo, exec_lo, s0
	s_cbranch_vccnz .LBB9_1360
; %bb.1359:
	global_load_u16 v8, v[4:5], off
	s_waitcnt vmcnt(0)
	v_cvt_f32_f16_e32 v8, v8
	s_delay_alu instid0(VALU_DEP_1)
	v_cvt_f64_f32_e32 v[8:9], v8
.LBB9_1360:
	s_cbranch_execnz .LBB9_1380
.LBB9_1361:
	v_cmp_gt_i16_e32 vcc_lo, 2, v13
	s_cbranch_vccnz .LBB9_1365
; %bb.1362:
	v_cmp_gt_i16_e32 vcc_lo, 3, v13
	s_cbranch_vccnz .LBB9_1366
; %bb.1363:
	v_cmp_lt_i16_e32 vcc_lo, 3, v13
	s_cbranch_vccz .LBB9_1367
; %bb.1364:
	global_load_b64 v[8:9], v[4:5], off
	s_mov_b32 s0, 0
	s_waitcnt vmcnt(0)
	v_cvt_f64_i32_e32 v[11:12], v9
	v_cvt_f64_u32_e32 v[8:9], v8
	s_delay_alu instid0(VALU_DEP_2) | instskip(NEXT) | instid1(VALU_DEP_1)
	v_ldexp_f64 v[11:12], v[11:12], 32
	v_add_f64 v[8:9], v[11:12], v[8:9]
	s_branch .LBB9_1368
.LBB9_1365:
	s_mov_b32 s0, -1
                                        ; implicit-def: $vgpr8_vgpr9
	s_branch .LBB9_1374
.LBB9_1366:
	s_mov_b32 s0, -1
                                        ; implicit-def: $vgpr8_vgpr9
	s_branch .LBB9_1371
.LBB9_1367:
	s_mov_b32 s0, -1
                                        ; implicit-def: $vgpr8_vgpr9
.LBB9_1368:
	s_delay_alu instid0(SALU_CYCLE_1)
	s_and_not1_b32 vcc_lo, exec_lo, s0
	s_cbranch_vccnz .LBB9_1370
; %bb.1369:
	global_load_b32 v8, v[4:5], off
	s_waitcnt vmcnt(0)
	v_cvt_f64_i32_e32 v[8:9], v8
.LBB9_1370:
	s_mov_b32 s0, 0
.LBB9_1371:
	s_delay_alu instid0(SALU_CYCLE_1)
	s_and_not1_b32 vcc_lo, exec_lo, s0
	s_cbranch_vccnz .LBB9_1373
; %bb.1372:
	global_load_i16 v8, v[4:5], off
	s_waitcnt vmcnt(0)
	v_cvt_f64_i32_e32 v[8:9], v8
.LBB9_1373:
	s_mov_b32 s0, 0
.LBB9_1374:
	s_delay_alu instid0(SALU_CYCLE_1)
	s_and_not1_b32 vcc_lo, exec_lo, s0
	s_cbranch_vccnz .LBB9_1380
; %bb.1375:
	v_cmp_lt_i16_e32 vcc_lo, 0, v13
	s_mov_b32 s0, 0
	s_cbranch_vccz .LBB9_1377
; %bb.1376:
	global_load_i8 v8, v[4:5], off
	s_waitcnt vmcnt(0)
	v_cvt_f64_i32_e32 v[8:9], v8
	s_branch .LBB9_1378
.LBB9_1377:
	s_mov_b32 s0, -1
                                        ; implicit-def: $vgpr8_vgpr9
.LBB9_1378:
	s_delay_alu instid0(SALU_CYCLE_1)
	s_and_not1_b32 vcc_lo, exec_lo, s0
	s_cbranch_vccnz .LBB9_1380
; %bb.1379:
	global_load_u8 v4, v[4:5], off
	s_waitcnt vmcnt(0)
	v_cvt_f64_u32_e32 v[8:9], v4
.LBB9_1380:
	s_branch .LBB9_1453
.LBB9_1381:
	s_trap 2
	s_sendmsg_rtn_b32 s0, sendmsg(MSG_RTN_GET_DOORBELL)
	s_mov_b32 ttmp2, m0
	s_waitcnt lgkmcnt(0)
	s_and_b32 s0, s0, 0x3ff
	s_delay_alu instid0(SALU_CYCLE_1) | instskip(NEXT) | instid1(SALU_CYCLE_1)
	s_bitset1_b32 s0, 10
	s_mov_b32 m0, s0
	s_sendmsg sendmsg(MSG_INTERRUPT)
	s_mov_b32 m0, ttmp2
.LBB9_1382:                             ; =>This Inner Loop Header: Depth=1
	s_sethalt 5
	s_branch .LBB9_1382
.LBB9_1383:
	s_or_saveexec_b32 s8, s8
                                        ; implicit-def: $sgpr9
	s_delay_alu instid0(SALU_CYCLE_1)
	s_xor_b32 exec_lo, exec_lo, s8
	s_cbranch_execz .LBB9_1047
.LBB9_1384:
	v_add_f32_e64 v3, 0x42800000, |v2|
	s_and_not1_b32 s7, s7, exec_lo
	s_mov_b32 s9, 0
	s_delay_alu instid0(VALU_DEP_1) | instskip(NEXT) | instid1(VALU_DEP_1)
	v_and_b32_e32 v3, 0xff, v3
	v_cmp_ne_u32_e32 vcc_lo, 0, v3
	s_and_b32 s10, vcc_lo, exec_lo
	s_delay_alu instid0(SALU_CYCLE_1)
	s_or_b32 s7, s7, s10
	s_or_b32 exec_lo, exec_lo, s8
	v_mov_b32_e32 v4, s9
	s_and_saveexec_b32 s8, s7
	s_cbranch_execnz .LBB9_1048
	s_branch .LBB9_1049
.LBB9_1385:
	s_mov_b32 s10, -1
.LBB9_1386:
                                        ; implicit-def: $vgpr8_vgpr9
.LBB9_1387:
	s_and_b32 vcc_lo, exec_lo, s1
	s_cbranch_vccz .LBB9_1391
; %bb.1388:
	v_cmp_eq_u16_e32 vcc_lo, 44, v13
	s_cbranch_vccz .LBB9_1390
; %bb.1389:
	global_load_u8 v11, v[4:5], off
	s_mov_b32 s10, 0
	s_mov_b32 s0, -1
	s_waitcnt vmcnt(0)
	v_cmp_ne_u32_e32 vcc_lo, 0xff, v11
	v_lshlrev_b32_e32 v8, 23, v11
	s_delay_alu instid0(VALU_DEP_1) | instskip(NEXT) | instid1(VALU_DEP_1)
	v_cvt_f64_f32_e32 v[8:9], v8
	v_cndmask_b32_e32 v9, 0x7ff80000, v9, vcc_lo
	s_delay_alu instid0(VALU_DEP_2) | instskip(SKIP_1) | instid1(VALU_DEP_3)
	v_cndmask_b32_e32 v8, 0x20000000, v8, vcc_lo
	v_cmp_ne_u32_e32 vcc_lo, 0, v11
	v_cndmask_b32_e32 v9, 0x38000000, v9, vcc_lo
	s_delay_alu instid0(VALU_DEP_3)
	v_cndmask_b32_e32 v8, 0, v8, vcc_lo
	s_branch .LBB9_1391
.LBB9_1390:
	s_mov_b32 s10, -1
                                        ; implicit-def: $vgpr8_vgpr9
.LBB9_1391:
	s_mov_b32 s1, 0
.LBB9_1392:
	s_delay_alu instid0(SALU_CYCLE_1)
	s_and_b32 vcc_lo, exec_lo, s1
	s_cbranch_vccz .LBB9_1396
; %bb.1393:
	v_cmp_eq_u16_e32 vcc_lo, 29, v13
	s_cbranch_vccz .LBB9_1395
; %bb.1394:
	global_load_b64 v[8:9], v[4:5], off
	s_mov_b32 s10, 0
	s_mov_b32 s0, -1
	s_mov_b32 s1, 0
	s_waitcnt vmcnt(0)
	v_cvt_f64_u32_e32 v[11:12], v9
	v_cvt_f64_u32_e32 v[8:9], v8
	s_delay_alu instid0(VALU_DEP_2) | instskip(NEXT) | instid1(VALU_DEP_1)
	v_ldexp_f64 v[11:12], v[11:12], 32
	v_add_f64 v[8:9], v[11:12], v[8:9]
	s_branch .LBB9_1397
.LBB9_1395:
	s_mov_b32 s10, -1
                                        ; implicit-def: $vgpr8_vgpr9
.LBB9_1396:
	s_mov_b32 s1, 0
.LBB9_1397:
	s_delay_alu instid0(SALU_CYCLE_1)
	s_and_b32 vcc_lo, exec_lo, s1
	s_cbranch_vccz .LBB9_1417
; %bb.1398:
	v_cmp_gt_i16_e32 vcc_lo, 27, v13
	s_cbranch_vccnz .LBB9_1401
; %bb.1399:
	v_cmp_lt_i16_e32 vcc_lo, 27, v13
	s_cbranch_vccz .LBB9_1402
; %bb.1400:
	global_load_b32 v8, v[4:5], off
	s_mov_b32 s0, 0
	s_waitcnt vmcnt(0)
	v_cvt_f64_u32_e32 v[8:9], v8
	s_branch .LBB9_1403
.LBB9_1401:
	s_mov_b32 s0, -1
                                        ; implicit-def: $vgpr8_vgpr9
	s_branch .LBB9_1406
.LBB9_1402:
	s_mov_b32 s0, -1
                                        ; implicit-def: $vgpr8_vgpr9
.LBB9_1403:
	s_delay_alu instid0(SALU_CYCLE_1)
	s_and_not1_b32 vcc_lo, exec_lo, s0
	s_cbranch_vccnz .LBB9_1405
; %bb.1404:
	global_load_u16 v8, v[4:5], off
	s_waitcnt vmcnt(0)
	v_cvt_f64_u32_e32 v[8:9], v8
.LBB9_1405:
	s_mov_b32 s0, 0
.LBB9_1406:
	s_delay_alu instid0(SALU_CYCLE_1)
	s_and_not1_b32 vcc_lo, exec_lo, s0
	s_cbranch_vccnz .LBB9_1416
; %bb.1407:
	global_load_u8 v11, v[4:5], off
	s_mov_b32 s12, 0
	s_mov_b32 s13, exec_lo
                                        ; implicit-def: $sgpr0_sgpr1
	s_waitcnt vmcnt(0)
	v_cmpx_lt_i16_e32 0x7f, v11
	s_xor_b32 s13, exec_lo, s13
	s_cbranch_execz .LBB9_1411
; %bb.1408:
	s_mov_b32 s14, -1
	s_mov_b32 s12, exec_lo
                                        ; implicit-def: $sgpr0_sgpr1
	v_cmpx_eq_u16_e32 0x80, v11
; %bb.1409:
	s_mov_b32 s1, 0x7ff80000
	s_brev_b32 s0, 4
	s_xor_b32 s14, exec_lo, -1
; %bb.1410:
	s_or_b32 exec_lo, exec_lo, s12
	s_delay_alu instid0(SALU_CYCLE_1)
	s_and_b32 s12, s14, exec_lo
.LBB9_1411:
	s_or_saveexec_b32 s13, s13
	v_dual_mov_b32 v9, s1 :: v_dual_mov_b32 v8, s0
	s_xor_b32 exec_lo, exec_lo, s13
; %bb.1412:
	v_cmp_ne_u16_e32 vcc_lo, 0, v11
	v_mov_b32_e32 v8, 0
	v_mov_b32_e32 v9, 0
	s_and_not1_b32 s0, s12, exec_lo
	s_and_b32 s1, vcc_lo, exec_lo
	s_delay_alu instid0(SALU_CYCLE_1)
	s_or_b32 s12, s0, s1
; %bb.1413:
	s_or_b32 exec_lo, exec_lo, s13
	s_and_saveexec_b32 s0, s12
	s_cbranch_execz .LBB9_1415
; %bb.1414:
	v_and_b32_e32 v8, 0xffff, v11
	v_lshlrev_b32_e32 v11, 24, v11
	s_delay_alu instid0(VALU_DEP_2) | instskip(NEXT) | instid1(VALU_DEP_2)
	v_and_b32_e32 v9, 7, v8
	v_and_b32_e32 v11, 0x80000000, v11
	s_delay_alu instid0(VALU_DEP_2) | instskip(NEXT) | instid1(VALU_DEP_1)
	v_clz_i32_u32_e32 v12, v9
	v_min_u32_e32 v12, 32, v12
	s_delay_alu instid0(VALU_DEP_1) | instskip(SKIP_1) | instid1(VALU_DEP_2)
	v_subrev_nc_u32_e32 v15, 28, v12
	v_sub_nc_u32_e32 v12, 29, v12
	v_lshlrev_b32_e32 v15, v15, v8
	v_bfe_u32 v8, v8, 3, 4
	s_delay_alu instid0(VALU_DEP_1) | instskip(NEXT) | instid1(VALU_DEP_3)
	v_cmp_eq_u32_e32 vcc_lo, 0, v8
	v_dual_cndmask_b32 v8, v8, v12 :: v_dual_and_b32 v15, 7, v15
	s_delay_alu instid0(VALU_DEP_1) | instskip(NEXT) | instid1(VALU_DEP_2)
	v_cndmask_b32_e32 v9, v9, v15, vcc_lo
	v_lshl_add_u32 v8, v8, 23, 0x3b800000
	s_delay_alu instid0(VALU_DEP_2) | instskip(NEXT) | instid1(VALU_DEP_1)
	v_lshlrev_b32_e32 v9, 20, v9
	v_or3_b32 v8, v11, v8, v9
	s_delay_alu instid0(VALU_DEP_1)
	v_cvt_f64_f32_e32 v[8:9], v8
.LBB9_1415:
	s_or_b32 exec_lo, exec_lo, s0
.LBB9_1416:
	s_mov_b32 s0, -1
.LBB9_1417:
	s_branch .LBB9_1448
.LBB9_1418:
	v_cmp_lt_i16_e32 vcc_lo, 22, v13
	s_cbranch_vccz .LBB9_1430
; %bb.1419:
	v_cmp_gt_i16_e32 vcc_lo, 24, v13
	s_cbranch_vccnz .LBB9_1431
; %bb.1420:
	v_cmp_lt_i16_e32 vcc_lo, 24, v13
	s_cbranch_vccz .LBB9_1432
; %bb.1421:
	global_load_u8 v11, v[4:5], off
	s_mov_b32 s12, exec_lo
                                        ; implicit-def: $sgpr0_sgpr1
	s_waitcnt vmcnt(0)
	v_cmpx_lt_i16_e32 0x7f, v11
	s_xor_b32 s12, exec_lo, s12
	s_cbranch_execz .LBB9_1425
; %bb.1422:
	s_mov_b32 s13, -1
	s_mov_b32 s11, exec_lo
                                        ; implicit-def: $sgpr0_sgpr1
	v_cmpx_eq_u16_e32 0x80, v11
; %bb.1423:
	s_mov_b32 s1, 0x7ff80000
	s_brev_b32 s0, 4
	s_xor_b32 s13, exec_lo, -1
; %bb.1424:
	s_or_b32 exec_lo, exec_lo, s11
	s_delay_alu instid0(SALU_CYCLE_1)
	s_and_b32 s11, s13, exec_lo
.LBB9_1425:
	s_or_saveexec_b32 s12, s12
	v_dual_mov_b32 v9, s1 :: v_dual_mov_b32 v8, s0
	s_xor_b32 exec_lo, exec_lo, s12
; %bb.1426:
	v_cmp_ne_u16_e32 vcc_lo, 0, v11
	v_mov_b32_e32 v8, 0
	v_mov_b32_e32 v9, 0
	s_and_not1_b32 s0, s11, exec_lo
	s_and_b32 s1, vcc_lo, exec_lo
	s_delay_alu instid0(SALU_CYCLE_1)
	s_or_b32 s11, s0, s1
; %bb.1427:
	s_or_b32 exec_lo, exec_lo, s12
	s_and_saveexec_b32 s0, s11
	s_cbranch_execz .LBB9_1429
; %bb.1428:
	v_and_b32_e32 v8, 0xffff, v11
	v_lshlrev_b32_e32 v11, 24, v11
	s_delay_alu instid0(VALU_DEP_2) | instskip(NEXT) | instid1(VALU_DEP_2)
	v_and_b32_e32 v9, 3, v8
	v_and_b32_e32 v11, 0x80000000, v11
	s_delay_alu instid0(VALU_DEP_2) | instskip(NEXT) | instid1(VALU_DEP_1)
	v_clz_i32_u32_e32 v12, v9
	v_min_u32_e32 v12, 32, v12
	s_delay_alu instid0(VALU_DEP_1) | instskip(SKIP_1) | instid1(VALU_DEP_2)
	v_subrev_nc_u32_e32 v15, 29, v12
	v_sub_nc_u32_e32 v12, 30, v12
	v_lshlrev_b32_e32 v15, v15, v8
	v_bfe_u32 v8, v8, 2, 5
	s_delay_alu instid0(VALU_DEP_1) | instskip(NEXT) | instid1(VALU_DEP_3)
	v_cmp_eq_u32_e32 vcc_lo, 0, v8
	v_dual_cndmask_b32 v8, v8, v12 :: v_dual_and_b32 v15, 3, v15
	s_delay_alu instid0(VALU_DEP_1) | instskip(NEXT) | instid1(VALU_DEP_2)
	v_cndmask_b32_e32 v9, v9, v15, vcc_lo
	v_lshl_add_u32 v8, v8, 23, 0x37800000
	s_delay_alu instid0(VALU_DEP_2) | instskip(NEXT) | instid1(VALU_DEP_1)
	v_lshlrev_b32_e32 v9, 21, v9
	v_or3_b32 v8, v11, v8, v9
	s_delay_alu instid0(VALU_DEP_1)
	v_cvt_f64_f32_e32 v[8:9], v8
.LBB9_1429:
	s_or_b32 exec_lo, exec_lo, s0
	s_mov_b32 s0, 0
	s_branch .LBB9_1433
.LBB9_1430:
	s_mov_b32 s1, -1
                                        ; implicit-def: $vgpr8_vgpr9
	s_branch .LBB9_1439
.LBB9_1431:
	s_mov_b32 s0, -1
                                        ; implicit-def: $vgpr8_vgpr9
	s_branch .LBB9_1436
.LBB9_1432:
	s_mov_b32 s0, -1
                                        ; implicit-def: $vgpr8_vgpr9
.LBB9_1433:
	s_delay_alu instid0(SALU_CYCLE_1)
	s_and_b32 vcc_lo, exec_lo, s0
	s_cbranch_vccz .LBB9_1435
; %bb.1434:
	global_load_u8 v8, v[4:5], off
	s_waitcnt vmcnt(0)
	v_lshlrev_b32_e32 v8, 24, v8
	s_delay_alu instid0(VALU_DEP_1) | instskip(NEXT) | instid1(VALU_DEP_1)
	v_and_b32_e32 v9, 0x7f000000, v8
	v_clz_i32_u32_e32 v11, v9
	v_add_nc_u32_e32 v15, 0x1000000, v9
	v_cmp_ne_u32_e32 vcc_lo, 0, v9
	s_delay_alu instid0(VALU_DEP_3) | instskip(NEXT) | instid1(VALU_DEP_1)
	v_min_u32_e32 v11, 32, v11
	v_sub_nc_u32_e64 v11, v11, 4 clamp
	s_delay_alu instid0(VALU_DEP_1) | instskip(SKIP_1) | instid1(VALU_DEP_2)
	v_lshlrev_b32_e32 v12, v11, v9
	v_lshlrev_b32_e32 v11, 23, v11
	v_lshrrev_b32_e32 v12, 4, v12
	s_delay_alu instid0(VALU_DEP_1) | instskip(SKIP_1) | instid1(VALU_DEP_2)
	v_sub_nc_u32_e32 v11, v12, v11
	v_ashrrev_i32_e32 v12, 8, v15
	v_add_nc_u32_e32 v11, 0x3c000000, v11
	s_delay_alu instid0(VALU_DEP_1) | instskip(NEXT) | instid1(VALU_DEP_1)
	v_and_or_b32 v11, 0x7f800000, v12, v11
	v_cndmask_b32_e32 v9, 0, v11, vcc_lo
	s_delay_alu instid0(VALU_DEP_1) | instskip(NEXT) | instid1(VALU_DEP_1)
	v_and_or_b32 v8, 0x80000000, v8, v9
	v_cvt_f64_f32_e32 v[8:9], v8
.LBB9_1435:
	s_mov_b32 s0, 0
.LBB9_1436:
	s_delay_alu instid0(SALU_CYCLE_1)
	s_and_not1_b32 vcc_lo, exec_lo, s0
	s_cbranch_vccnz .LBB9_1438
; %bb.1437:
	global_load_u8 v8, v[4:5], off
	s_waitcnt vmcnt(0)
	v_lshlrev_b32_e32 v9, 25, v8
	v_lshlrev_b16 v8, 8, v8
	s_delay_alu instid0(VALU_DEP_2) | instskip(NEXT) | instid1(VALU_DEP_2)
	v_lshrrev_b32_e32 v11, 4, v9
	v_and_or_b32 v12, 0x7f00, v8, 0.5
	v_cmp_gt_u32_e32 vcc_lo, 0x8000000, v9
	v_bfe_i32 v8, v8, 0, 16
	s_delay_alu instid0(VALU_DEP_4) | instskip(NEXT) | instid1(VALU_DEP_1)
	v_or_b32_e32 v11, 0x70000000, v11
	v_dual_add_f32 v12, -0.5, v12 :: v_dual_mul_f32 v11, 0x7800000, v11
	s_delay_alu instid0(VALU_DEP_1) | instskip(NEXT) | instid1(VALU_DEP_1)
	v_cndmask_b32_e32 v9, v11, v12, vcc_lo
	v_and_or_b32 v8, 0x80000000, v8, v9
	s_delay_alu instid0(VALU_DEP_1)
	v_cvt_f64_f32_e32 v[8:9], v8
.LBB9_1438:
	s_mov_b32 s1, 0
	s_mov_b32 s0, -1
.LBB9_1439:
	s_and_not1_b32 vcc_lo, exec_lo, s1
	s_mov_b32 s11, 0
	s_cbranch_vccnz .LBB9_1448
; %bb.1440:
	v_cmp_lt_i16_e32 vcc_lo, 14, v13
	s_cbranch_vccz .LBB9_1443
; %bb.1441:
	v_cmp_eq_u16_e32 vcc_lo, 15, v13
	s_cbranch_vccz .LBB9_1444
; %bb.1442:
	global_load_u16 v8, v[4:5], off
	s_mov_b32 s10, 0
	s_mov_b32 s0, -1
	s_waitcnt vmcnt(0)
	v_lshlrev_b32_e32 v8, 16, v8
	s_delay_alu instid0(VALU_DEP_1)
	v_cvt_f64_f32_e32 v[8:9], v8
	s_branch .LBB9_1445
.LBB9_1443:
	s_mov_b32 s1, -1
                                        ; implicit-def: $vgpr8_vgpr9
	s_branch .LBB9_1446
.LBB9_1444:
	s_mov_b32 s10, -1
                                        ; implicit-def: $vgpr8_vgpr9
.LBB9_1445:
	s_mov_b32 s1, 0
.LBB9_1446:
	s_delay_alu instid0(SALU_CYCLE_1)
	s_and_b32 vcc_lo, exec_lo, s1
	s_cbranch_vccz .LBB9_1448
; %bb.1447:
	v_cmp_ne_u16_e64 s10, 11, v13
	s_mov_b32 s11, -1
                                        ; implicit-def: $vgpr8_vgpr9
.LBB9_1448:
	s_delay_alu instid0(VALU_DEP_1)
	s_and_b32 vcc_lo, exec_lo, s10
	s_cbranch_vccnz .LBB9_1484
; %bb.1449:
	s_and_not1_b32 vcc_lo, exec_lo, s11
	s_cbranch_vccnz .LBB9_1451
.LBB9_1450:
	global_load_u8 v8, v[4:5], off
	s_mov_b32 s0, -1
	s_waitcnt vmcnt(0)
	v_cmp_ne_u16_e32 vcc_lo, 0, v8
	v_mov_b32_e32 v8, 0
	v_cndmask_b32_e64 v9, 0, 0x3ff00000, vcc_lo
.LBB9_1451:
.LBB9_1452:
	s_and_not1_b32 vcc_lo, exec_lo, s0
	s_cbranch_vccnz .LBB9_2186
.LBB9_1453:
	s_waitcnt vmcnt(0)
	s_delay_alu instid0(VALU_DEP_1) | instskip(NEXT) | instid1(VALU_DEP_1)
	v_cmp_ge_f64_e64 s0, 0x40200000, |v[8:9]|
                                        ; implicit-def: $vgpr4_vgpr5
	s_and_saveexec_b32 s1, s0
	s_delay_alu instid0(SALU_CYCLE_1)
	s_xor_b32 s0, exec_lo, s1
	s_cbranch_execz .LBB9_1459
; %bb.1454:
	v_fma_f64 v[4:5], |v[8:9]|, 0.5, -2.0
	s_mov_b32 s10, 0xc38a0576
	s_mov_b32 s11, 0xbc7857d0
	;; [unrolled: 1-line block ×4, first 2 shown]
	s_mov_b32 s1, exec_lo
	s_delay_alu instid0(VALU_DEP_1) | instskip(SKIP_3) | instid1(VALU_DEP_1)
	v_fma_f64 v[11:12], v[4:5], s[12:13], s[10:11]
	s_mov_b32 s13, 0xbc499f2a
	s_mov_b32 s10, 0xe593bfac
	;; [unrolled: 1-line block ×3, first 2 shown]
	v_fma_f64 v[15:16], v[4:5], v[11:12], s[12:13]
	s_delay_alu instid0(VALU_DEP_1) | instskip(SKIP_2) | instid1(VALU_DEP_1)
	v_add_f64 v[15:16], v[15:16], s[10:11]
	s_mov_b32 s10, 0x7e0d1573
	s_mov_b32 s11, 0xbcd3eaaa
	v_fma_f64 v[11:12], v[4:5], v[15:16], -v[11:12]
	s_delay_alu instid0(VALU_DEP_1) | instskip(SKIP_2) | instid1(VALU_DEP_1)
	v_add_f64 v[11:12], v[11:12], s[10:11]
	s_mov_b32 s10, 0x615290c
	s_mov_b32 s11, 0x3d011d7f
	v_fma_f64 v[15:16], v[4:5], v[11:12], -v[15:16]
	s_delay_alu instid0(VALU_DEP_1) | instskip(SKIP_2) | instid1(VALU_DEP_1)
	v_add_f64 v[15:16], v[15:16], s[10:11]
	s_mov_b32 s10, 0x1c8f0b3b
	s_mov_b32 s11, 0xbd2c628e
	v_fma_f64 v[11:12], v[4:5], v[15:16], -v[11:12]
	s_delay_alu instid0(VALU_DEP_1) | instskip(SKIP_2) | instid1(VALU_DEP_1)
	v_add_f64 v[11:12], v[11:12], s[10:11]
	s_mov_b32 s10, 0x4779d955
	s_mov_b32 s11, 0x3d56af78
	v_fma_f64 v[15:16], v[4:5], v[11:12], -v[15:16]
	s_delay_alu instid0(VALU_DEP_1) | instskip(SKIP_2) | instid1(VALU_DEP_1)
	v_add_f64 v[15:16], v[15:16], s[10:11]
	s_mov_b32 s10, 0x5fb70366
	s_mov_b32 s11, 0xbd817383
	v_fma_f64 v[11:12], v[4:5], v[15:16], -v[11:12]
	s_delay_alu instid0(VALU_DEP_1) | instskip(SKIP_2) | instid1(VALU_DEP_1)
	v_add_f64 v[11:12], v[11:12], s[10:11]
	s_mov_b32 s10, 0xb21d3154
	s_mov_b32 s11, 0x3da9cee2
	v_fma_f64 v[15:16], v[4:5], v[11:12], -v[15:16]
	s_delay_alu instid0(VALU_DEP_1) | instskip(SKIP_2) | instid1(VALU_DEP_1)
	v_add_f64 v[15:16], v[15:16], s[10:11]
	s_mov_b32 s10, 0x97eb07de
	s_mov_b32 s11, 0xbdd25103
	v_fma_f64 v[11:12], v[4:5], v[15:16], -v[11:12]
	s_delay_alu instid0(VALU_DEP_1) | instskip(SKIP_2) | instid1(VALU_DEP_1)
	v_add_f64 v[11:12], v[11:12], s[10:11]
	s_mov_b32 s10, 0xb43fdf6c
	s_mov_b32 s11, 0x3df8ea34
	v_fma_f64 v[15:16], v[4:5], v[11:12], -v[15:16]
	s_delay_alu instid0(VALU_DEP_1) | instskip(SKIP_2) | instid1(VALU_DEP_1)
	v_add_f64 v[15:16], v[15:16], s[10:11]
	s_mov_b32 s10, 0x28ea67e6
	s_mov_b32 s11, 0xbe20361b
	v_fma_f64 v[11:12], v[4:5], v[15:16], -v[11:12]
	s_delay_alu instid0(VALU_DEP_1) | instskip(SKIP_2) | instid1(VALU_DEP_1)
	v_add_f64 v[11:12], v[11:12], s[10:11]
	s_mov_b32 s10, 0x2395010
	s_mov_b32 s11, 0x3e44258e
	v_fma_f64 v[15:16], v[4:5], v[11:12], -v[15:16]
	s_delay_alu instid0(VALU_DEP_1) | instskip(SKIP_2) | instid1(VALU_DEP_1)
	v_add_f64 v[15:16], v[15:16], s[10:11]
	s_mov_b32 s10, 0x24b8c3e8
	s_mov_b32 s11, 0xbe67dd3e
	v_fma_f64 v[11:12], v[4:5], v[15:16], -v[11:12]
	s_delay_alu instid0(VALU_DEP_1) | instskip(SKIP_2) | instid1(VALU_DEP_1)
	v_add_f64 v[11:12], v[11:12], s[10:11]
	s_mov_b32 s10, 0xb347d108
	s_mov_b32 s11, 0x3e8ae344
	v_fma_f64 v[15:16], v[4:5], v[11:12], -v[15:16]
	s_delay_alu instid0(VALU_DEP_1) | instskip(SKIP_2) | instid1(VALU_DEP_1)
	v_add_f64 v[15:16], v[15:16], s[10:11]
	s_mov_b32 s10, 0x8363992a
	s_mov_b32 s11, 0xbeacc079
	v_fma_f64 v[11:12], v[4:5], v[15:16], -v[11:12]
	s_delay_alu instid0(VALU_DEP_1) | instskip(SKIP_2) | instid1(VALU_DEP_1)
	v_add_f64 v[11:12], v[11:12], s[10:11]
	s_mov_b32 s10, 0xd511afc5
	s_mov_b32 s11, 0x3ecd1c4e
	v_fma_f64 v[15:16], v[4:5], v[11:12], -v[15:16]
	s_delay_alu instid0(VALU_DEP_1) | instskip(SKIP_2) | instid1(VALU_DEP_1)
	v_add_f64 v[15:16], v[15:16], s[10:11]
	s_mov_b32 s10, 0xb8debbcf
	s_mov_b32 s11, 0xbeebd5f9
	v_fma_f64 v[11:12], v[4:5], v[15:16], -v[11:12]
	s_delay_alu instid0(VALU_DEP_1) | instskip(SKIP_2) | instid1(VALU_DEP_1)
	v_add_f64 v[11:12], v[11:12], s[10:11]
	s_mov_b32 s10, 0x42c70d0b
	s_mov_b32 s11, 0x3f0911b5
	v_fma_f64 v[15:16], v[4:5], v[11:12], -v[15:16]
	s_delay_alu instid0(VALU_DEP_1) | instskip(SKIP_2) | instid1(VALU_DEP_1)
	v_add_f64 v[15:16], v[15:16], s[10:11]
	s_mov_b32 s10, 0xd3d694fe
	s_mov_b32 s11, 0xbf2533ca
	v_fma_f64 v[11:12], v[4:5], v[15:16], -v[11:12]
	s_delay_alu instid0(VALU_DEP_1) | instskip(SKIP_2) | instid1(VALU_DEP_1)
	v_add_f64 v[11:12], v[11:12], s[10:11]
	s_mov_b32 s10, 0xb6c6df7d
	s_mov_b32 s11, 0x3f40c95d
	v_fma_f64 v[15:16], v[4:5], v[11:12], -v[15:16]
	s_delay_alu instid0(VALU_DEP_1) | instskip(SKIP_2) | instid1(VALU_DEP_1)
	v_add_f64 v[15:16], v[15:16], s[10:11]
	s_mov_b32 s10, 0xb3cd4a4
	s_mov_b32 s11, 0xbf58cc62
	v_fma_f64 v[11:12], v[4:5], v[15:16], -v[11:12]
	s_delay_alu instid0(VALU_DEP_1) | instskip(SKIP_2) | instid1(VALU_DEP_1)
	v_add_f64 v[11:12], v[11:12], s[10:11]
	s_mov_b32 s10, 0x49d3a1b4
	s_mov_b32 s11, 0x3f710653
	v_fma_f64 v[15:16], v[4:5], v[11:12], -v[15:16]
	s_delay_alu instid0(VALU_DEP_1) | instskip(SKIP_2) | instid1(VALU_DEP_1)
	v_add_f64 v[15:16], v[15:16], s[10:11]
	s_mov_b32 s10, 0x7913a26a
	s_mov_b32 s11, 0xbf85a29f
	v_fma_f64 v[11:12], v[4:5], v[15:16], -v[11:12]
	s_delay_alu instid0(VALU_DEP_1) | instskip(SKIP_2) | instid1(VALU_DEP_1)
	v_add_f64 v[11:12], v[11:12], s[10:11]
	s_mov_b32 s10, 0xe7bb2349
	s_mov_b32 s11, 0x3f9951e3
	v_fma_f64 v[15:16], v[4:5], v[11:12], -v[15:16]
	s_delay_alu instid0(VALU_DEP_1) | instskip(SKIP_2) | instid1(VALU_DEP_1)
	v_add_f64 v[15:16], v[15:16], s[10:11]
	s_mov_b32 s10, 0x537c9ebc
	s_mov_b32 s11, 0xbfab1bbc
	v_fma_f64 v[11:12], v[4:5], v[15:16], -v[11:12]
	s_delay_alu instid0(VALU_DEP_1) | instskip(SKIP_2) | instid1(VALU_DEP_1)
	v_add_f64 v[11:12], v[11:12], s[10:11]
	s_mov_b32 s10, 0xd536f53c
	s_mov_b32 s11, 0x3fba46da
	v_fma_f64 v[15:16], v[4:5], v[11:12], -v[15:16]
	s_delay_alu instid0(VALU_DEP_1) | instskip(SKIP_2) | instid1(VALU_DEP_1)
	v_add_f64 v[15:16], v[15:16], s[10:11]
	s_mov_b32 s10, 0x469192e
	s_mov_b32 s11, 0xbfc694d1
	v_fma_f64 v[11:12], v[4:5], v[15:16], -v[11:12]
	s_delay_alu instid0(VALU_DEP_1) | instskip(SKIP_2) | instid1(VALU_DEP_1)
	v_add_f64 v[11:12], v[11:12], s[10:11]
	s_mov_b32 s10, 0x724a7ffa
	s_mov_b32 s11, 0x3fd02a63
	v_fma_f64 v[4:5], v[4:5], v[11:12], -v[15:16]
	s_delay_alu instid0(VALU_DEP_1) | instskip(NEXT) | instid1(VALU_DEP_1)
	v_add_f64 v[4:5], v[4:5], s[10:11]
	v_add_f64 v[11:12], v[4:5], -v[15:16]
                                        ; implicit-def: $vgpr4_vgpr5
	v_cmpx_ngt_f64_e32 0, v[8:9]
	s_xor_b32 s1, exec_lo, s1
	s_cbranch_execz .LBB9_1456
; %bb.1455:
	s_mov_b32 s10, 0x652b82fe
	s_mov_b32 s11, 0x3ff71547
	;; [unrolled: 1-line block ×3, first 2 shown]
	v_mul_f64 v[4:5], |v[8:9]|, s[10:11]
	s_mov_b32 s10, 0xfefa39ef
	s_mov_b32 s11, 0xbfe62e42
	;; [unrolled: 1-line block ×3, first 2 shown]
	s_delay_alu instid0(VALU_DEP_3) | instskip(SKIP_1) | instid1(VALU_DEP_3)
	v_mul_f64 v[11:12], v[11:12], 0.5
	v_cmp_nlt_f64_e64 vcc_lo, 0x40900000, |v[8:9]|
	v_rndne_f64_e32 v[4:5], v[4:5]
	s_delay_alu instid0(VALU_DEP_1) | instskip(SKIP_4) | instid1(VALU_DEP_3)
	v_fma_f64 v[15:16], v[4:5], s[10:11], |v[8:9]|
	s_mov_b32 s10, 0x3b39803f
	s_mov_b32 s11, 0xbc7abc9e
	v_cvt_i32_f64_e32 v19, v[4:5]
	v_mul_f64 v[8:9], |v[8:9]|, v[11:12]
                                        ; implicit-def: $vgpr11_vgpr12
	v_fma_f64 v[15:16], v[4:5], s[10:11], v[15:16]
	s_mov_b32 s10, 0xfca7ab0c
	s_mov_b32 s11, 0x3e928af3
	s_delay_alu instid0(VALU_DEP_1) | instid1(SALU_CYCLE_1)
	v_fma_f64 v[17:18], v[15:16], s[12:13], s[10:11]
	s_mov_b32 s10, 0x623fde64
	s_mov_b32 s11, 0x3ec71dee
	s_delay_alu instid0(VALU_DEP_1) | instid1(SALU_CYCLE_1)
	;; [unrolled: 4-line block ×9, first 2 shown]
	v_fma_f64 v[17:18], v[15:16], v[17:18], s[10:11]
	s_delay_alu instid0(VALU_DEP_1) | instskip(NEXT) | instid1(VALU_DEP_1)
	v_fma_f64 v[17:18], v[15:16], v[17:18], 1.0
	v_fma_f64 v[4:5], v[15:16], v[17:18], 1.0
	s_delay_alu instid0(VALU_DEP_1) | instskip(NEXT) | instid1(VALU_DEP_1)
	v_ldexp_f64 v[4:5], v[4:5], v19
	v_cndmask_b32_e32 v5, 0x7ff00000, v5, vcc_lo
	s_delay_alu instid0(VALU_DEP_2) | instskip(NEXT) | instid1(VALU_DEP_1)
	v_cndmask_b32_e32 v4, 0, v4, vcc_lo
	v_mul_f64 v[4:5], v[4:5], v[8:9]
                                        ; implicit-def: $vgpr8_vgpr9
.LBB9_1456:
	s_and_not1_saveexec_b32 s1, s1
	s_cbranch_execz .LBB9_1458
; %bb.1457:
	s_mov_b32 s10, 0x652b82fe
	s_mov_b32 s11, 0x3ff71547
	;; [unrolled: 1-line block ×3, first 2 shown]
	v_mul_f64 v[4:5], |v[8:9]|, s[10:11]
	s_mov_b32 s10, 0xfefa39ef
	s_mov_b32 s11, 0xbfe62e42
	;; [unrolled: 1-line block ×3, first 2 shown]
	s_delay_alu instid0(VALU_DEP_3) | instskip(SKIP_1) | instid1(VALU_DEP_3)
	v_mul_f64 v[11:12], v[11:12], -0.5
	v_cmp_nlt_f64_e64 vcc_lo, 0x40900000, |v[8:9]|
	v_rndne_f64_e32 v[4:5], v[4:5]
	s_delay_alu instid0(VALU_DEP_1) | instskip(SKIP_4) | instid1(VALU_DEP_3)
	v_fma_f64 v[15:16], v[4:5], s[10:11], |v[8:9]|
	s_mov_b32 s10, 0x3b39803f
	s_mov_b32 s11, 0xbc7abc9e
	v_cvt_i32_f64_e32 v19, v[4:5]
	v_mul_f64 v[8:9], |v[8:9]|, v[11:12]
	v_fma_f64 v[15:16], v[4:5], s[10:11], v[15:16]
	s_mov_b32 s10, 0xfca7ab0c
	s_mov_b32 s11, 0x3e928af3
	s_delay_alu instid0(VALU_DEP_1) | instid1(SALU_CYCLE_1)
	v_fma_f64 v[17:18], v[15:16], s[12:13], s[10:11]
	s_mov_b32 s10, 0x623fde64
	s_mov_b32 s11, 0x3ec71dee
	s_delay_alu instid0(VALU_DEP_1) | instid1(SALU_CYCLE_1)
	;; [unrolled: 4-line block ×9, first 2 shown]
	v_fma_f64 v[17:18], v[15:16], v[17:18], s[10:11]
	s_delay_alu instid0(VALU_DEP_1) | instskip(NEXT) | instid1(VALU_DEP_1)
	v_fma_f64 v[17:18], v[15:16], v[17:18], 1.0
	v_fma_f64 v[4:5], v[15:16], v[17:18], 1.0
	s_delay_alu instid0(VALU_DEP_1) | instskip(NEXT) | instid1(VALU_DEP_1)
	v_ldexp_f64 v[4:5], v[4:5], v19
	v_cndmask_b32_e32 v5, 0x7ff00000, v5, vcc_lo
	s_delay_alu instid0(VALU_DEP_2) | instskip(NEXT) | instid1(VALU_DEP_1)
	v_cndmask_b32_e32 v4, 0, v4, vcc_lo
	v_mul_f64 v[4:5], v[4:5], v[8:9]
.LBB9_1458:
	s_or_b32 exec_lo, exec_lo, s1
                                        ; implicit-def: $vgpr8_vgpr9
.LBB9_1459:
	s_and_not1_saveexec_b32 s0, s0
	s_cbranch_execz .LBB9_1465
; %bb.1460:
	v_dual_mov_b32 v4, v8 :: v_dual_and_b32 v5, 0x7fffffff, v9
	s_mov_b32 s10, 0xea87b950
	s_mov_b32 s11, 0x3c545b8a
	;; [unrolled: 1-line block ×4, first 2 shown]
	v_div_scale_f64 v[11:12], null, v[4:5], v[4:5], 0x40400000
	v_div_scale_f64 v[4:5], vcc_lo, 0x40400000, v[4:5], 0x40400000
	s_mov_b32 s14, 0x2e9e5443
	s_mov_b32 s15, 0xbe90dbfd
	s_mov_b32 s1, exec_lo
	s_delay_alu instid0(VALU_DEP_2) | instskip(SKIP_2) | instid1(VALU_DEP_1)
	v_rcp_f64_e32 v[15:16], v[11:12]
	s_waitcnt_depctr 0xfff
	v_fma_f64 v[17:18], -v[11:12], v[15:16], 1.0
	v_fma_f64 v[15:16], v[15:16], v[17:18], v[15:16]
	s_delay_alu instid0(VALU_DEP_1) | instskip(NEXT) | instid1(VALU_DEP_1)
	v_fma_f64 v[17:18], -v[11:12], v[15:16], 1.0
	v_fma_f64 v[15:16], v[15:16], v[17:18], v[15:16]
	s_delay_alu instid0(VALU_DEP_1) | instskip(NEXT) | instid1(VALU_DEP_1)
	v_mul_f64 v[17:18], v[4:5], v[15:16]
	v_fma_f64 v[4:5], -v[11:12], v[17:18], v[4:5]
	s_delay_alu instid0(VALU_DEP_1) | instskip(NEXT) | instid1(VALU_DEP_1)
	v_div_fmas_f64 v[4:5], v[4:5], v[15:16], v[17:18]
	v_div_fixup_f64 v[4:5], v[4:5], |v[8:9]|, 0x40400000
	s_delay_alu instid0(VALU_DEP_1) | instskip(NEXT) | instid1(VALU_DEP_1)
	v_add_f64 v[4:5], v[4:5], -2.0
	v_fma_f64 v[11:12], v[4:5], s[12:13], s[10:11]
	s_mov_b32 s13, 0xbc61556d
	s_mov_b32 s10, 0xb2532277
	;; [unrolled: 1-line block ×3, first 2 shown]
	s_delay_alu instid0(VALU_DEP_1) | instskip(SKIP_2) | instid1(VALU_DEP_1)
	v_fma_f64 v[15:16], v[4:5], v[11:12], s[12:13]
	s_mov_b32 s12, 0x9ad53528
	s_mov_b32 s13, 0xbe30790b
	v_add_f64 v[15:16], v[15:16], s[10:11]
	s_mov_b32 s10, 0x9c773320
	s_mov_b32 s11, 0xbc82806c
	s_delay_alu instid0(VALU_DEP_1) | instskip(NEXT) | instid1(VALU_DEP_1)
	v_fma_f64 v[11:12], v[4:5], v[15:16], -v[11:12]
	v_add_f64 v[11:12], v[11:12], s[10:11]
	s_mov_b32 s10, 0xfceb588a
	s_mov_b32 s11, 0x3cb55915
	s_delay_alu instid0(VALU_DEP_1) | instskip(NEXT) | instid1(VALU_DEP_1)
	v_fma_f64 v[15:16], v[4:5], v[11:12], -v[15:16]
	;; [unrolled: 5-line block ×15, first 2 shown]
	v_add_f64 v[11:12], v[11:12], s[10:11]
	s_mov_b32 s10, 0x652b82fe
	s_mov_b32 s11, 0x3ff71547
	s_delay_alu instid0(SALU_CYCLE_1) | instskip(SKIP_2) | instid1(VALU_DEP_2)
	v_mul_f64 v[17:18], |v[8:9]|, s[10:11]
	s_mov_b32 s10, 0xfefa39ef
	s_mov_b32 s11, 0xbfe62e42
	v_fma_f64 v[15:16], v[4:5], v[11:12], -v[15:16]
	s_delay_alu instid0(VALU_DEP_2) | instskip(NEXT) | instid1(VALU_DEP_2)
	v_rndne_f64_e32 v[17:18], v[17:18]
	v_add_f64 v[15:16], v[15:16], s[12:13]
	s_mov_b32 s12, 0x94bb46c1
	s_mov_b32 s13, 0xbe5c4153
	s_delay_alu instid0(VALU_DEP_2) | instskip(SKIP_2) | instid1(VALU_DEP_2)
	v_fma_f64 v[19:20], v[17:18], s[10:11], |v[8:9]|
	s_mov_b32 s10, 0x3b39803f
	s_mov_b32 s11, 0xbc7abc9e
	v_fma_f64 v[11:12], v[4:5], v[15:16], -v[11:12]
	s_delay_alu instid0(VALU_DEP_2) | instskip(SKIP_3) | instid1(VALU_DEP_3)
	v_fma_f64 v[19:20], v[17:18], s[10:11], v[19:20]
	s_mov_b32 s10, 0xfca7ab0c
	s_mov_b32 s11, 0x3e928af3
	v_cvt_i32_f64_e32 v17, v[17:18]
	v_add_f64 v[11:12], v[11:12], s[12:13]
	s_mov_b32 s12, 0x6a5dcb37
	s_mov_b32 s13, 0x3e5ade15
	s_delay_alu instid0(VALU_DEP_3) | instid1(SALU_CYCLE_1)
	v_fma_f64 v[21:22], v[19:20], s[12:13], s[10:11]
	s_mov_b32 s10, 0x623fde64
	s_mov_b32 s11, 0x3ec71dee
	;; [unrolled: 1-line block ×4, first 2 shown]
	s_delay_alu instid0(VALU_DEP_2) | instskip(NEXT) | instid1(VALU_DEP_2)
	v_fma_f64 v[15:16], v[4:5], v[11:12], -v[15:16]
	v_fma_f64 v[21:22], v[19:20], v[21:22], s[10:11]
	s_mov_b32 s10, 0x7c89e6b0
	s_mov_b32 s11, 0x3efa0199
	s_delay_alu instid0(VALU_DEP_2) | instskip(NEXT) | instid1(VALU_DEP_2)
	v_add_f64 v[15:16], v[15:16], s[14:15]
	v_fma_f64 v[21:22], v[19:20], v[21:22], s[10:11]
	s_mov_b32 s10, 0x14761f6e
	s_mov_b32 s11, 0x3f2a01a0
	s_delay_alu instid0(VALU_DEP_2) | instskip(NEXT) | instid1(VALU_DEP_2)
	v_fma_f64 v[11:12], v[4:5], v[15:16], -v[11:12]
	v_fma_f64 v[21:22], v[19:20], v[21:22], s[10:11]
	s_mov_b32 s10, 0x1852b7b0
	s_mov_b32 s11, 0x3f56c16c
	s_delay_alu instid0(VALU_DEP_2) | instskip(SKIP_2) | instid1(VALU_DEP_2)
	v_add_f64 v[11:12], v[11:12], s[12:13]
	s_mov_b32 s12, 0x804aa9a6
	s_mov_b32 s13, 0xbf1cfd7f
	v_fma_f64 v[21:22], v[19:20], v[21:22], s[10:11]
	s_mov_b32 s10, 0x11122322
	s_mov_b32 s11, 0x3f811111
	s_delay_alu instid0(VALU_DEP_2) | instskip(NEXT) | instid1(VALU_DEP_2)
	v_fma_f64 v[15:16], v[4:5], v[11:12], -v[15:16]
	v_fma_f64 v[21:22], v[19:20], v[21:22], s[10:11]
	s_mov_b32 s10, 0x555502a1
	s_mov_b32 s11, 0x3fa55555
	s_delay_alu instid0(VALU_DEP_2) | instskip(SKIP_2) | instid1(VALU_DEP_2)
	v_add_f64 v[15:16], v[15:16], s[12:13]
	s_mov_b32 s12, 0x53fcdb4c
	s_mov_b32 s13, 0xbf83fda0
	v_fma_f64 v[21:22], v[19:20], v[21:22], s[10:11]
	s_mov_b32 s10, 0x55555511
	s_mov_b32 s11, 0x3fc55555
	s_delay_alu instid0(VALU_DEP_2) | instskip(NEXT) | instid1(VALU_DEP_2)
	v_fma_f64 v[11:12], v[4:5], v[15:16], -v[11:12]
	v_fma_f64 v[21:22], v[19:20], v[21:22], s[10:11]
	s_mov_b32 s10, 11
	s_mov_b32 s11, 0x3fe00000
	s_delay_alu instid0(VALU_DEP_2) | instskip(SKIP_2) | instid1(VALU_DEP_1)
	v_add_f64 v[11:12], v[11:12], s[12:13]
	s_mov_b32 s12, 0xb55b1514
	s_mov_b32 s13, 0x3fe8ea18
	v_fma_f64 v[4:5], v[4:5], v[11:12], -v[15:16]
	s_delay_alu instid0(VALU_DEP_3) | instskip(NEXT) | instid1(VALU_DEP_2)
	v_fma_f64 v[11:12], v[19:20], v[21:22], s[10:11]
	v_add_f64 v[4:5], v[4:5], s[12:13]
	s_delay_alu instid0(VALU_DEP_2) | instskip(NEXT) | instid1(VALU_DEP_2)
	v_fma_f64 v[11:12], v[19:20], v[11:12], 1.0
	v_add_f64 v[4:5], v[4:5], -v[15:16]
	s_delay_alu instid0(VALU_DEP_2) | instskip(NEXT) | instid1(VALU_DEP_2)
	v_fma_f64 v[15:16], v[19:20], v[11:12], 1.0
	v_mul_f64 v[11:12], v[4:5], 0.5
                                        ; implicit-def: $vgpr4_vgpr5
	v_cmpx_ngt_f64_e32 0, v[8:9]
	s_xor_b32 s1, exec_lo, s1
	s_cbranch_execz .LBB9_1462
; %bb.1461:
	v_cmp_gt_f64_e64 s10, 0x10000000, |v[8:9]|
	s_delay_alu instid0(VALU_DEP_4) | instskip(SKIP_1) | instid1(VALU_DEP_3)
	v_ldexp_f64 v[15:16], v[15:16], v17
	v_cmp_nlt_f64_e64 vcc_lo, 0x40900000, |v[8:9]|
	v_cndmask_b32_e64 v4, 0, 1, s10
	v_cndmask_b32_e64 v17, 0, 0xffffff80, s10
	s_delay_alu instid0(VALU_DEP_4) | instskip(NEXT) | instid1(VALU_DEP_3)
	v_cndmask_b32_e32 v16, 0x7ff00000, v16, vcc_lo
	v_dual_cndmask_b32 v15, 0, v15 :: v_dual_lshlrev_b32 v4, 8, v4
	s_delay_alu instid0(VALU_DEP_1) | instskip(NEXT) | instid1(VALU_DEP_2)
	v_mul_f64 v[11:12], v[15:16], v[11:12]
	v_ldexp_f64 v[4:5], |v[8:9]|, v4
	s_delay_alu instid0(VALU_DEP_1) | instskip(SKIP_4) | instid1(VALU_DEP_1)
	v_rsq_f64_e32 v[18:19], v[4:5]
	v_cmp_class_f64_e64 vcc_lo, v[4:5], 0x260
	s_waitcnt_depctr 0xfff
	v_mul_f64 v[20:21], v[4:5], v[18:19]
	v_mul_f64 v[18:19], v[18:19], 0.5
	v_fma_f64 v[22:23], -v[18:19], v[20:21], 0.5
	s_delay_alu instid0(VALU_DEP_1) | instskip(SKIP_1) | instid1(VALU_DEP_2)
	v_fma_f64 v[20:21], v[20:21], v[22:23], v[20:21]
	v_fma_f64 v[18:19], v[18:19], v[22:23], v[18:19]
	v_fma_f64 v[22:23], -v[20:21], v[20:21], v[4:5]
	s_delay_alu instid0(VALU_DEP_1) | instskip(NEXT) | instid1(VALU_DEP_1)
	v_fma_f64 v[20:21], v[22:23], v[18:19], v[20:21]
	v_fma_f64 v[22:23], -v[20:21], v[20:21], v[4:5]
	s_delay_alu instid0(VALU_DEP_1) | instskip(NEXT) | instid1(VALU_DEP_1)
	v_fma_f64 v[8:9], v[22:23], v[18:19], v[20:21]
	v_ldexp_f64 v[8:9], v[8:9], v17
	s_delay_alu instid0(VALU_DEP_1) | instskip(NEXT) | instid1(VALU_DEP_1)
	v_dual_cndmask_b32 v5, v9, v5 :: v_dual_cndmask_b32 v4, v8, v4
	v_div_scale_f64 v[8:9], null, v[4:5], v[4:5], v[11:12]
	s_delay_alu instid0(VALU_DEP_1) | instskip(SKIP_2) | instid1(VALU_DEP_1)
	v_rcp_f64_e32 v[15:16], v[8:9]
	s_waitcnt_depctr 0xfff
	v_fma_f64 v[17:18], -v[8:9], v[15:16], 1.0
	v_fma_f64 v[15:16], v[15:16], v[17:18], v[15:16]
	s_delay_alu instid0(VALU_DEP_1) | instskip(NEXT) | instid1(VALU_DEP_1)
	v_fma_f64 v[17:18], -v[8:9], v[15:16], 1.0
	v_fma_f64 v[15:16], v[15:16], v[17:18], v[15:16]
	v_div_scale_f64 v[17:18], vcc_lo, v[11:12], v[4:5], v[11:12]
	s_delay_alu instid0(VALU_DEP_1) | instskip(NEXT) | instid1(VALU_DEP_1)
	v_mul_f64 v[19:20], v[17:18], v[15:16]
	v_fma_f64 v[8:9], -v[8:9], v[19:20], v[17:18]
                                        ; implicit-def: $vgpr17
	s_delay_alu instid0(VALU_DEP_1) | instskip(NEXT) | instid1(VALU_DEP_1)
	v_div_fmas_f64 v[8:9], v[8:9], v[15:16], v[19:20]
                                        ; implicit-def: $vgpr15_vgpr16
	v_div_fixup_f64 v[4:5], v[8:9], v[4:5], v[11:12]
                                        ; implicit-def: $vgpr8_vgpr9
                                        ; implicit-def: $vgpr11_vgpr12
.LBB9_1462:
	s_and_not1_saveexec_b32 s1, s1
	s_cbranch_execz .LBB9_1464
; %bb.1463:
	v_cmp_gt_f64_e64 s10, 0x10000000, |v[8:9]|
	s_delay_alu instid0(VALU_DEP_4) | instskip(SKIP_1) | instid1(VALU_DEP_3)
	v_ldexp_f64 v[15:16], -v[15:16], v17
	v_cmp_nlt_f64_e64 vcc_lo, 0x40900000, |v[8:9]|
	v_cndmask_b32_e64 v4, 0, 1, s10
	v_cndmask_b32_e64 v17, 0, 0xffffff80, s10
	s_delay_alu instid0(VALU_DEP_4) | instskip(NEXT) | instid1(VALU_DEP_3)
	v_cndmask_b32_e32 v16, 0xfff00000, v16, vcc_lo
	v_dual_cndmask_b32 v15, 0, v15 :: v_dual_lshlrev_b32 v4, 8, v4
	s_delay_alu instid0(VALU_DEP_1) | instskip(NEXT) | instid1(VALU_DEP_2)
	v_mul_f64 v[11:12], v[15:16], v[11:12]
	v_ldexp_f64 v[4:5], |v[8:9]|, v4
	s_delay_alu instid0(VALU_DEP_1) | instskip(SKIP_4) | instid1(VALU_DEP_1)
	v_rsq_f64_e32 v[18:19], v[4:5]
	v_cmp_class_f64_e64 vcc_lo, v[4:5], 0x260
	s_waitcnt_depctr 0xfff
	v_mul_f64 v[20:21], v[4:5], v[18:19]
	v_mul_f64 v[18:19], v[18:19], 0.5
	v_fma_f64 v[22:23], -v[18:19], v[20:21], 0.5
	s_delay_alu instid0(VALU_DEP_1) | instskip(SKIP_1) | instid1(VALU_DEP_2)
	v_fma_f64 v[20:21], v[20:21], v[22:23], v[20:21]
	v_fma_f64 v[18:19], v[18:19], v[22:23], v[18:19]
	v_fma_f64 v[22:23], -v[20:21], v[20:21], v[4:5]
	s_delay_alu instid0(VALU_DEP_1) | instskip(NEXT) | instid1(VALU_DEP_1)
	v_fma_f64 v[20:21], v[22:23], v[18:19], v[20:21]
	v_fma_f64 v[22:23], -v[20:21], v[20:21], v[4:5]
	s_delay_alu instid0(VALU_DEP_1) | instskip(NEXT) | instid1(VALU_DEP_1)
	v_fma_f64 v[8:9], v[22:23], v[18:19], v[20:21]
	v_ldexp_f64 v[8:9], v[8:9], v17
	s_delay_alu instid0(VALU_DEP_1) | instskip(NEXT) | instid1(VALU_DEP_1)
	v_dual_cndmask_b32 v5, v9, v5 :: v_dual_cndmask_b32 v4, v8, v4
	v_div_scale_f64 v[8:9], null, v[4:5], v[4:5], v[11:12]
	s_delay_alu instid0(VALU_DEP_1) | instskip(SKIP_2) | instid1(VALU_DEP_1)
	v_rcp_f64_e32 v[15:16], v[8:9]
	s_waitcnt_depctr 0xfff
	v_fma_f64 v[17:18], -v[8:9], v[15:16], 1.0
	v_fma_f64 v[15:16], v[15:16], v[17:18], v[15:16]
	s_delay_alu instid0(VALU_DEP_1) | instskip(NEXT) | instid1(VALU_DEP_1)
	v_fma_f64 v[17:18], -v[8:9], v[15:16], 1.0
	v_fma_f64 v[15:16], v[15:16], v[17:18], v[15:16]
	v_div_scale_f64 v[17:18], vcc_lo, v[11:12], v[4:5], v[11:12]
	s_delay_alu instid0(VALU_DEP_1) | instskip(NEXT) | instid1(VALU_DEP_1)
	v_mul_f64 v[19:20], v[17:18], v[15:16]
	v_fma_f64 v[8:9], -v[8:9], v[19:20], v[17:18]
	s_delay_alu instid0(VALU_DEP_1) | instskip(NEXT) | instid1(VALU_DEP_1)
	v_div_fmas_f64 v[8:9], v[8:9], v[15:16], v[19:20]
	v_div_fixup_f64 v[4:5], v[8:9], v[4:5], v[11:12]
.LBB9_1464:
	s_or_b32 exec_lo, exec_lo, s1
.LBB9_1465:
	s_delay_alu instid0(SALU_CYCLE_1) | instskip(SKIP_2) | instid1(VALU_DEP_1)
	s_or_b32 exec_lo, exec_lo, s0
	v_cmp_gt_i16_e32 vcc_lo, 11, v13
	v_add_co_u32 v7, s0, s6, v7
	v_add_co_ci_u32_e64 v8, null, s7, 0, s0
	s_mov_b32 s0, 0
	s_cbranch_vccnz .LBB9_1472
; %bb.1466:
	v_cmp_lt_i16_e32 vcc_lo, 25, v13
	s_mov_b32 s11, 0
	s_cbranch_vccz .LBB9_1478
; %bb.1467:
	v_cmp_lt_i16_e32 vcc_lo, 28, v13
	s_cbranch_vccz .LBB9_1480
; %bb.1468:
	v_cmp_lt_i16_e32 vcc_lo, 43, v13
	;; [unrolled: 3-line block ×3, first 2 shown]
	s_cbranch_vccz .LBB9_1486
; %bb.1470:
	v_cmp_eq_u16_e32 vcc_lo, 46, v13
	s_mov_b32 s1, 0
	s_cbranch_vccz .LBB9_1529
; %bb.1471:
	global_load_b32 v9, v[7:8], off
	s_mov_b32 s10, 0
	s_mov_b32 s0, -1
	s_waitcnt vmcnt(0)
	v_lshlrev_b32_e32 v9, 16, v9
	s_delay_alu instid0(VALU_DEP_1)
	v_cvt_f64_f32_e32 v[11:12], v9
	s_branch .LBB9_1531
.LBB9_1472:
                                        ; implicit-def: $vgpr11_vgpr12
	s_cbranch_execz .LBB9_1597
; %bb.1473:
	v_cmp_gt_i16_e32 vcc_lo, 5, v13
	s_cbranch_vccnz .LBB9_1479
; %bb.1474:
	v_cmp_gt_i16_e32 vcc_lo, 8, v13
	s_cbranch_vccnz .LBB9_1481
	;; [unrolled: 3-line block ×3, first 2 shown]
; %bb.1476:
	v_cmp_lt_i16_e32 vcc_lo, 9, v13
	s_cbranch_vccz .LBB9_1487
; %bb.1477:
	global_load_b64 v[11:12], v[7:8], off
	s_mov_b32 s0, 0
	s_branch .LBB9_1488
.LBB9_1478:
	s_mov_b32 s1, -1
	s_mov_b32 s10, 0
                                        ; implicit-def: $vgpr11_vgpr12
	s_branch .LBB9_1562
.LBB9_1479:
	s_mov_b32 s0, -1
                                        ; implicit-def: $vgpr11_vgpr12
	s_branch .LBB9_1506
.LBB9_1480:
	s_mov_b32 s1, -1
	s_mov_b32 s10, 0
                                        ; implicit-def: $vgpr11_vgpr12
	s_branch .LBB9_1541
.LBB9_1481:
	s_mov_b32 s0, -1
                                        ; implicit-def: $vgpr11_vgpr12
	s_branch .LBB9_1494
.LBB9_1482:
	s_mov_b32 s1, -1
	s_mov_b32 s10, 0
                                        ; implicit-def: $vgpr11_vgpr12
	s_branch .LBB9_1536
.LBB9_1483:
	s_mov_b32 s0, -1
                                        ; implicit-def: $vgpr11_vgpr12
	s_branch .LBB9_1491
.LBB9_1484:
	s_cbranch_execnz .LBB9_1527
; %bb.1485:
	s_or_b32 s2, s2, exec_lo
                                        ; implicit-def: $vgpr8_vgpr9
	s_cbranch_execz .LBB9_1450
	s_branch .LBB9_1451
.LBB9_1486:
	s_mov_b32 s1, -1
	s_mov_b32 s10, 0
	s_branch .LBB9_1530
.LBB9_1487:
	s_mov_b32 s0, -1
                                        ; implicit-def: $vgpr11_vgpr12
.LBB9_1488:
	s_delay_alu instid0(SALU_CYCLE_1)
	s_and_not1_b32 vcc_lo, exec_lo, s0
	s_cbranch_vccnz .LBB9_1490
; %bb.1489:
	global_load_b32 v9, v[7:8], off
	s_waitcnt vmcnt(0)
	v_cvt_f64_f32_e32 v[11:12], v9
.LBB9_1490:
	s_mov_b32 s0, 0
.LBB9_1491:
	s_delay_alu instid0(SALU_CYCLE_1)
	s_and_not1_b32 vcc_lo, exec_lo, s0
	s_cbranch_vccnz .LBB9_1493
; %bb.1492:
	global_load_b32 v9, v[7:8], off
	s_waitcnt vmcnt(0)
	v_cvt_f32_f16_e32 v9, v9
	s_delay_alu instid0(VALU_DEP_1)
	v_cvt_f64_f32_e32 v[11:12], v9
.LBB9_1493:
	s_mov_b32 s0, 0
.LBB9_1494:
	s_delay_alu instid0(SALU_CYCLE_1)
	s_and_not1_b32 vcc_lo, exec_lo, s0
	s_cbranch_vccnz .LBB9_1505
; %bb.1495:
	v_cmp_gt_i16_e32 vcc_lo, 6, v13
	s_cbranch_vccnz .LBB9_1498
; %bb.1496:
	v_cmp_lt_i16_e32 vcc_lo, 6, v13
	s_cbranch_vccz .LBB9_1499
; %bb.1497:
	global_load_b64 v[11:12], v[7:8], off
	s_mov_b32 s0, 0
	s_branch .LBB9_1500
.LBB9_1498:
	s_mov_b32 s0, -1
                                        ; implicit-def: $vgpr11_vgpr12
	s_branch .LBB9_1503
.LBB9_1499:
	s_mov_b32 s0, -1
                                        ; implicit-def: $vgpr11_vgpr12
.LBB9_1500:
	s_delay_alu instid0(SALU_CYCLE_1)
	s_and_not1_b32 vcc_lo, exec_lo, s0
	s_cbranch_vccnz .LBB9_1502
; %bb.1501:
	global_load_b32 v9, v[7:8], off
	s_waitcnt vmcnt(0)
	v_cvt_f64_f32_e32 v[11:12], v9
.LBB9_1502:
	s_mov_b32 s0, 0
.LBB9_1503:
	s_delay_alu instid0(SALU_CYCLE_1)
	s_and_not1_b32 vcc_lo, exec_lo, s0
	s_cbranch_vccnz .LBB9_1505
; %bb.1504:
	global_load_u16 v9, v[7:8], off
	s_waitcnt vmcnt(0)
	v_cvt_f32_f16_e32 v9, v9
	s_delay_alu instid0(VALU_DEP_1)
	v_cvt_f64_f32_e32 v[11:12], v9
.LBB9_1505:
	s_mov_b32 s0, 0
.LBB9_1506:
	s_delay_alu instid0(SALU_CYCLE_1)
	s_and_not1_b32 vcc_lo, exec_lo, s0
	s_cbranch_vccnz .LBB9_1526
; %bb.1507:
	v_cmp_gt_i16_e32 vcc_lo, 2, v13
	s_cbranch_vccnz .LBB9_1511
; %bb.1508:
	v_cmp_gt_i16_e32 vcc_lo, 3, v13
	s_cbranch_vccnz .LBB9_1512
; %bb.1509:
	v_cmp_lt_i16_e32 vcc_lo, 3, v13
	s_cbranch_vccz .LBB9_1513
; %bb.1510:
	global_load_b64 v[11:12], v[7:8], off
	s_mov_b32 s0, 0
	s_waitcnt vmcnt(0)
	v_cvt_f64_i32_e32 v[15:16], v12
	v_cvt_f64_u32_e32 v[11:12], v11
	s_delay_alu instid0(VALU_DEP_2) | instskip(NEXT) | instid1(VALU_DEP_1)
	v_ldexp_f64 v[15:16], v[15:16], 32
	v_add_f64 v[11:12], v[15:16], v[11:12]
	s_branch .LBB9_1514
.LBB9_1511:
	s_mov_b32 s0, -1
                                        ; implicit-def: $vgpr11_vgpr12
	s_branch .LBB9_1520
.LBB9_1512:
	s_mov_b32 s0, -1
                                        ; implicit-def: $vgpr11_vgpr12
	s_branch .LBB9_1517
.LBB9_1513:
	s_mov_b32 s0, -1
                                        ; implicit-def: $vgpr11_vgpr12
.LBB9_1514:
	s_delay_alu instid0(SALU_CYCLE_1)
	s_and_not1_b32 vcc_lo, exec_lo, s0
	s_cbranch_vccnz .LBB9_1516
; %bb.1515:
	global_load_b32 v9, v[7:8], off
	s_waitcnt vmcnt(0)
	v_cvt_f64_i32_e32 v[11:12], v9
.LBB9_1516:
	s_mov_b32 s0, 0
.LBB9_1517:
	s_delay_alu instid0(SALU_CYCLE_1)
	s_and_not1_b32 vcc_lo, exec_lo, s0
	s_cbranch_vccnz .LBB9_1519
; %bb.1518:
	global_load_i16 v9, v[7:8], off
	s_waitcnt vmcnt(0)
	v_cvt_f64_i32_e32 v[11:12], v9
.LBB9_1519:
	s_mov_b32 s0, 0
.LBB9_1520:
	s_delay_alu instid0(SALU_CYCLE_1)
	s_and_not1_b32 vcc_lo, exec_lo, s0
	s_cbranch_vccnz .LBB9_1526
; %bb.1521:
	v_cmp_lt_i16_e32 vcc_lo, 0, v13
	s_mov_b32 s0, 0
	s_cbranch_vccz .LBB9_1523
; %bb.1522:
	global_load_i8 v9, v[7:8], off
	s_waitcnt vmcnt(0)
	v_cvt_f64_i32_e32 v[11:12], v9
	s_branch .LBB9_1524
.LBB9_1523:
	s_mov_b32 s0, -1
                                        ; implicit-def: $vgpr11_vgpr12
.LBB9_1524:
	s_delay_alu instid0(SALU_CYCLE_1)
	s_and_not1_b32 vcc_lo, exec_lo, s0
	s_cbranch_vccnz .LBB9_1526
; %bb.1525:
	global_load_u8 v7, v[7:8], off
	s_waitcnt vmcnt(0)
	v_cvt_f64_u32_e32 v[11:12], v7
.LBB9_1526:
	s_branch .LBB9_1598
.LBB9_1527:
	s_trap 2
	s_sendmsg_rtn_b32 s0, sendmsg(MSG_RTN_GET_DOORBELL)
	s_mov_b32 ttmp2, m0
	s_waitcnt lgkmcnt(0)
	s_and_b32 s0, s0, 0x3ff
	s_delay_alu instid0(SALU_CYCLE_1) | instskip(NEXT) | instid1(SALU_CYCLE_1)
	s_bitset1_b32 s0, 10
	s_mov_b32 m0, s0
	s_sendmsg sendmsg(MSG_INTERRUPT)
	s_mov_b32 m0, ttmp2
.LBB9_1528:                             ; =>This Inner Loop Header: Depth=1
	s_sethalt 5
	s_branch .LBB9_1528
.LBB9_1529:
	s_mov_b32 s10, -1
.LBB9_1530:
                                        ; implicit-def: $vgpr11_vgpr12
.LBB9_1531:
	s_and_b32 vcc_lo, exec_lo, s1
	s_cbranch_vccz .LBB9_1535
; %bb.1532:
	v_cmp_eq_u16_e32 vcc_lo, 44, v13
	s_cbranch_vccz .LBB9_1534
; %bb.1533:
	global_load_u8 v9, v[7:8], off
	s_mov_b32 s10, 0
	s_mov_b32 s0, -1
	s_waitcnt vmcnt(0)
	v_cmp_ne_u32_e32 vcc_lo, 0xff, v9
	v_lshlrev_b32_e32 v11, 23, v9
	s_delay_alu instid0(VALU_DEP_1) | instskip(NEXT) | instid1(VALU_DEP_1)
	v_cvt_f64_f32_e32 v[11:12], v11
	v_cndmask_b32_e32 v12, 0x7ff80000, v12, vcc_lo
	s_delay_alu instid0(VALU_DEP_2) | instskip(SKIP_1) | instid1(VALU_DEP_3)
	v_cndmask_b32_e32 v11, 0x20000000, v11, vcc_lo
	v_cmp_ne_u32_e32 vcc_lo, 0, v9
	v_cndmask_b32_e32 v12, 0x38000000, v12, vcc_lo
	s_delay_alu instid0(VALU_DEP_3)
	v_cndmask_b32_e32 v11, 0, v11, vcc_lo
	s_branch .LBB9_1535
.LBB9_1534:
	s_mov_b32 s10, -1
                                        ; implicit-def: $vgpr11_vgpr12
.LBB9_1535:
	s_mov_b32 s1, 0
.LBB9_1536:
	s_delay_alu instid0(SALU_CYCLE_1)
	s_and_b32 vcc_lo, exec_lo, s1
	s_cbranch_vccz .LBB9_1540
; %bb.1537:
	v_cmp_eq_u16_e32 vcc_lo, 29, v13
	s_cbranch_vccz .LBB9_1539
; %bb.1538:
	global_load_b64 v[11:12], v[7:8], off
	s_mov_b32 s10, 0
	s_mov_b32 s0, -1
	s_mov_b32 s1, 0
	s_waitcnt vmcnt(0)
	v_cvt_f64_u32_e32 v[15:16], v12
	v_cvt_f64_u32_e32 v[11:12], v11
	s_delay_alu instid0(VALU_DEP_2) | instskip(NEXT) | instid1(VALU_DEP_1)
	v_ldexp_f64 v[15:16], v[15:16], 32
	v_add_f64 v[11:12], v[15:16], v[11:12]
	s_branch .LBB9_1541
.LBB9_1539:
	s_mov_b32 s10, -1
                                        ; implicit-def: $vgpr11_vgpr12
.LBB9_1540:
	s_mov_b32 s1, 0
.LBB9_1541:
	s_delay_alu instid0(SALU_CYCLE_1)
	s_and_b32 vcc_lo, exec_lo, s1
	s_cbranch_vccz .LBB9_1561
; %bb.1542:
	v_cmp_gt_i16_e32 vcc_lo, 27, v13
	s_cbranch_vccnz .LBB9_1545
; %bb.1543:
	v_cmp_lt_i16_e32 vcc_lo, 27, v13
	s_cbranch_vccz .LBB9_1546
; %bb.1544:
	global_load_b32 v9, v[7:8], off
	s_mov_b32 s0, 0
	s_waitcnt vmcnt(0)
	v_cvt_f64_u32_e32 v[11:12], v9
	s_branch .LBB9_1547
.LBB9_1545:
	s_mov_b32 s0, -1
                                        ; implicit-def: $vgpr11_vgpr12
	s_branch .LBB9_1550
.LBB9_1546:
	s_mov_b32 s0, -1
                                        ; implicit-def: $vgpr11_vgpr12
.LBB9_1547:
	s_delay_alu instid0(SALU_CYCLE_1)
	s_and_not1_b32 vcc_lo, exec_lo, s0
	s_cbranch_vccnz .LBB9_1549
; %bb.1548:
	global_load_u16 v9, v[7:8], off
	s_waitcnt vmcnt(0)
	v_cvt_f64_u32_e32 v[11:12], v9
.LBB9_1549:
	s_mov_b32 s0, 0
.LBB9_1550:
	s_delay_alu instid0(SALU_CYCLE_1)
	s_and_not1_b32 vcc_lo, exec_lo, s0
	s_cbranch_vccnz .LBB9_1560
; %bb.1551:
	global_load_u8 v9, v[7:8], off
	s_mov_b32 s12, 0
	s_mov_b32 s13, exec_lo
                                        ; implicit-def: $sgpr0_sgpr1
	s_waitcnt vmcnt(0)
	v_cmpx_lt_i16_e32 0x7f, v9
	s_xor_b32 s13, exec_lo, s13
	s_cbranch_execz .LBB9_1555
; %bb.1552:
	s_mov_b32 s14, -1
	s_mov_b32 s12, exec_lo
                                        ; implicit-def: $sgpr0_sgpr1
	v_cmpx_eq_u16_e32 0x80, v9
; %bb.1553:
	s_mov_b32 s1, 0x7ff80000
	s_brev_b32 s0, 4
	s_xor_b32 s14, exec_lo, -1
; %bb.1554:
	s_or_b32 exec_lo, exec_lo, s12
	s_delay_alu instid0(SALU_CYCLE_1)
	s_and_b32 s12, s14, exec_lo
.LBB9_1555:
	s_or_saveexec_b32 s13, s13
	v_dual_mov_b32 v12, s1 :: v_dual_mov_b32 v11, s0
	s_xor_b32 exec_lo, exec_lo, s13
; %bb.1556:
	v_cmp_ne_u16_e32 vcc_lo, 0, v9
	v_mov_b32_e32 v11, 0
	v_mov_b32_e32 v12, 0
	s_and_not1_b32 s0, s12, exec_lo
	s_and_b32 s1, vcc_lo, exec_lo
	s_delay_alu instid0(SALU_CYCLE_1)
	s_or_b32 s12, s0, s1
; %bb.1557:
	s_or_b32 exec_lo, exec_lo, s13
	s_and_saveexec_b32 s0, s12
	s_cbranch_execz .LBB9_1559
; %bb.1558:
	v_and_b32_e32 v11, 0xffff, v9
	v_lshlrev_b32_e32 v9, 24, v9
	s_delay_alu instid0(VALU_DEP_2) | instskip(NEXT) | instid1(VALU_DEP_2)
	v_and_b32_e32 v12, 7, v11
	v_and_b32_e32 v9, 0x80000000, v9
	s_delay_alu instid0(VALU_DEP_2) | instskip(NEXT) | instid1(VALU_DEP_1)
	v_clz_i32_u32_e32 v15, v12
	v_min_u32_e32 v15, 32, v15
	s_delay_alu instid0(VALU_DEP_1) | instskip(SKIP_1) | instid1(VALU_DEP_2)
	v_subrev_nc_u32_e32 v16, 28, v15
	v_sub_nc_u32_e32 v15, 29, v15
	v_lshlrev_b32_e32 v16, v16, v11
	v_bfe_u32 v11, v11, 3, 4
	s_delay_alu instid0(VALU_DEP_1) | instskip(NEXT) | instid1(VALU_DEP_3)
	v_cmp_eq_u32_e32 vcc_lo, 0, v11
	v_dual_cndmask_b32 v11, v11, v15 :: v_dual_and_b32 v16, 7, v16
	s_delay_alu instid0(VALU_DEP_1) | instskip(NEXT) | instid1(VALU_DEP_2)
	v_cndmask_b32_e32 v12, v12, v16, vcc_lo
	v_lshl_add_u32 v11, v11, 23, 0x3b800000
	s_delay_alu instid0(VALU_DEP_2) | instskip(NEXT) | instid1(VALU_DEP_1)
	v_lshlrev_b32_e32 v12, 20, v12
	v_or3_b32 v9, v9, v11, v12
	s_delay_alu instid0(VALU_DEP_1)
	v_cvt_f64_f32_e32 v[11:12], v9
.LBB9_1559:
	s_or_b32 exec_lo, exec_lo, s0
.LBB9_1560:
	s_mov_b32 s0, -1
.LBB9_1561:
	s_mov_b32 s1, 0
.LBB9_1562:
	s_delay_alu instid0(SALU_CYCLE_1)
	s_and_b32 vcc_lo, exec_lo, s1
	s_cbranch_vccz .LBB9_1593
; %bb.1563:
	v_cmp_lt_i16_e32 vcc_lo, 22, v13
	s_cbranch_vccz .LBB9_1575
; %bb.1564:
	v_cmp_gt_i16_e32 vcc_lo, 24, v13
	s_cbranch_vccnz .LBB9_1576
; %bb.1565:
	v_cmp_lt_i16_e32 vcc_lo, 24, v13
	s_cbranch_vccz .LBB9_1577
; %bb.1566:
	global_load_u8 v9, v[7:8], off
	s_mov_b32 s12, exec_lo
                                        ; implicit-def: $sgpr0_sgpr1
	s_waitcnt vmcnt(0)
	v_cmpx_lt_i16_e32 0x7f, v9
	s_xor_b32 s12, exec_lo, s12
	s_cbranch_execz .LBB9_1570
; %bb.1567:
	s_mov_b32 s13, -1
	s_mov_b32 s11, exec_lo
                                        ; implicit-def: $sgpr0_sgpr1
	v_cmpx_eq_u16_e32 0x80, v9
; %bb.1568:
	s_mov_b32 s1, 0x7ff80000
	s_brev_b32 s0, 4
	s_xor_b32 s13, exec_lo, -1
; %bb.1569:
	s_or_b32 exec_lo, exec_lo, s11
	s_delay_alu instid0(SALU_CYCLE_1)
	s_and_b32 s11, s13, exec_lo
.LBB9_1570:
	s_or_saveexec_b32 s12, s12
	v_dual_mov_b32 v12, s1 :: v_dual_mov_b32 v11, s0
	s_xor_b32 exec_lo, exec_lo, s12
; %bb.1571:
	v_cmp_ne_u16_e32 vcc_lo, 0, v9
	v_mov_b32_e32 v11, 0
	v_mov_b32_e32 v12, 0
	s_and_not1_b32 s0, s11, exec_lo
	s_and_b32 s1, vcc_lo, exec_lo
	s_delay_alu instid0(SALU_CYCLE_1)
	s_or_b32 s11, s0, s1
; %bb.1572:
	s_or_b32 exec_lo, exec_lo, s12
	s_and_saveexec_b32 s0, s11
	s_cbranch_execz .LBB9_1574
; %bb.1573:
	v_and_b32_e32 v11, 0xffff, v9
	v_lshlrev_b32_e32 v9, 24, v9
	s_delay_alu instid0(VALU_DEP_2) | instskip(NEXT) | instid1(VALU_DEP_2)
	v_and_b32_e32 v12, 3, v11
	v_and_b32_e32 v9, 0x80000000, v9
	s_delay_alu instid0(VALU_DEP_2) | instskip(NEXT) | instid1(VALU_DEP_1)
	v_clz_i32_u32_e32 v15, v12
	v_min_u32_e32 v15, 32, v15
	s_delay_alu instid0(VALU_DEP_1) | instskip(SKIP_1) | instid1(VALU_DEP_2)
	v_subrev_nc_u32_e32 v16, 29, v15
	v_sub_nc_u32_e32 v15, 30, v15
	v_lshlrev_b32_e32 v16, v16, v11
	v_bfe_u32 v11, v11, 2, 5
	s_delay_alu instid0(VALU_DEP_1) | instskip(NEXT) | instid1(VALU_DEP_3)
	v_cmp_eq_u32_e32 vcc_lo, 0, v11
	v_dual_cndmask_b32 v11, v11, v15 :: v_dual_and_b32 v16, 3, v16
	s_delay_alu instid0(VALU_DEP_1) | instskip(NEXT) | instid1(VALU_DEP_2)
	v_cndmask_b32_e32 v12, v12, v16, vcc_lo
	v_lshl_add_u32 v11, v11, 23, 0x37800000
	s_delay_alu instid0(VALU_DEP_2) | instskip(NEXT) | instid1(VALU_DEP_1)
	v_lshlrev_b32_e32 v12, 21, v12
	v_or3_b32 v9, v9, v11, v12
	s_delay_alu instid0(VALU_DEP_1)
	v_cvt_f64_f32_e32 v[11:12], v9
.LBB9_1574:
	s_or_b32 exec_lo, exec_lo, s0
	s_mov_b32 s0, 0
	s_branch .LBB9_1578
.LBB9_1575:
	s_mov_b32 s1, -1
                                        ; implicit-def: $vgpr11_vgpr12
	s_branch .LBB9_1584
.LBB9_1576:
	s_mov_b32 s0, -1
                                        ; implicit-def: $vgpr11_vgpr12
	s_branch .LBB9_1581
.LBB9_1577:
	s_mov_b32 s0, -1
                                        ; implicit-def: $vgpr11_vgpr12
.LBB9_1578:
	s_delay_alu instid0(SALU_CYCLE_1)
	s_and_b32 vcc_lo, exec_lo, s0
	s_cbranch_vccz .LBB9_1580
; %bb.1579:
	global_load_u8 v9, v[7:8], off
	s_waitcnt vmcnt(0)
	v_lshlrev_b32_e32 v9, 24, v9
	s_delay_alu instid0(VALU_DEP_1) | instskip(NEXT) | instid1(VALU_DEP_1)
	v_and_b32_e32 v11, 0x7f000000, v9
	v_clz_i32_u32_e32 v12, v11
	v_cmp_ne_u32_e32 vcc_lo, 0, v11
	v_add_nc_u32_e32 v16, 0x1000000, v11
	s_delay_alu instid0(VALU_DEP_3) | instskip(NEXT) | instid1(VALU_DEP_1)
	v_min_u32_e32 v12, 32, v12
	v_sub_nc_u32_e64 v12, v12, 4 clamp
	s_delay_alu instid0(VALU_DEP_1) | instskip(SKIP_1) | instid1(VALU_DEP_2)
	v_lshlrev_b32_e32 v15, v12, v11
	v_lshlrev_b32_e32 v12, 23, v12
	v_lshrrev_b32_e32 v15, 4, v15
	s_delay_alu instid0(VALU_DEP_1) | instskip(SKIP_1) | instid1(VALU_DEP_2)
	v_sub_nc_u32_e32 v12, v15, v12
	v_ashrrev_i32_e32 v15, 8, v16
	v_add_nc_u32_e32 v12, 0x3c000000, v12
	s_delay_alu instid0(VALU_DEP_1) | instskip(NEXT) | instid1(VALU_DEP_1)
	v_and_or_b32 v12, 0x7f800000, v15, v12
	v_cndmask_b32_e32 v11, 0, v12, vcc_lo
	s_delay_alu instid0(VALU_DEP_1) | instskip(NEXT) | instid1(VALU_DEP_1)
	v_and_or_b32 v9, 0x80000000, v9, v11
	v_cvt_f64_f32_e32 v[11:12], v9
.LBB9_1580:
	s_mov_b32 s0, 0
.LBB9_1581:
	s_delay_alu instid0(SALU_CYCLE_1)
	s_and_not1_b32 vcc_lo, exec_lo, s0
	s_cbranch_vccnz .LBB9_1583
; %bb.1582:
	global_load_u8 v9, v[7:8], off
	s_waitcnt vmcnt(0)
	v_lshlrev_b32_e32 v11, 25, v9
	v_lshlrev_b16 v9, 8, v9
	s_delay_alu instid0(VALU_DEP_2) | instskip(NEXT) | instid1(VALU_DEP_2)
	v_lshrrev_b32_e32 v12, 4, v11
	v_and_or_b32 v15, 0x7f00, v9, 0.5
	v_bfe_i32 v9, v9, 0, 16
	s_delay_alu instid0(VALU_DEP_3) | instskip(NEXT) | instid1(VALU_DEP_1)
	v_or_b32_e32 v12, 0x70000000, v12
	v_dual_add_f32 v15, -0.5, v15 :: v_dual_mul_f32 v12, 0x7800000, v12
	v_cmp_gt_u32_e32 vcc_lo, 0x8000000, v11
	s_delay_alu instid0(VALU_DEP_2) | instskip(NEXT) | instid1(VALU_DEP_1)
	v_cndmask_b32_e32 v11, v12, v15, vcc_lo
	v_and_or_b32 v9, 0x80000000, v9, v11
	s_delay_alu instid0(VALU_DEP_1)
	v_cvt_f64_f32_e32 v[11:12], v9
.LBB9_1583:
	s_mov_b32 s1, 0
	s_mov_b32 s0, -1
.LBB9_1584:
	s_and_not1_b32 vcc_lo, exec_lo, s1
	s_mov_b32 s11, 0
	s_cbranch_vccnz .LBB9_1593
; %bb.1585:
	v_cmp_lt_i16_e32 vcc_lo, 14, v13
	s_cbranch_vccz .LBB9_1588
; %bb.1586:
	v_cmp_eq_u16_e32 vcc_lo, 15, v13
	s_cbranch_vccz .LBB9_1589
; %bb.1587:
	global_load_u16 v9, v[7:8], off
	s_mov_b32 s10, 0
	s_mov_b32 s0, -1
	s_waitcnt vmcnt(0)
	v_lshlrev_b32_e32 v9, 16, v9
	s_delay_alu instid0(VALU_DEP_1)
	v_cvt_f64_f32_e32 v[11:12], v9
	s_branch .LBB9_1590
.LBB9_1588:
	s_mov_b32 s1, -1
                                        ; implicit-def: $vgpr11_vgpr12
	s_branch .LBB9_1591
.LBB9_1589:
	s_mov_b32 s10, -1
                                        ; implicit-def: $vgpr11_vgpr12
.LBB9_1590:
	s_mov_b32 s1, 0
.LBB9_1591:
	s_delay_alu instid0(SALU_CYCLE_1)
	s_and_b32 vcc_lo, exec_lo, s1
	s_cbranch_vccz .LBB9_1593
; %bb.1592:
	v_cmp_ne_u16_e64 s10, 11, v13
	s_mov_b32 s11, -1
                                        ; implicit-def: $vgpr11_vgpr12
.LBB9_1593:
	s_delay_alu instid0(VALU_DEP_1)
	s_and_b32 vcc_lo, exec_lo, s10
	s_cbranch_vccnz .LBB9_1621
; %bb.1594:
	s_and_not1_b32 vcc_lo, exec_lo, s11
	s_cbranch_vccnz .LBB9_1596
.LBB9_1595:
	global_load_u8 v9, v[7:8], off
	v_mov_b32_e32 v11, 0
	s_mov_b32 s0, -1
	s_waitcnt vmcnt(0)
	v_cmp_ne_u16_e32 vcc_lo, 0, v9
	v_cndmask_b32_e64 v12, 0, 0x3ff00000, vcc_lo
.LBB9_1596:
.LBB9_1597:
	s_and_not1_b32 vcc_lo, exec_lo, s0
	s_cbranch_vccnz .LBB9_2186
.LBB9_1598:
	s_waitcnt vmcnt(0)
	s_delay_alu instid0(VALU_DEP_1) | instskip(NEXT) | instid1(VALU_DEP_1)
	v_cmp_ge_f64_e64 s0, 0x40200000, |v[11:12]|
                                        ; implicit-def: $vgpr8_vgpr9
	s_and_saveexec_b32 s1, s0
	s_delay_alu instid0(SALU_CYCLE_1)
	s_xor_b32 s0, exec_lo, s1
	s_cbranch_execz .LBB9_1604
; %bb.1599:
	v_fma_f64 v[7:8], |v[11:12]|, 0.5, -2.0
	s_mov_b32 s10, 0xc38a0576
	s_mov_b32 s11, 0xbc7857d0
	;; [unrolled: 1-line block ×4, first 2 shown]
	s_mov_b32 s1, exec_lo
	s_delay_alu instid0(VALU_DEP_1) | instskip(SKIP_3) | instid1(VALU_DEP_1)
	v_fma_f64 v[15:16], v[7:8], s[12:13], s[10:11]
	s_mov_b32 s13, 0xbc499f2a
	s_mov_b32 s10, 0xe593bfac
	;; [unrolled: 1-line block ×3, first 2 shown]
	v_fma_f64 v[17:18], v[7:8], v[15:16], s[12:13]
	s_delay_alu instid0(VALU_DEP_1) | instskip(SKIP_2) | instid1(VALU_DEP_1)
	v_add_f64 v[17:18], v[17:18], s[10:11]
	s_mov_b32 s10, 0x7e0d1573
	s_mov_b32 s11, 0xbcd3eaaa
	v_fma_f64 v[15:16], v[7:8], v[17:18], -v[15:16]
	s_delay_alu instid0(VALU_DEP_1) | instskip(SKIP_2) | instid1(VALU_DEP_1)
	v_add_f64 v[15:16], v[15:16], s[10:11]
	s_mov_b32 s10, 0x615290c
	s_mov_b32 s11, 0x3d011d7f
	v_fma_f64 v[17:18], v[7:8], v[15:16], -v[17:18]
	;; [unrolled: 5-line block ×26, first 2 shown]
	s_delay_alu instid0(VALU_DEP_1) | instskip(NEXT) | instid1(VALU_DEP_1)
	v_add_f64 v[7:8], v[7:8], s[10:11]
	v_add_f64 v[15:16], v[7:8], -v[17:18]
                                        ; implicit-def: $vgpr8_vgpr9
	v_cmpx_ngt_f64_e32 0, v[11:12]
	s_xor_b32 s1, exec_lo, s1
	s_cbranch_execz .LBB9_1601
; %bb.1600:
	s_mov_b32 s10, 0x652b82fe
	s_mov_b32 s11, 0x3ff71547
	;; [unrolled: 1-line block ×3, first 2 shown]
	v_mul_f64 v[7:8], |v[11:12]|, s[10:11]
	s_mov_b32 s10, 0xfefa39ef
	s_mov_b32 s11, 0xbfe62e42
	;; [unrolled: 1-line block ×3, first 2 shown]
	s_delay_alu instid0(VALU_DEP_3) | instskip(SKIP_1) | instid1(VALU_DEP_3)
	v_mul_f64 v[15:16], v[15:16], 0.5
	v_cmp_nlt_f64_e64 vcc_lo, 0x40900000, |v[11:12]|
	v_rndne_f64_e32 v[7:8], v[7:8]
	s_delay_alu instid0(VALU_DEP_1) | instskip(SKIP_4) | instid1(VALU_DEP_3)
	v_fma_f64 v[17:18], v[7:8], s[10:11], |v[11:12]|
	s_mov_b32 s10, 0x3b39803f
	s_mov_b32 s11, 0xbc7abc9e
	v_cvt_i32_f64_e32 v9, v[7:8]
	v_mul_f64 v[11:12], |v[11:12]|, v[15:16]
                                        ; implicit-def: $vgpr15_vgpr16
	v_fma_f64 v[17:18], v[7:8], s[10:11], v[17:18]
	s_mov_b32 s10, 0xfca7ab0c
	s_mov_b32 s11, 0x3e928af3
	s_delay_alu instid0(VALU_DEP_1) | instid1(SALU_CYCLE_1)
	v_fma_f64 v[19:20], v[17:18], s[12:13], s[10:11]
	s_mov_b32 s10, 0x623fde64
	s_mov_b32 s11, 0x3ec71dee
	s_delay_alu instid0(VALU_DEP_1) | instid1(SALU_CYCLE_1)
	;; [unrolled: 4-line block ×9, first 2 shown]
	v_fma_f64 v[19:20], v[17:18], v[19:20], s[10:11]
	s_delay_alu instid0(VALU_DEP_1) | instskip(NEXT) | instid1(VALU_DEP_1)
	v_fma_f64 v[19:20], v[17:18], v[19:20], 1.0
	v_fma_f64 v[7:8], v[17:18], v[19:20], 1.0
	s_delay_alu instid0(VALU_DEP_1) | instskip(NEXT) | instid1(VALU_DEP_1)
	v_ldexp_f64 v[7:8], v[7:8], v9
	v_cndmask_b32_e32 v8, 0x7ff00000, v8, vcc_lo
	s_delay_alu instid0(VALU_DEP_2) | instskip(NEXT) | instid1(VALU_DEP_1)
	v_cndmask_b32_e32 v7, 0, v7, vcc_lo
	v_mul_f64 v[8:9], v[7:8], v[11:12]
                                        ; implicit-def: $vgpr11_vgpr12
.LBB9_1601:
	s_and_not1_saveexec_b32 s1, s1
	s_cbranch_execz .LBB9_1603
; %bb.1602:
	s_mov_b32 s10, 0x652b82fe
	s_mov_b32 s11, 0x3ff71547
	;; [unrolled: 1-line block ×3, first 2 shown]
	v_mul_f64 v[7:8], |v[11:12]|, s[10:11]
	s_mov_b32 s10, 0xfefa39ef
	s_mov_b32 s11, 0xbfe62e42
	;; [unrolled: 1-line block ×3, first 2 shown]
	s_delay_alu instid0(VALU_DEP_3) | instskip(SKIP_1) | instid1(VALU_DEP_3)
	v_mul_f64 v[15:16], v[15:16], -0.5
	v_cmp_nlt_f64_e64 vcc_lo, 0x40900000, |v[11:12]|
	v_rndne_f64_e32 v[7:8], v[7:8]
	s_delay_alu instid0(VALU_DEP_1) | instskip(SKIP_4) | instid1(VALU_DEP_3)
	v_fma_f64 v[17:18], v[7:8], s[10:11], |v[11:12]|
	s_mov_b32 s10, 0x3b39803f
	s_mov_b32 s11, 0xbc7abc9e
	v_cvt_i32_f64_e32 v9, v[7:8]
	v_mul_f64 v[11:12], |v[11:12]|, v[15:16]
	v_fma_f64 v[17:18], v[7:8], s[10:11], v[17:18]
	s_mov_b32 s10, 0xfca7ab0c
	s_mov_b32 s11, 0x3e928af3
	s_delay_alu instid0(VALU_DEP_1) | instid1(SALU_CYCLE_1)
	v_fma_f64 v[19:20], v[17:18], s[12:13], s[10:11]
	s_mov_b32 s10, 0x623fde64
	s_mov_b32 s11, 0x3ec71dee
	s_delay_alu instid0(VALU_DEP_1) | instid1(SALU_CYCLE_1)
	v_fma_f64 v[19:20], v[17:18], v[19:20], s[10:11]
	s_mov_b32 s10, 0x7c89e6b0
	s_mov_b32 s11, 0x3efa0199
	s_delay_alu instid0(VALU_DEP_1) | instid1(SALU_CYCLE_1)
	v_fma_f64 v[19:20], v[17:18], v[19:20], s[10:11]
	s_mov_b32 s10, 0x14761f6e
	s_mov_b32 s11, 0x3f2a01a0
	s_delay_alu instid0(VALU_DEP_1) | instid1(SALU_CYCLE_1)
	v_fma_f64 v[19:20], v[17:18], v[19:20], s[10:11]
	s_mov_b32 s10, 0x1852b7b0
	s_mov_b32 s11, 0x3f56c16c
	s_delay_alu instid0(VALU_DEP_1) | instid1(SALU_CYCLE_1)
	v_fma_f64 v[19:20], v[17:18], v[19:20], s[10:11]
	s_mov_b32 s10, 0x11122322
	s_mov_b32 s11, 0x3f811111
	s_delay_alu instid0(VALU_DEP_1) | instid1(SALU_CYCLE_1)
	v_fma_f64 v[19:20], v[17:18], v[19:20], s[10:11]
	s_mov_b32 s10, 0x555502a1
	s_mov_b32 s11, 0x3fa55555
	s_delay_alu instid0(VALU_DEP_1) | instid1(SALU_CYCLE_1)
	v_fma_f64 v[19:20], v[17:18], v[19:20], s[10:11]
	s_mov_b32 s10, 0x55555511
	s_mov_b32 s11, 0x3fc55555
	s_delay_alu instid0(VALU_DEP_1) | instid1(SALU_CYCLE_1)
	v_fma_f64 v[19:20], v[17:18], v[19:20], s[10:11]
	s_mov_b32 s10, 11
	s_mov_b32 s11, 0x3fe00000
	s_delay_alu instid0(VALU_DEP_1) | instid1(SALU_CYCLE_1)
	v_fma_f64 v[19:20], v[17:18], v[19:20], s[10:11]
	s_delay_alu instid0(VALU_DEP_1) | instskip(NEXT) | instid1(VALU_DEP_1)
	v_fma_f64 v[19:20], v[17:18], v[19:20], 1.0
	v_fma_f64 v[7:8], v[17:18], v[19:20], 1.0
	s_delay_alu instid0(VALU_DEP_1) | instskip(NEXT) | instid1(VALU_DEP_1)
	v_ldexp_f64 v[7:8], v[7:8], v9
	v_cndmask_b32_e32 v8, 0x7ff00000, v8, vcc_lo
	s_delay_alu instid0(VALU_DEP_2) | instskip(NEXT) | instid1(VALU_DEP_1)
	v_cndmask_b32_e32 v7, 0, v7, vcc_lo
	v_mul_f64 v[8:9], v[7:8], v[11:12]
.LBB9_1603:
	s_or_b32 exec_lo, exec_lo, s1
                                        ; implicit-def: $vgpr11_vgpr12
.LBB9_1604:
	s_and_not1_saveexec_b32 s0, s0
	s_cbranch_execz .LBB9_1610
; %bb.1605:
	v_dual_mov_b32 v7, v11 :: v_dual_and_b32 v8, 0x7fffffff, v12
	s_mov_b32 s10, 0xea87b950
	s_mov_b32 s11, 0x3c545b8a
	;; [unrolled: 1-line block ×4, first 2 shown]
	v_div_scale_f64 v[15:16], null, v[7:8], v[7:8], 0x40400000
	v_div_scale_f64 v[7:8], vcc_lo, 0x40400000, v[7:8], 0x40400000
	s_mov_b32 s14, 0x2e9e5443
	s_mov_b32 s15, 0xbe90dbfd
	s_mov_b32 s1, exec_lo
	s_delay_alu instid0(VALU_DEP_2) | instskip(SKIP_2) | instid1(VALU_DEP_1)
	v_rcp_f64_e32 v[17:18], v[15:16]
	s_waitcnt_depctr 0xfff
	v_fma_f64 v[19:20], -v[15:16], v[17:18], 1.0
	v_fma_f64 v[17:18], v[17:18], v[19:20], v[17:18]
	s_delay_alu instid0(VALU_DEP_1) | instskip(NEXT) | instid1(VALU_DEP_1)
	v_fma_f64 v[19:20], -v[15:16], v[17:18], 1.0
	v_fma_f64 v[17:18], v[17:18], v[19:20], v[17:18]
	s_delay_alu instid0(VALU_DEP_1) | instskip(NEXT) | instid1(VALU_DEP_1)
	v_mul_f64 v[19:20], v[7:8], v[17:18]
	v_fma_f64 v[7:8], -v[15:16], v[19:20], v[7:8]
	s_delay_alu instid0(VALU_DEP_1) | instskip(NEXT) | instid1(VALU_DEP_1)
	v_div_fmas_f64 v[7:8], v[7:8], v[17:18], v[19:20]
	v_div_fixup_f64 v[7:8], v[7:8], |v[11:12]|, 0x40400000
	s_delay_alu instid0(VALU_DEP_1) | instskip(NEXT) | instid1(VALU_DEP_1)
	v_add_f64 v[7:8], v[7:8], -2.0
	v_fma_f64 v[15:16], v[7:8], s[12:13], s[10:11]
	s_mov_b32 s13, 0xbc61556d
	s_mov_b32 s10, 0xb2532277
	;; [unrolled: 1-line block ×3, first 2 shown]
	s_delay_alu instid0(VALU_DEP_1) | instskip(SKIP_2) | instid1(VALU_DEP_1)
	v_fma_f64 v[17:18], v[7:8], v[15:16], s[12:13]
	s_mov_b32 s12, 0x9ad53528
	s_mov_b32 s13, 0xbe30790b
	v_add_f64 v[17:18], v[17:18], s[10:11]
	s_mov_b32 s10, 0x9c773320
	s_mov_b32 s11, 0xbc82806c
	s_delay_alu instid0(VALU_DEP_1) | instskip(NEXT) | instid1(VALU_DEP_1)
	v_fma_f64 v[15:16], v[7:8], v[17:18], -v[15:16]
	v_add_f64 v[15:16], v[15:16], s[10:11]
	s_mov_b32 s10, 0xfceb588a
	s_mov_b32 s11, 0x3cb55915
	s_delay_alu instid0(VALU_DEP_1) | instskip(NEXT) | instid1(VALU_DEP_1)
	v_fma_f64 v[17:18], v[7:8], v[15:16], -v[17:18]
	;; [unrolled: 5-line block ×15, first 2 shown]
	v_add_f64 v[15:16], v[15:16], s[10:11]
	s_mov_b32 s10, 0x652b82fe
	s_mov_b32 s11, 0x3ff71547
	s_delay_alu instid0(SALU_CYCLE_1) | instskip(SKIP_2) | instid1(VALU_DEP_2)
	v_mul_f64 v[19:20], |v[11:12]|, s[10:11]
	s_mov_b32 s10, 0xfefa39ef
	s_mov_b32 s11, 0xbfe62e42
	v_fma_f64 v[17:18], v[7:8], v[15:16], -v[17:18]
	s_delay_alu instid0(VALU_DEP_2) | instskip(NEXT) | instid1(VALU_DEP_2)
	v_rndne_f64_e32 v[19:20], v[19:20]
	v_add_f64 v[17:18], v[17:18], s[12:13]
	s_mov_b32 s12, 0x94bb46c1
	s_mov_b32 s13, 0xbe5c4153
	s_delay_alu instid0(VALU_DEP_2) | instskip(SKIP_2) | instid1(VALU_DEP_2)
	v_fma_f64 v[21:22], v[19:20], s[10:11], |v[11:12]|
	s_mov_b32 s10, 0x3b39803f
	s_mov_b32 s11, 0xbc7abc9e
	v_fma_f64 v[15:16], v[7:8], v[17:18], -v[15:16]
	s_delay_alu instid0(VALU_DEP_2) | instskip(SKIP_2) | instid1(VALU_DEP_2)
	v_fma_f64 v[21:22], v[19:20], s[10:11], v[21:22]
	s_mov_b32 s10, 0xfca7ab0c
	s_mov_b32 s11, 0x3e928af3
	v_add_f64 v[15:16], v[15:16], s[12:13]
	s_mov_b32 s12, 0x6a5dcb37
	s_mov_b32 s13, 0x3e5ade15
	s_delay_alu instid0(VALU_DEP_2) | instid1(SALU_CYCLE_1)
	v_fma_f64 v[23:24], v[21:22], s[12:13], s[10:11]
	s_mov_b32 s10, 0x623fde64
	s_mov_b32 s11, 0x3ec71dee
	;; [unrolled: 1-line block ×4, first 2 shown]
	s_delay_alu instid0(VALU_DEP_2) | instskip(NEXT) | instid1(VALU_DEP_2)
	v_fma_f64 v[17:18], v[7:8], v[15:16], -v[17:18]
	v_fma_f64 v[23:24], v[21:22], v[23:24], s[10:11]
	s_mov_b32 s10, 0x7c89e6b0
	s_mov_b32 s11, 0x3efa0199
	s_delay_alu instid0(VALU_DEP_2) | instskip(NEXT) | instid1(VALU_DEP_2)
	v_add_f64 v[17:18], v[17:18], s[14:15]
	v_fma_f64 v[23:24], v[21:22], v[23:24], s[10:11]
	s_mov_b32 s10, 0x14761f6e
	s_mov_b32 s11, 0x3f2a01a0
	s_delay_alu instid0(VALU_DEP_2) | instskip(NEXT) | instid1(VALU_DEP_2)
	v_fma_f64 v[15:16], v[7:8], v[17:18], -v[15:16]
	v_fma_f64 v[23:24], v[21:22], v[23:24], s[10:11]
	s_mov_b32 s10, 0x1852b7b0
	s_mov_b32 s11, 0x3f56c16c
	s_delay_alu instid0(VALU_DEP_2) | instskip(SKIP_2) | instid1(VALU_DEP_2)
	v_add_f64 v[15:16], v[15:16], s[12:13]
	s_mov_b32 s12, 0x804aa9a6
	s_mov_b32 s13, 0xbf1cfd7f
	v_fma_f64 v[23:24], v[21:22], v[23:24], s[10:11]
	s_mov_b32 s10, 0x11122322
	s_mov_b32 s11, 0x3f811111
	s_delay_alu instid0(VALU_DEP_2) | instskip(NEXT) | instid1(VALU_DEP_2)
	v_fma_f64 v[17:18], v[7:8], v[15:16], -v[17:18]
	v_fma_f64 v[23:24], v[21:22], v[23:24], s[10:11]
	s_mov_b32 s10, 0x555502a1
	s_mov_b32 s11, 0x3fa55555
	s_delay_alu instid0(VALU_DEP_2) | instskip(SKIP_2) | instid1(VALU_DEP_2)
	v_add_f64 v[17:18], v[17:18], s[12:13]
	s_mov_b32 s12, 0x53fcdb4c
	s_mov_b32 s13, 0xbf83fda0
	v_fma_f64 v[23:24], v[21:22], v[23:24], s[10:11]
	s_mov_b32 s10, 0x55555511
	s_mov_b32 s11, 0x3fc55555
	s_delay_alu instid0(VALU_DEP_2) | instskip(NEXT) | instid1(VALU_DEP_2)
	v_fma_f64 v[15:16], v[7:8], v[17:18], -v[15:16]
	v_fma_f64 v[23:24], v[21:22], v[23:24], s[10:11]
	s_mov_b32 s10, 11
	s_mov_b32 s11, 0x3fe00000
	s_delay_alu instid0(VALU_DEP_2) | instskip(SKIP_2) | instid1(VALU_DEP_1)
	v_add_f64 v[15:16], v[15:16], s[12:13]
	s_mov_b32 s12, 0xb55b1514
	s_mov_b32 s13, 0x3fe8ea18
	v_fma_f64 v[7:8], v[7:8], v[15:16], -v[17:18]
	s_delay_alu instid0(VALU_DEP_3) | instskip(NEXT) | instid1(VALU_DEP_2)
	v_fma_f64 v[15:16], v[21:22], v[23:24], s[10:11]
	v_add_f64 v[7:8], v[7:8], s[12:13]
	s_delay_alu instid0(VALU_DEP_2) | instskip(NEXT) | instid1(VALU_DEP_2)
	v_fma_f64 v[15:16], v[21:22], v[15:16], 1.0
	v_add_f64 v[8:9], v[7:8], -v[17:18]
	s_delay_alu instid0(VALU_DEP_2) | instskip(SKIP_1) | instid1(VALU_DEP_3)
	v_fma_f64 v[17:18], v[21:22], v[15:16], 1.0
	v_cvt_i32_f64_e32 v7, v[19:20]
	v_mul_f64 v[15:16], v[8:9], 0.5
                                        ; implicit-def: $vgpr8_vgpr9
	v_cmpx_ngt_f64_e32 0, v[11:12]
	s_xor_b32 s1, exec_lo, s1
	s_cbranch_execz .LBB9_1607
; %bb.1606:
	v_cmp_gt_f64_e64 s10, 0x10000000, |v[11:12]|
	s_delay_alu instid0(VALU_DEP_4) | instskip(SKIP_1) | instid1(VALU_DEP_3)
	v_ldexp_f64 v[17:18], v[17:18], v7
	v_cmp_nlt_f64_e64 vcc_lo, 0x40900000, |v[11:12]|
	v_cndmask_b32_e64 v8, 0, 1, s10
	v_cndmask_b32_e64 v7, 0, 0xffffff80, s10
	s_delay_alu instid0(VALU_DEP_4) | instskip(NEXT) | instid1(VALU_DEP_3)
	v_cndmask_b32_e32 v18, 0x7ff00000, v18, vcc_lo
	v_dual_cndmask_b32 v17, 0, v17 :: v_dual_lshlrev_b32 v8, 8, v8
	s_delay_alu instid0(VALU_DEP_1) | instskip(NEXT) | instid1(VALU_DEP_2)
	v_mul_f64 v[15:16], v[17:18], v[15:16]
	v_ldexp_f64 v[8:9], |v[11:12]|, v8
	s_delay_alu instid0(VALU_DEP_1) | instskip(SKIP_4) | instid1(VALU_DEP_1)
	v_rsq_f64_e32 v[19:20], v[8:9]
	v_cmp_class_f64_e64 vcc_lo, v[8:9], 0x260
	s_waitcnt_depctr 0xfff
	v_mul_f64 v[21:22], v[8:9], v[19:20]
	v_mul_f64 v[19:20], v[19:20], 0.5
	v_fma_f64 v[23:24], -v[19:20], v[21:22], 0.5
	s_delay_alu instid0(VALU_DEP_1) | instskip(SKIP_1) | instid1(VALU_DEP_2)
	v_fma_f64 v[21:22], v[21:22], v[23:24], v[21:22]
	v_fma_f64 v[19:20], v[19:20], v[23:24], v[19:20]
	v_fma_f64 v[23:24], -v[21:22], v[21:22], v[8:9]
	s_delay_alu instid0(VALU_DEP_1) | instskip(NEXT) | instid1(VALU_DEP_1)
	v_fma_f64 v[21:22], v[23:24], v[19:20], v[21:22]
	v_fma_f64 v[23:24], -v[21:22], v[21:22], v[8:9]
	s_delay_alu instid0(VALU_DEP_1) | instskip(NEXT) | instid1(VALU_DEP_1)
	v_fma_f64 v[11:12], v[23:24], v[19:20], v[21:22]
	v_ldexp_f64 v[11:12], v[11:12], v7
                                        ; implicit-def: $vgpr7
	s_delay_alu instid0(VALU_DEP_1) | instskip(NEXT) | instid1(VALU_DEP_1)
	v_dual_cndmask_b32 v9, v12, v9 :: v_dual_cndmask_b32 v8, v11, v8
	v_div_scale_f64 v[11:12], null, v[8:9], v[8:9], v[15:16]
	s_delay_alu instid0(VALU_DEP_1) | instskip(SKIP_2) | instid1(VALU_DEP_1)
	v_rcp_f64_e32 v[17:18], v[11:12]
	s_waitcnt_depctr 0xfff
	v_fma_f64 v[19:20], -v[11:12], v[17:18], 1.0
	v_fma_f64 v[17:18], v[17:18], v[19:20], v[17:18]
	s_delay_alu instid0(VALU_DEP_1) | instskip(NEXT) | instid1(VALU_DEP_1)
	v_fma_f64 v[19:20], -v[11:12], v[17:18], 1.0
	v_fma_f64 v[17:18], v[17:18], v[19:20], v[17:18]
	v_div_scale_f64 v[19:20], vcc_lo, v[15:16], v[8:9], v[15:16]
	s_delay_alu instid0(VALU_DEP_1) | instskip(NEXT) | instid1(VALU_DEP_1)
	v_mul_f64 v[21:22], v[19:20], v[17:18]
	v_fma_f64 v[11:12], -v[11:12], v[21:22], v[19:20]
	s_delay_alu instid0(VALU_DEP_1) | instskip(NEXT) | instid1(VALU_DEP_1)
	v_div_fmas_f64 v[11:12], v[11:12], v[17:18], v[21:22]
                                        ; implicit-def: $vgpr17_vgpr18
	v_div_fixup_f64 v[8:9], v[11:12], v[8:9], v[15:16]
                                        ; implicit-def: $vgpr11_vgpr12
                                        ; implicit-def: $vgpr15_vgpr16
.LBB9_1607:
	s_and_not1_saveexec_b32 s1, s1
	s_cbranch_execz .LBB9_1609
; %bb.1608:
	v_cmp_gt_f64_e64 s10, 0x10000000, |v[11:12]|
	s_delay_alu instid0(VALU_DEP_4) | instskip(SKIP_1) | instid1(VALU_DEP_3)
	v_ldexp_f64 v[17:18], -v[17:18], v7
	v_cmp_nlt_f64_e64 vcc_lo, 0x40900000, |v[11:12]|
	v_cndmask_b32_e64 v8, 0, 1, s10
	v_cndmask_b32_e64 v7, 0, 0xffffff80, s10
	s_delay_alu instid0(VALU_DEP_4) | instskip(NEXT) | instid1(VALU_DEP_3)
	v_cndmask_b32_e32 v18, 0xfff00000, v18, vcc_lo
	v_dual_cndmask_b32 v17, 0, v17 :: v_dual_lshlrev_b32 v8, 8, v8
	s_delay_alu instid0(VALU_DEP_1) | instskip(NEXT) | instid1(VALU_DEP_2)
	v_mul_f64 v[15:16], v[17:18], v[15:16]
	v_ldexp_f64 v[8:9], |v[11:12]|, v8
	s_delay_alu instid0(VALU_DEP_1) | instskip(SKIP_4) | instid1(VALU_DEP_1)
	v_rsq_f64_e32 v[19:20], v[8:9]
	v_cmp_class_f64_e64 vcc_lo, v[8:9], 0x260
	s_waitcnt_depctr 0xfff
	v_mul_f64 v[21:22], v[8:9], v[19:20]
	v_mul_f64 v[19:20], v[19:20], 0.5
	v_fma_f64 v[23:24], -v[19:20], v[21:22], 0.5
	s_delay_alu instid0(VALU_DEP_1) | instskip(SKIP_1) | instid1(VALU_DEP_2)
	v_fma_f64 v[21:22], v[21:22], v[23:24], v[21:22]
	v_fma_f64 v[19:20], v[19:20], v[23:24], v[19:20]
	v_fma_f64 v[23:24], -v[21:22], v[21:22], v[8:9]
	s_delay_alu instid0(VALU_DEP_1) | instskip(NEXT) | instid1(VALU_DEP_1)
	v_fma_f64 v[21:22], v[23:24], v[19:20], v[21:22]
	v_fma_f64 v[23:24], -v[21:22], v[21:22], v[8:9]
	s_delay_alu instid0(VALU_DEP_1) | instskip(NEXT) | instid1(VALU_DEP_1)
	v_fma_f64 v[11:12], v[23:24], v[19:20], v[21:22]
	v_ldexp_f64 v[11:12], v[11:12], v7
	s_delay_alu instid0(VALU_DEP_1) | instskip(NEXT) | instid1(VALU_DEP_1)
	v_dual_cndmask_b32 v9, v12, v9 :: v_dual_cndmask_b32 v8, v11, v8
	v_div_scale_f64 v[11:12], null, v[8:9], v[8:9], v[15:16]
	s_delay_alu instid0(VALU_DEP_1) | instskip(SKIP_2) | instid1(VALU_DEP_1)
	v_rcp_f64_e32 v[17:18], v[11:12]
	s_waitcnt_depctr 0xfff
	v_fma_f64 v[19:20], -v[11:12], v[17:18], 1.0
	v_fma_f64 v[17:18], v[17:18], v[19:20], v[17:18]
	s_delay_alu instid0(VALU_DEP_1) | instskip(NEXT) | instid1(VALU_DEP_1)
	v_fma_f64 v[19:20], -v[11:12], v[17:18], 1.0
	v_fma_f64 v[17:18], v[17:18], v[19:20], v[17:18]
	v_div_scale_f64 v[19:20], vcc_lo, v[15:16], v[8:9], v[15:16]
	s_delay_alu instid0(VALU_DEP_1) | instskip(NEXT) | instid1(VALU_DEP_1)
	v_mul_f64 v[21:22], v[19:20], v[17:18]
	v_fma_f64 v[11:12], -v[11:12], v[21:22], v[19:20]
	s_delay_alu instid0(VALU_DEP_1) | instskip(NEXT) | instid1(VALU_DEP_1)
	v_div_fmas_f64 v[11:12], v[11:12], v[17:18], v[21:22]
	v_div_fixup_f64 v[8:9], v[11:12], v[8:9], v[15:16]
.LBB9_1609:
	s_or_b32 exec_lo, exec_lo, s1
.LBB9_1610:
	s_delay_alu instid0(SALU_CYCLE_1) | instskip(SKIP_2) | instid1(VALU_DEP_1)
	s_or_b32 exec_lo, exec_lo, s0
	v_cmp_gt_i16_e32 vcc_lo, 11, v13
	v_add_co_u32 v11, s0, s6, v3
	v_add_co_ci_u32_e64 v12, null, s7, 0, s0
	s_mov_b32 s0, 0
	s_cbranch_vccnz .LBB9_1617
; %bb.1611:
	v_cmp_lt_i16_e32 vcc_lo, 25, v13
	s_mov_b32 s7, 0
	s_cbranch_vccz .LBB9_1618
; %bb.1612:
	v_cmp_lt_i16_e32 vcc_lo, 28, v13
	s_cbranch_vccz .LBB9_1619
; %bb.1613:
	v_cmp_lt_i16_e32 vcc_lo, 43, v13
	;; [unrolled: 3-line block ×3, first 2 shown]
	s_cbranch_vccz .LBB9_1623
; %bb.1615:
	v_cmp_eq_u16_e32 vcc_lo, 46, v13
	s_mov_b32 s1, 0
	s_cbranch_vccz .LBB9_1626
; %bb.1616:
	global_load_b32 v3, v[11:12], off
	s_mov_b32 s6, 0
	s_mov_b32 s0, -1
	s_waitcnt vmcnt(0)
	v_lshlrev_b32_e32 v3, 16, v3
	s_delay_alu instid0(VALU_DEP_1)
	v_cvt_f64_f32_e32 v[15:16], v3
	s_branch .LBB9_1628
.LBB9_1617:
	s_mov_b32 s1, -1
                                        ; implicit-def: $vgpr15_vgpr16
	s_branch .LBB9_1694
.LBB9_1618:
	s_mov_b32 s1, -1
	s_mov_b32 s6, 0
                                        ; implicit-def: $vgpr15_vgpr16
	s_branch .LBB9_1659
.LBB9_1619:
	s_mov_b32 s1, -1
	s_mov_b32 s6, 0
                                        ; implicit-def: $vgpr15_vgpr16
	s_branch .LBB9_1638
.LBB9_1620:
	s_mov_b32 s1, -1
	s_mov_b32 s6, 0
                                        ; implicit-def: $vgpr15_vgpr16
	s_branch .LBB9_1633
.LBB9_1621:
	s_cbranch_execnz .LBB9_1624
; %bb.1622:
	s_or_b32 s2, s2, exec_lo
                                        ; implicit-def: $vgpr11_vgpr12
	s_cbranch_execz .LBB9_1595
	s_branch .LBB9_1596
.LBB9_1623:
	s_mov_b32 s1, -1
	s_mov_b32 s6, 0
	s_branch .LBB9_1627
.LBB9_1624:
	s_trap 2
	s_sendmsg_rtn_b32 s0, sendmsg(MSG_RTN_GET_DOORBELL)
	s_mov_b32 ttmp2, m0
	s_waitcnt lgkmcnt(0)
	s_and_b32 s0, s0, 0x3ff
	s_delay_alu instid0(SALU_CYCLE_1) | instskip(NEXT) | instid1(SALU_CYCLE_1)
	s_bitset1_b32 s0, 10
	s_mov_b32 m0, s0
	s_sendmsg sendmsg(MSG_INTERRUPT)
	s_mov_b32 m0, ttmp2
.LBB9_1625:                             ; =>This Inner Loop Header: Depth=1
	s_sethalt 5
	s_branch .LBB9_1625
.LBB9_1626:
	s_mov_b32 s6, -1
.LBB9_1627:
                                        ; implicit-def: $vgpr15_vgpr16
.LBB9_1628:
	s_and_b32 vcc_lo, exec_lo, s1
	s_cbranch_vccz .LBB9_1632
; %bb.1629:
	v_cmp_eq_u16_e32 vcc_lo, 44, v13
	s_cbranch_vccz .LBB9_1631
; %bb.1630:
	global_load_u8 v3, v[11:12], off
	s_mov_b32 s6, 0
	s_mov_b32 s0, -1
	s_waitcnt vmcnt(0)
	v_lshlrev_b32_e32 v7, 23, v3
	v_cmp_ne_u32_e32 vcc_lo, 0xff, v3
	s_delay_alu instid0(VALU_DEP_2) | instskip(NEXT) | instid1(VALU_DEP_1)
	v_cvt_f64_f32_e32 v[15:16], v7
	v_cndmask_b32_e32 v7, 0x20000000, v15, vcc_lo
	s_delay_alu instid0(VALU_DEP_2) | instskip(SKIP_1) | instid1(VALU_DEP_2)
	v_cndmask_b32_e32 v15, 0x7ff80000, v16, vcc_lo
	v_cmp_ne_u32_e32 vcc_lo, 0, v3
	v_cndmask_b32_e32 v16, 0x38000000, v15, vcc_lo
	s_delay_alu instid0(VALU_DEP_4)
	v_cndmask_b32_e32 v15, 0, v7, vcc_lo
	s_branch .LBB9_1632
.LBB9_1631:
	s_mov_b32 s6, -1
                                        ; implicit-def: $vgpr15_vgpr16
.LBB9_1632:
	s_mov_b32 s1, 0
.LBB9_1633:
	s_delay_alu instid0(SALU_CYCLE_1)
	s_and_b32 vcc_lo, exec_lo, s1
	s_cbranch_vccz .LBB9_1637
; %bb.1634:
	v_cmp_eq_u16_e32 vcc_lo, 29, v13
	s_cbranch_vccz .LBB9_1636
; %bb.1635:
	global_load_b64 v[15:16], v[11:12], off
	s_mov_b32 s6, 0
	s_mov_b32 s0, -1
	s_mov_b32 s1, 0
	s_waitcnt vmcnt(0)
	v_cvt_f64_u32_e32 v[16:17], v16
	v_cvt_f64_u32_e32 v[18:19], v15
	s_delay_alu instid0(VALU_DEP_2) | instskip(NEXT) | instid1(VALU_DEP_1)
	v_ldexp_f64 v[16:17], v[16:17], 32
	v_add_f64 v[15:16], v[16:17], v[18:19]
	s_branch .LBB9_1638
.LBB9_1636:
	s_mov_b32 s6, -1
                                        ; implicit-def: $vgpr15_vgpr16
.LBB9_1637:
	s_mov_b32 s1, 0
.LBB9_1638:
	s_delay_alu instid0(SALU_CYCLE_1)
	s_and_b32 vcc_lo, exec_lo, s1
	s_cbranch_vccz .LBB9_1658
; %bb.1639:
	v_cmp_gt_i16_e32 vcc_lo, 27, v13
	s_cbranch_vccnz .LBB9_1642
; %bb.1640:
	v_cmp_lt_i16_e32 vcc_lo, 27, v13
	s_cbranch_vccz .LBB9_1643
; %bb.1641:
	global_load_b32 v3, v[11:12], off
	s_mov_b32 s0, 0
	s_waitcnt vmcnt(0)
	v_cvt_f64_u32_e32 v[15:16], v3
	s_branch .LBB9_1644
.LBB9_1642:
	s_mov_b32 s0, -1
                                        ; implicit-def: $vgpr15_vgpr16
	s_branch .LBB9_1647
.LBB9_1643:
	s_mov_b32 s0, -1
                                        ; implicit-def: $vgpr15_vgpr16
.LBB9_1644:
	s_delay_alu instid0(SALU_CYCLE_1)
	s_and_not1_b32 vcc_lo, exec_lo, s0
	s_cbranch_vccnz .LBB9_1646
; %bb.1645:
	global_load_u16 v3, v[11:12], off
	s_waitcnt vmcnt(0)
	v_cvt_f64_u32_e32 v[15:16], v3
.LBB9_1646:
	s_mov_b32 s0, 0
.LBB9_1647:
	s_delay_alu instid0(SALU_CYCLE_1)
	s_and_not1_b32 vcc_lo, exec_lo, s0
	s_cbranch_vccnz .LBB9_1657
; %bb.1648:
	global_load_u8 v3, v[11:12], off
	s_mov_b32 s10, 0
	s_mov_b32 s11, exec_lo
                                        ; implicit-def: $sgpr0_sgpr1
	s_waitcnt vmcnt(0)
	v_cmpx_lt_i16_e32 0x7f, v3
	s_xor_b32 s11, exec_lo, s11
	s_cbranch_execz .LBB9_1652
; %bb.1649:
	s_mov_b32 s12, -1
	s_mov_b32 s10, exec_lo
                                        ; implicit-def: $sgpr0_sgpr1
	v_cmpx_eq_u16_e32 0x80, v3
; %bb.1650:
	s_mov_b32 s1, 0x7ff80000
	s_brev_b32 s0, 4
	s_xor_b32 s12, exec_lo, -1
; %bb.1651:
	s_or_b32 exec_lo, exec_lo, s10
	s_delay_alu instid0(SALU_CYCLE_1)
	s_and_b32 s10, s12, exec_lo
.LBB9_1652:
	s_or_saveexec_b32 s11, s11
	v_dual_mov_b32 v16, s1 :: v_dual_mov_b32 v15, s0
	s_xor_b32 exec_lo, exec_lo, s11
; %bb.1653:
	v_cmp_ne_u16_e32 vcc_lo, 0, v3
	v_mov_b32_e32 v15, 0
	v_mov_b32_e32 v16, 0
	s_and_not1_b32 s0, s10, exec_lo
	s_and_b32 s1, vcc_lo, exec_lo
	s_delay_alu instid0(SALU_CYCLE_1)
	s_or_b32 s10, s0, s1
; %bb.1654:
	s_or_b32 exec_lo, exec_lo, s11
	s_and_saveexec_b32 s0, s10
	s_cbranch_execz .LBB9_1656
; %bb.1655:
	v_and_b32_e32 v7, 0xffff, v3
	v_lshlrev_b32_e32 v3, 24, v3
	s_delay_alu instid0(VALU_DEP_2) | instskip(NEXT) | instid1(VALU_DEP_2)
	v_and_b32_e32 v15, 7, v7
	v_and_b32_e32 v3, 0x80000000, v3
	s_delay_alu instid0(VALU_DEP_2) | instskip(NEXT) | instid1(VALU_DEP_1)
	v_clz_i32_u32_e32 v16, v15
	v_min_u32_e32 v16, 32, v16
	s_delay_alu instid0(VALU_DEP_1) | instskip(SKIP_1) | instid1(VALU_DEP_2)
	v_subrev_nc_u32_e32 v17, 28, v16
	v_sub_nc_u32_e32 v16, 29, v16
	v_lshlrev_b32_e32 v17, v17, v7
	v_bfe_u32 v7, v7, 3, 4
	s_delay_alu instid0(VALU_DEP_2) | instskip(NEXT) | instid1(VALU_DEP_2)
	v_and_b32_e32 v17, 7, v17
	v_cmp_eq_u32_e32 vcc_lo, 0, v7
	v_cndmask_b32_e32 v7, v7, v16, vcc_lo
	s_delay_alu instid0(VALU_DEP_3) | instskip(NEXT) | instid1(VALU_DEP_2)
	v_cndmask_b32_e32 v15, v15, v17, vcc_lo
	v_lshl_add_u32 v7, v7, 23, 0x3b800000
	s_delay_alu instid0(VALU_DEP_2) | instskip(NEXT) | instid1(VALU_DEP_1)
	v_lshlrev_b32_e32 v15, 20, v15
	v_or3_b32 v3, v3, v7, v15
	s_delay_alu instid0(VALU_DEP_1)
	v_cvt_f64_f32_e32 v[15:16], v3
.LBB9_1656:
	s_or_b32 exec_lo, exec_lo, s0
.LBB9_1657:
	s_mov_b32 s0, -1
.LBB9_1658:
	s_mov_b32 s1, 0
.LBB9_1659:
	s_delay_alu instid0(SALU_CYCLE_1)
	s_and_b32 vcc_lo, exec_lo, s1
	s_cbranch_vccz .LBB9_1690
; %bb.1660:
	v_cmp_lt_i16_e32 vcc_lo, 22, v13
	s_cbranch_vccz .LBB9_1672
; %bb.1661:
	v_cmp_gt_i16_e32 vcc_lo, 24, v13
	s_cbranch_vccnz .LBB9_1673
; %bb.1662:
	v_cmp_lt_i16_e32 vcc_lo, 24, v13
	s_cbranch_vccz .LBB9_1674
; %bb.1663:
	global_load_u8 v3, v[11:12], off
	s_mov_b32 s10, exec_lo
                                        ; implicit-def: $sgpr0_sgpr1
	s_waitcnt vmcnt(0)
	v_cmpx_lt_i16_e32 0x7f, v3
	s_xor_b32 s10, exec_lo, s10
	s_cbranch_execz .LBB9_1667
; %bb.1664:
	s_mov_b32 s11, -1
	s_mov_b32 s7, exec_lo
                                        ; implicit-def: $sgpr0_sgpr1
	v_cmpx_eq_u16_e32 0x80, v3
; %bb.1665:
	s_mov_b32 s1, 0x7ff80000
	s_brev_b32 s0, 4
	s_xor_b32 s11, exec_lo, -1
; %bb.1666:
	s_or_b32 exec_lo, exec_lo, s7
	s_delay_alu instid0(SALU_CYCLE_1)
	s_and_b32 s7, s11, exec_lo
.LBB9_1667:
	s_or_saveexec_b32 s10, s10
	v_dual_mov_b32 v16, s1 :: v_dual_mov_b32 v15, s0
	s_xor_b32 exec_lo, exec_lo, s10
; %bb.1668:
	v_cmp_ne_u16_e32 vcc_lo, 0, v3
	v_mov_b32_e32 v15, 0
	v_mov_b32_e32 v16, 0
	s_and_not1_b32 s0, s7, exec_lo
	s_and_b32 s1, vcc_lo, exec_lo
	s_delay_alu instid0(SALU_CYCLE_1)
	s_or_b32 s7, s0, s1
; %bb.1669:
	s_or_b32 exec_lo, exec_lo, s10
	s_and_saveexec_b32 s0, s7
	s_cbranch_execz .LBB9_1671
; %bb.1670:
	v_and_b32_e32 v7, 0xffff, v3
	v_lshlrev_b32_e32 v3, 24, v3
	s_delay_alu instid0(VALU_DEP_2) | instskip(NEXT) | instid1(VALU_DEP_2)
	v_and_b32_e32 v15, 3, v7
	v_and_b32_e32 v3, 0x80000000, v3
	s_delay_alu instid0(VALU_DEP_2) | instskip(NEXT) | instid1(VALU_DEP_1)
	v_clz_i32_u32_e32 v16, v15
	v_min_u32_e32 v16, 32, v16
	s_delay_alu instid0(VALU_DEP_1) | instskip(SKIP_1) | instid1(VALU_DEP_2)
	v_subrev_nc_u32_e32 v17, 29, v16
	v_sub_nc_u32_e32 v16, 30, v16
	v_lshlrev_b32_e32 v17, v17, v7
	v_bfe_u32 v7, v7, 2, 5
	s_delay_alu instid0(VALU_DEP_2) | instskip(NEXT) | instid1(VALU_DEP_2)
	v_and_b32_e32 v17, 3, v17
	v_cmp_eq_u32_e32 vcc_lo, 0, v7
	v_cndmask_b32_e32 v7, v7, v16, vcc_lo
	s_delay_alu instid0(VALU_DEP_3) | instskip(NEXT) | instid1(VALU_DEP_2)
	v_cndmask_b32_e32 v15, v15, v17, vcc_lo
	v_lshl_add_u32 v7, v7, 23, 0x37800000
	s_delay_alu instid0(VALU_DEP_2) | instskip(NEXT) | instid1(VALU_DEP_1)
	v_lshlrev_b32_e32 v15, 21, v15
	v_or3_b32 v3, v3, v7, v15
	s_delay_alu instid0(VALU_DEP_1)
	v_cvt_f64_f32_e32 v[15:16], v3
.LBB9_1671:
	s_or_b32 exec_lo, exec_lo, s0
	s_mov_b32 s0, 0
	s_branch .LBB9_1675
.LBB9_1672:
	s_mov_b32 s1, -1
                                        ; implicit-def: $vgpr15_vgpr16
	s_branch .LBB9_1681
.LBB9_1673:
	s_mov_b32 s0, -1
                                        ; implicit-def: $vgpr15_vgpr16
	s_branch .LBB9_1678
.LBB9_1674:
	s_mov_b32 s0, -1
                                        ; implicit-def: $vgpr15_vgpr16
.LBB9_1675:
	s_delay_alu instid0(SALU_CYCLE_1)
	s_and_b32 vcc_lo, exec_lo, s0
	s_cbranch_vccz .LBB9_1677
; %bb.1676:
	global_load_u8 v3, v[11:12], off
	s_waitcnt vmcnt(0)
	v_lshlrev_b32_e32 v3, 24, v3
	s_delay_alu instid0(VALU_DEP_1) | instskip(NEXT) | instid1(VALU_DEP_1)
	v_and_b32_e32 v7, 0x7f000000, v3
	v_clz_i32_u32_e32 v15, v7
	v_add_nc_u32_e32 v17, 0x1000000, v7
	v_cmp_ne_u32_e32 vcc_lo, 0, v7
	s_delay_alu instid0(VALU_DEP_3) | instskip(NEXT) | instid1(VALU_DEP_1)
	v_min_u32_e32 v15, 32, v15
	v_sub_nc_u32_e64 v15, v15, 4 clamp
	s_delay_alu instid0(VALU_DEP_1) | instskip(SKIP_1) | instid1(VALU_DEP_2)
	v_lshlrev_b32_e32 v16, v15, v7
	v_lshlrev_b32_e32 v15, 23, v15
	v_lshrrev_b32_e32 v16, 4, v16
	s_delay_alu instid0(VALU_DEP_1) | instskip(SKIP_1) | instid1(VALU_DEP_2)
	v_sub_nc_u32_e32 v15, v16, v15
	v_ashrrev_i32_e32 v16, 8, v17
	v_add_nc_u32_e32 v15, 0x3c000000, v15
	s_delay_alu instid0(VALU_DEP_1) | instskip(NEXT) | instid1(VALU_DEP_1)
	v_and_or_b32 v15, 0x7f800000, v16, v15
	v_cndmask_b32_e32 v7, 0, v15, vcc_lo
	s_delay_alu instid0(VALU_DEP_1) | instskip(NEXT) | instid1(VALU_DEP_1)
	v_and_or_b32 v3, 0x80000000, v3, v7
	v_cvt_f64_f32_e32 v[15:16], v3
.LBB9_1677:
	s_mov_b32 s0, 0
.LBB9_1678:
	s_delay_alu instid0(SALU_CYCLE_1)
	s_and_not1_b32 vcc_lo, exec_lo, s0
	s_cbranch_vccnz .LBB9_1680
; %bb.1679:
	global_load_u8 v3, v[11:12], off
	s_waitcnt vmcnt(0)
	v_lshlrev_b32_e32 v7, 25, v3
	v_lshlrev_b16 v3, 8, v3
	s_delay_alu instid0(VALU_DEP_1) | instskip(SKIP_1) | instid1(VALU_DEP_2)
	v_and_or_b32 v16, 0x7f00, v3, 0.5
	v_bfe_i32 v3, v3, 0, 16
	v_add_f32_e32 v16, -0.5, v16
	v_lshrrev_b32_e32 v15, 4, v7
	v_cmp_gt_u32_e32 vcc_lo, 0x8000000, v7
	s_delay_alu instid0(VALU_DEP_2) | instskip(NEXT) | instid1(VALU_DEP_1)
	v_or_b32_e32 v15, 0x70000000, v15
	v_mul_f32_e32 v15, 0x7800000, v15
	s_delay_alu instid0(VALU_DEP_1) | instskip(NEXT) | instid1(VALU_DEP_1)
	v_cndmask_b32_e32 v7, v15, v16, vcc_lo
	v_and_or_b32 v3, 0x80000000, v3, v7
	s_delay_alu instid0(VALU_DEP_1)
	v_cvt_f64_f32_e32 v[15:16], v3
.LBB9_1680:
	s_mov_b32 s1, 0
	s_mov_b32 s0, -1
.LBB9_1681:
	s_and_not1_b32 vcc_lo, exec_lo, s1
	s_mov_b32 s7, 0
	s_cbranch_vccnz .LBB9_1690
; %bb.1682:
	v_cmp_lt_i16_e32 vcc_lo, 14, v13
	s_cbranch_vccz .LBB9_1685
; %bb.1683:
	v_cmp_eq_u16_e32 vcc_lo, 15, v13
	s_cbranch_vccz .LBB9_1686
; %bb.1684:
	global_load_u16 v3, v[11:12], off
	s_mov_b32 s6, 0
	s_mov_b32 s0, -1
	s_waitcnt vmcnt(0)
	v_lshlrev_b32_e32 v3, 16, v3
	s_delay_alu instid0(VALU_DEP_1)
	v_cvt_f64_f32_e32 v[15:16], v3
	s_branch .LBB9_1687
.LBB9_1685:
	s_mov_b32 s1, -1
                                        ; implicit-def: $vgpr15_vgpr16
	s_branch .LBB9_1688
.LBB9_1686:
	s_mov_b32 s6, -1
                                        ; implicit-def: $vgpr15_vgpr16
.LBB9_1687:
	s_mov_b32 s1, 0
.LBB9_1688:
	s_delay_alu instid0(SALU_CYCLE_1)
	s_and_b32 vcc_lo, exec_lo, s1
	s_cbranch_vccz .LBB9_1690
; %bb.1689:
	v_cmp_ne_u16_e64 s6, 11, v13
	s_mov_b32 s7, -1
                                        ; implicit-def: $vgpr15_vgpr16
.LBB9_1690:
	s_delay_alu instid0(VALU_DEP_1)
	s_and_b32 vcc_lo, exec_lo, s6
	s_cbranch_vccnz .LBB9_2232
; %bb.1691:
	s_and_not1_b32 vcc_lo, exec_lo, s7
	s_cbranch_vccnz .LBB9_1693
.LBB9_1692:
	global_load_u8 v3, v[11:12], off
	v_mov_b32_e32 v15, 0
	s_mov_b32 s0, -1
	s_waitcnt vmcnt(0)
	v_cmp_ne_u16_e32 vcc_lo, 0, v3
	v_cndmask_b32_e64 v16, 0, 0x3ff00000, vcc_lo
.LBB9_1693:
	s_mov_b32 s1, 0
.LBB9_1694:
	s_delay_alu instid0(SALU_CYCLE_1)
	s_and_b32 vcc_lo, exec_lo, s1
	s_cbranch_vccz .LBB9_1743
; %bb.1695:
	v_cmp_gt_i16_e32 vcc_lo, 5, v13
	s_cbranch_vccnz .LBB9_1700
; %bb.1696:
	v_cmp_gt_i16_e32 vcc_lo, 8, v13
	s_cbranch_vccnz .LBB9_1701
	;; [unrolled: 3-line block ×3, first 2 shown]
; %bb.1698:
	v_cmp_lt_i16_e32 vcc_lo, 9, v13
	s_cbranch_vccz .LBB9_1703
; %bb.1699:
	global_load_b64 v[15:16], v[11:12], off
	s_mov_b32 s0, 0
	s_branch .LBB9_1704
.LBB9_1700:
	s_mov_b32 s0, -1
                                        ; implicit-def: $vgpr15_vgpr16
	s_branch .LBB9_1722
.LBB9_1701:
	s_mov_b32 s0, -1
                                        ; implicit-def: $vgpr15_vgpr16
	s_branch .LBB9_1710
.LBB9_1702:
	s_mov_b32 s0, -1
                                        ; implicit-def: $vgpr15_vgpr16
	s_branch .LBB9_1707
.LBB9_1703:
	s_mov_b32 s0, -1
                                        ; implicit-def: $vgpr15_vgpr16
.LBB9_1704:
	s_delay_alu instid0(SALU_CYCLE_1)
	s_and_not1_b32 vcc_lo, exec_lo, s0
	s_cbranch_vccnz .LBB9_1706
; %bb.1705:
	global_load_b32 v3, v[11:12], off
	s_waitcnt vmcnt(0)
	v_cvt_f64_f32_e32 v[15:16], v3
.LBB9_1706:
	s_mov_b32 s0, 0
.LBB9_1707:
	s_delay_alu instid0(SALU_CYCLE_1)
	s_and_not1_b32 vcc_lo, exec_lo, s0
	s_cbranch_vccnz .LBB9_1709
; %bb.1708:
	global_load_b32 v3, v[11:12], off
	s_waitcnt vmcnt(0)
	v_cvt_f32_f16_e32 v3, v3
	s_delay_alu instid0(VALU_DEP_1)
	v_cvt_f64_f32_e32 v[15:16], v3
.LBB9_1709:
	s_mov_b32 s0, 0
.LBB9_1710:
	s_delay_alu instid0(SALU_CYCLE_1)
	s_and_not1_b32 vcc_lo, exec_lo, s0
	s_cbranch_vccnz .LBB9_1721
; %bb.1711:
	v_cmp_gt_i16_e32 vcc_lo, 6, v13
	s_cbranch_vccnz .LBB9_1714
; %bb.1712:
	v_cmp_lt_i16_e32 vcc_lo, 6, v13
	s_cbranch_vccz .LBB9_1715
; %bb.1713:
	global_load_b64 v[15:16], v[11:12], off
	s_mov_b32 s0, 0
	s_branch .LBB9_1716
.LBB9_1714:
	s_mov_b32 s0, -1
                                        ; implicit-def: $vgpr15_vgpr16
	s_branch .LBB9_1719
.LBB9_1715:
	s_mov_b32 s0, -1
                                        ; implicit-def: $vgpr15_vgpr16
.LBB9_1716:
	s_delay_alu instid0(SALU_CYCLE_1)
	s_and_not1_b32 vcc_lo, exec_lo, s0
	s_cbranch_vccnz .LBB9_1718
; %bb.1717:
	global_load_b32 v3, v[11:12], off
	s_waitcnt vmcnt(0)
	v_cvt_f64_f32_e32 v[15:16], v3
.LBB9_1718:
	s_mov_b32 s0, 0
.LBB9_1719:
	s_delay_alu instid0(SALU_CYCLE_1)
	s_and_not1_b32 vcc_lo, exec_lo, s0
	s_cbranch_vccnz .LBB9_1721
; %bb.1720:
	global_load_u16 v3, v[11:12], off
	s_waitcnt vmcnt(0)
	v_cvt_f32_f16_e32 v3, v3
	s_delay_alu instid0(VALU_DEP_1)
	v_cvt_f64_f32_e32 v[15:16], v3
.LBB9_1721:
	s_mov_b32 s0, 0
.LBB9_1722:
	s_delay_alu instid0(SALU_CYCLE_1)
	s_and_not1_b32 vcc_lo, exec_lo, s0
	s_cbranch_vccnz .LBB9_1742
; %bb.1723:
	v_cmp_gt_i16_e32 vcc_lo, 2, v13
	s_cbranch_vccnz .LBB9_1727
; %bb.1724:
	v_cmp_gt_i16_e32 vcc_lo, 3, v13
	s_cbranch_vccnz .LBB9_1728
; %bb.1725:
	v_cmp_lt_i16_e32 vcc_lo, 3, v13
	s_cbranch_vccz .LBB9_1729
; %bb.1726:
	global_load_b64 v[15:16], v[11:12], off
	s_mov_b32 s0, 0
	s_waitcnt vmcnt(0)
	v_cvt_f64_i32_e32 v[16:17], v16
	v_cvt_f64_u32_e32 v[18:19], v15
	s_delay_alu instid0(VALU_DEP_2) | instskip(NEXT) | instid1(VALU_DEP_1)
	v_ldexp_f64 v[16:17], v[16:17], 32
	v_add_f64 v[15:16], v[16:17], v[18:19]
	s_branch .LBB9_1730
.LBB9_1727:
	s_mov_b32 s0, -1
                                        ; implicit-def: $vgpr15_vgpr16
	s_branch .LBB9_1736
.LBB9_1728:
	s_mov_b32 s0, -1
                                        ; implicit-def: $vgpr15_vgpr16
	s_branch .LBB9_1733
.LBB9_1729:
	s_mov_b32 s0, -1
                                        ; implicit-def: $vgpr15_vgpr16
.LBB9_1730:
	s_delay_alu instid0(SALU_CYCLE_1)
	s_and_not1_b32 vcc_lo, exec_lo, s0
	s_cbranch_vccnz .LBB9_1732
; %bb.1731:
	global_load_b32 v3, v[11:12], off
	s_waitcnt vmcnt(0)
	v_cvt_f64_i32_e32 v[15:16], v3
.LBB9_1732:
	s_mov_b32 s0, 0
.LBB9_1733:
	s_delay_alu instid0(SALU_CYCLE_1)
	s_and_not1_b32 vcc_lo, exec_lo, s0
	s_cbranch_vccnz .LBB9_1735
; %bb.1734:
	global_load_i16 v3, v[11:12], off
	s_waitcnt vmcnt(0)
	v_cvt_f64_i32_e32 v[15:16], v3
.LBB9_1735:
	s_mov_b32 s0, 0
.LBB9_1736:
	s_delay_alu instid0(SALU_CYCLE_1)
	s_and_not1_b32 vcc_lo, exec_lo, s0
	s_cbranch_vccnz .LBB9_1742
; %bb.1737:
	v_cmp_lt_i16_e32 vcc_lo, 0, v13
	s_mov_b32 s0, 0
	s_cbranch_vccz .LBB9_1739
; %bb.1738:
	global_load_i8 v3, v[11:12], off
	s_waitcnt vmcnt(0)
	v_cvt_f64_i32_e32 v[15:16], v3
	s_branch .LBB9_1740
.LBB9_1739:
	s_mov_b32 s0, -1
                                        ; implicit-def: $vgpr15_vgpr16
.LBB9_1740:
	s_delay_alu instid0(SALU_CYCLE_1)
	s_and_not1_b32 vcc_lo, exec_lo, s0
	s_cbranch_vccnz .LBB9_1742
; %bb.1741:
	global_load_u8 v3, v[11:12], off
	s_waitcnt vmcnt(0)
	v_cvt_f64_u32_e32 v[15:16], v3
.LBB9_1742:
	s_mov_b32 s0, -1
.LBB9_1743:
	s_delay_alu instid0(SALU_CYCLE_1)
	s_and_not1_b32 vcc_lo, exec_lo, s0
	s_cbranch_vccnz .LBB9_2186
; %bb.1744:
	s_waitcnt vmcnt(0)
	s_delay_alu instid0(VALU_DEP_1) | instskip(NEXT) | instid1(VALU_DEP_1)
	v_cmp_ge_f64_e64 s0, 0x40200000, |v[15:16]|
                                        ; implicit-def: $vgpr12_vgpr13
	s_and_saveexec_b32 s1, s0
	s_delay_alu instid0(SALU_CYCLE_1)
	s_xor_b32 s0, exec_lo, s1
	s_cbranch_execz .LBB9_1750
; %bb.1745:
	v_fma_f64 v[11:12], |v[15:16]|, 0.5, -2.0
	s_mov_b32 s6, 0xc38a0576
	s_mov_b32 s7, 0xbc7857d0
	;; [unrolled: 1-line block ×4, first 2 shown]
	s_mov_b32 s1, exec_lo
	s_delay_alu instid0(VALU_DEP_1) | instskip(SKIP_3) | instid1(VALU_DEP_1)
	v_fma_f64 v[17:18], v[11:12], s[10:11], s[6:7]
	s_mov_b32 s11, 0xbc499f2a
	s_mov_b32 s6, 0xe593bfac
	;; [unrolled: 1-line block ×3, first 2 shown]
	v_fma_f64 v[19:20], v[11:12], v[17:18], s[10:11]
	s_delay_alu instid0(VALU_DEP_1) | instskip(SKIP_2) | instid1(VALU_DEP_1)
	v_add_f64 v[19:20], v[19:20], s[6:7]
	s_mov_b32 s6, 0x7e0d1573
	s_mov_b32 s7, 0xbcd3eaaa
	v_fma_f64 v[17:18], v[11:12], v[19:20], -v[17:18]
	s_delay_alu instid0(VALU_DEP_1) | instskip(SKIP_2) | instid1(VALU_DEP_1)
	v_add_f64 v[17:18], v[17:18], s[6:7]
	s_mov_b32 s6, 0x615290c
	s_mov_b32 s7, 0x3d011d7f
	v_fma_f64 v[19:20], v[11:12], v[17:18], -v[19:20]
	;; [unrolled: 5-line block ×26, first 2 shown]
	s_delay_alu instid0(VALU_DEP_1) | instskip(NEXT) | instid1(VALU_DEP_1)
	v_add_f64 v[11:12], v[11:12], s[6:7]
	v_add_f64 v[17:18], v[11:12], -v[19:20]
                                        ; implicit-def: $vgpr12_vgpr13
	v_cmpx_ngt_f64_e32 0, v[15:16]
	s_xor_b32 s1, exec_lo, s1
	s_cbranch_execz .LBB9_1747
; %bb.1746:
	s_mov_b32 s6, 0x652b82fe
	s_mov_b32 s7, 0x3ff71547
	s_mov_b32 s10, 0x6a5dcb37
	v_mul_f64 v[11:12], |v[15:16]|, s[6:7]
	s_mov_b32 s6, 0xfefa39ef
	s_mov_b32 s7, 0xbfe62e42
	;; [unrolled: 1-line block ×3, first 2 shown]
	s_delay_alu instid0(VALU_DEP_3) | instskip(SKIP_1) | instid1(VALU_DEP_3)
	v_mul_f64 v[17:18], v[17:18], 0.5
	v_cmp_nlt_f64_e64 vcc_lo, 0x40900000, |v[15:16]|
	v_rndne_f64_e32 v[11:12], v[11:12]
	s_delay_alu instid0(VALU_DEP_1) | instskip(SKIP_4) | instid1(VALU_DEP_3)
	v_fma_f64 v[19:20], v[11:12], s[6:7], |v[15:16]|
	s_mov_b32 s6, 0x3b39803f
	s_mov_b32 s7, 0xbc7abc9e
	v_cvt_i32_f64_e32 v3, v[11:12]
	v_mul_f64 v[15:16], |v[15:16]|, v[17:18]
                                        ; implicit-def: $vgpr17_vgpr18
	v_fma_f64 v[19:20], v[11:12], s[6:7], v[19:20]
	s_mov_b32 s6, 0xfca7ab0c
	s_mov_b32 s7, 0x3e928af3
	s_delay_alu instid0(VALU_DEP_1) | instid1(SALU_CYCLE_1)
	v_fma_f64 v[21:22], v[19:20], s[10:11], s[6:7]
	s_mov_b32 s6, 0x623fde64
	s_mov_b32 s7, 0x3ec71dee
	s_delay_alu instid0(VALU_DEP_1) | instid1(SALU_CYCLE_1)
	v_fma_f64 v[21:22], v[19:20], v[21:22], s[6:7]
	s_mov_b32 s6, 0x7c89e6b0
	s_mov_b32 s7, 0x3efa0199
	s_delay_alu instid0(VALU_DEP_1) | instid1(SALU_CYCLE_1)
	v_fma_f64 v[21:22], v[19:20], v[21:22], s[6:7]
	s_mov_b32 s6, 0x14761f6e
	s_mov_b32 s7, 0x3f2a01a0
	s_delay_alu instid0(VALU_DEP_1) | instid1(SALU_CYCLE_1)
	v_fma_f64 v[21:22], v[19:20], v[21:22], s[6:7]
	s_mov_b32 s6, 0x1852b7b0
	s_mov_b32 s7, 0x3f56c16c
	s_delay_alu instid0(VALU_DEP_1) | instid1(SALU_CYCLE_1)
	v_fma_f64 v[21:22], v[19:20], v[21:22], s[6:7]
	s_mov_b32 s6, 0x11122322
	s_mov_b32 s7, 0x3f811111
	s_delay_alu instid0(VALU_DEP_1) | instid1(SALU_CYCLE_1)
	v_fma_f64 v[21:22], v[19:20], v[21:22], s[6:7]
	s_mov_b32 s6, 0x555502a1
	s_mov_b32 s7, 0x3fa55555
	s_delay_alu instid0(VALU_DEP_1) | instid1(SALU_CYCLE_1)
	v_fma_f64 v[21:22], v[19:20], v[21:22], s[6:7]
	s_mov_b32 s6, 0x55555511
	s_mov_b32 s7, 0x3fc55555
	s_delay_alu instid0(VALU_DEP_1) | instid1(SALU_CYCLE_1)
	v_fma_f64 v[21:22], v[19:20], v[21:22], s[6:7]
	s_mov_b32 s6, 11
	s_mov_b32 s7, 0x3fe00000
	s_delay_alu instid0(VALU_DEP_1) | instid1(SALU_CYCLE_1)
	v_fma_f64 v[21:22], v[19:20], v[21:22], s[6:7]
	s_delay_alu instid0(VALU_DEP_1) | instskip(NEXT) | instid1(VALU_DEP_1)
	v_fma_f64 v[21:22], v[19:20], v[21:22], 1.0
	v_fma_f64 v[11:12], v[19:20], v[21:22], 1.0
	s_delay_alu instid0(VALU_DEP_1) | instskip(NEXT) | instid1(VALU_DEP_1)
	v_ldexp_f64 v[11:12], v[11:12], v3
	v_cndmask_b32_e32 v12, 0x7ff00000, v12, vcc_lo
	s_delay_alu instid0(VALU_DEP_2) | instskip(NEXT) | instid1(VALU_DEP_1)
	v_cndmask_b32_e32 v11, 0, v11, vcc_lo
	v_mul_f64 v[12:13], v[11:12], v[15:16]
                                        ; implicit-def: $vgpr15_vgpr16
.LBB9_1747:
	s_and_not1_saveexec_b32 s1, s1
	s_cbranch_execz .LBB9_1749
; %bb.1748:
	s_mov_b32 s6, 0x652b82fe
	s_mov_b32 s7, 0x3ff71547
	;; [unrolled: 1-line block ×3, first 2 shown]
	v_mul_f64 v[11:12], |v[15:16]|, s[6:7]
	s_mov_b32 s6, 0xfefa39ef
	s_mov_b32 s7, 0xbfe62e42
	;; [unrolled: 1-line block ×3, first 2 shown]
	s_delay_alu instid0(VALU_DEP_3) | instskip(SKIP_1) | instid1(VALU_DEP_3)
	v_mul_f64 v[17:18], v[17:18], -0.5
	v_cmp_nlt_f64_e64 vcc_lo, 0x40900000, |v[15:16]|
	v_rndne_f64_e32 v[11:12], v[11:12]
	s_delay_alu instid0(VALU_DEP_1) | instskip(SKIP_4) | instid1(VALU_DEP_3)
	v_fma_f64 v[19:20], v[11:12], s[6:7], |v[15:16]|
	s_mov_b32 s6, 0x3b39803f
	s_mov_b32 s7, 0xbc7abc9e
	v_cvt_i32_f64_e32 v3, v[11:12]
	v_mul_f64 v[15:16], |v[15:16]|, v[17:18]
	v_fma_f64 v[19:20], v[11:12], s[6:7], v[19:20]
	s_mov_b32 s6, 0xfca7ab0c
	s_mov_b32 s7, 0x3e928af3
	s_delay_alu instid0(VALU_DEP_1) | instid1(SALU_CYCLE_1)
	v_fma_f64 v[21:22], v[19:20], s[10:11], s[6:7]
	s_mov_b32 s6, 0x623fde64
	s_mov_b32 s7, 0x3ec71dee
	s_delay_alu instid0(VALU_DEP_1) | instid1(SALU_CYCLE_1)
	v_fma_f64 v[21:22], v[19:20], v[21:22], s[6:7]
	s_mov_b32 s6, 0x7c89e6b0
	s_mov_b32 s7, 0x3efa0199
	s_delay_alu instid0(VALU_DEP_1) | instid1(SALU_CYCLE_1)
	v_fma_f64 v[21:22], v[19:20], v[21:22], s[6:7]
	s_mov_b32 s6, 0x14761f6e
	s_mov_b32 s7, 0x3f2a01a0
	s_delay_alu instid0(VALU_DEP_1) | instid1(SALU_CYCLE_1)
	v_fma_f64 v[21:22], v[19:20], v[21:22], s[6:7]
	s_mov_b32 s6, 0x1852b7b0
	s_mov_b32 s7, 0x3f56c16c
	s_delay_alu instid0(VALU_DEP_1) | instid1(SALU_CYCLE_1)
	v_fma_f64 v[21:22], v[19:20], v[21:22], s[6:7]
	s_mov_b32 s6, 0x11122322
	s_mov_b32 s7, 0x3f811111
	s_delay_alu instid0(VALU_DEP_1) | instid1(SALU_CYCLE_1)
	v_fma_f64 v[21:22], v[19:20], v[21:22], s[6:7]
	s_mov_b32 s6, 0x555502a1
	s_mov_b32 s7, 0x3fa55555
	s_delay_alu instid0(VALU_DEP_1) | instid1(SALU_CYCLE_1)
	v_fma_f64 v[21:22], v[19:20], v[21:22], s[6:7]
	s_mov_b32 s6, 0x55555511
	s_mov_b32 s7, 0x3fc55555
	s_delay_alu instid0(VALU_DEP_1) | instid1(SALU_CYCLE_1)
	v_fma_f64 v[21:22], v[19:20], v[21:22], s[6:7]
	s_mov_b32 s6, 11
	s_mov_b32 s7, 0x3fe00000
	s_delay_alu instid0(VALU_DEP_1) | instid1(SALU_CYCLE_1)
	v_fma_f64 v[21:22], v[19:20], v[21:22], s[6:7]
	s_delay_alu instid0(VALU_DEP_1) | instskip(NEXT) | instid1(VALU_DEP_1)
	v_fma_f64 v[21:22], v[19:20], v[21:22], 1.0
	v_fma_f64 v[11:12], v[19:20], v[21:22], 1.0
	s_delay_alu instid0(VALU_DEP_1) | instskip(NEXT) | instid1(VALU_DEP_1)
	v_ldexp_f64 v[11:12], v[11:12], v3
	v_cndmask_b32_e32 v12, 0x7ff00000, v12, vcc_lo
	s_delay_alu instid0(VALU_DEP_2) | instskip(NEXT) | instid1(VALU_DEP_1)
	v_cndmask_b32_e32 v11, 0, v11, vcc_lo
	v_mul_f64 v[12:13], v[11:12], v[15:16]
.LBB9_1749:
	s_or_b32 exec_lo, exec_lo, s1
                                        ; implicit-def: $vgpr15_vgpr16
.LBB9_1750:
	s_and_not1_saveexec_b32 s0, s0
	s_cbranch_execz .LBB9_1756
; %bb.1751:
	v_dual_mov_b32 v11, v15 :: v_dual_and_b32 v12, 0x7fffffff, v16
	s_mov_b32 s6, 0xea87b950
	s_mov_b32 s7, 0x3c545b8a
	;; [unrolled: 1-line block ×4, first 2 shown]
	v_div_scale_f64 v[17:18], null, v[11:12], v[11:12], 0x40400000
	v_div_scale_f64 v[11:12], vcc_lo, 0x40400000, v[11:12], 0x40400000
	s_mov_b32 s12, 0x2e9e5443
	s_mov_b32 s13, 0xbe90dbfd
	s_mov_b32 s1, exec_lo
	s_delay_alu instid0(VALU_DEP_2) | instskip(SKIP_2) | instid1(VALU_DEP_1)
	v_rcp_f64_e32 v[19:20], v[17:18]
	s_waitcnt_depctr 0xfff
	v_fma_f64 v[21:22], -v[17:18], v[19:20], 1.0
	v_fma_f64 v[19:20], v[19:20], v[21:22], v[19:20]
	s_delay_alu instid0(VALU_DEP_1) | instskip(NEXT) | instid1(VALU_DEP_1)
	v_fma_f64 v[21:22], -v[17:18], v[19:20], 1.0
	v_fma_f64 v[19:20], v[19:20], v[21:22], v[19:20]
	s_delay_alu instid0(VALU_DEP_1) | instskip(NEXT) | instid1(VALU_DEP_1)
	v_mul_f64 v[21:22], v[11:12], v[19:20]
	v_fma_f64 v[11:12], -v[17:18], v[21:22], v[11:12]
	s_delay_alu instid0(VALU_DEP_1) | instskip(NEXT) | instid1(VALU_DEP_1)
	v_div_fmas_f64 v[11:12], v[11:12], v[19:20], v[21:22]
	v_div_fixup_f64 v[11:12], v[11:12], |v[15:16]|, 0x40400000
	s_delay_alu instid0(VALU_DEP_1) | instskip(NEXT) | instid1(VALU_DEP_1)
	v_add_f64 v[11:12], v[11:12], -2.0
	v_fma_f64 v[17:18], v[11:12], s[10:11], s[6:7]
	s_mov_b32 s11, 0xbc61556d
	s_mov_b32 s6, 0xb2532277
	;; [unrolled: 1-line block ×3, first 2 shown]
	s_delay_alu instid0(VALU_DEP_1) | instskip(SKIP_2) | instid1(VALU_DEP_1)
	v_fma_f64 v[19:20], v[11:12], v[17:18], s[10:11]
	s_mov_b32 s10, 0x9ad53528
	s_mov_b32 s11, 0xbe30790b
	v_add_f64 v[19:20], v[19:20], s[6:7]
	s_mov_b32 s6, 0x9c773320
	s_mov_b32 s7, 0xbc82806c
	s_delay_alu instid0(VALU_DEP_1) | instskip(NEXT) | instid1(VALU_DEP_1)
	v_fma_f64 v[17:18], v[11:12], v[19:20], -v[17:18]
	v_add_f64 v[17:18], v[17:18], s[6:7]
	s_mov_b32 s6, 0xfceb588a
	s_mov_b32 s7, 0x3cb55915
	s_delay_alu instid0(VALU_DEP_1) | instskip(NEXT) | instid1(VALU_DEP_1)
	v_fma_f64 v[19:20], v[11:12], v[17:18], -v[19:20]
	;; [unrolled: 5-line block ×15, first 2 shown]
	v_add_f64 v[17:18], v[17:18], s[6:7]
	s_mov_b32 s6, 0x652b82fe
	s_mov_b32 s7, 0x3ff71547
	s_delay_alu instid0(SALU_CYCLE_1) | instskip(SKIP_2) | instid1(VALU_DEP_2)
	v_mul_f64 v[21:22], |v[15:16]|, s[6:7]
	s_mov_b32 s6, 0xfefa39ef
	s_mov_b32 s7, 0xbfe62e42
	v_fma_f64 v[19:20], v[11:12], v[17:18], -v[19:20]
	s_delay_alu instid0(VALU_DEP_2) | instskip(NEXT) | instid1(VALU_DEP_2)
	v_rndne_f64_e32 v[21:22], v[21:22]
	v_add_f64 v[19:20], v[19:20], s[10:11]
	s_mov_b32 s10, 0x94bb46c1
	s_mov_b32 s11, 0xbe5c4153
	s_delay_alu instid0(VALU_DEP_2) | instskip(SKIP_3) | instid1(VALU_DEP_3)
	v_fma_f64 v[23:24], v[21:22], s[6:7], |v[15:16]|
	s_mov_b32 s6, 0x3b39803f
	s_mov_b32 s7, 0xbc7abc9e
	v_cvt_i32_f64_e32 v3, v[21:22]
	v_fma_f64 v[17:18], v[11:12], v[19:20], -v[17:18]
	s_delay_alu instid0(VALU_DEP_3) | instskip(SKIP_2) | instid1(VALU_DEP_2)
	v_fma_f64 v[23:24], v[21:22], s[6:7], v[23:24]
	s_mov_b32 s6, 0xfca7ab0c
	s_mov_b32 s7, 0x3e928af3
	v_add_f64 v[17:18], v[17:18], s[10:11]
	s_mov_b32 s10, 0x6a5dcb37
	s_mov_b32 s11, 0x3e5ade15
	s_delay_alu instid0(VALU_DEP_2) | instid1(SALU_CYCLE_1)
	v_fma_f64 v[25:26], v[23:24], s[10:11], s[6:7]
	s_mov_b32 s6, 0x623fde64
	s_mov_b32 s7, 0x3ec71dee
	;; [unrolled: 1-line block ×4, first 2 shown]
	s_delay_alu instid0(VALU_DEP_2) | instskip(NEXT) | instid1(VALU_DEP_2)
	v_fma_f64 v[19:20], v[11:12], v[17:18], -v[19:20]
	v_fma_f64 v[25:26], v[23:24], v[25:26], s[6:7]
	s_mov_b32 s6, 0x7c89e6b0
	s_mov_b32 s7, 0x3efa0199
	s_delay_alu instid0(VALU_DEP_2) | instskip(NEXT) | instid1(VALU_DEP_2)
	v_add_f64 v[19:20], v[19:20], s[12:13]
	v_fma_f64 v[25:26], v[23:24], v[25:26], s[6:7]
	s_mov_b32 s6, 0x14761f6e
	s_mov_b32 s7, 0x3f2a01a0
	s_delay_alu instid0(VALU_DEP_2) | instskip(NEXT) | instid1(VALU_DEP_2)
	v_fma_f64 v[17:18], v[11:12], v[19:20], -v[17:18]
	v_fma_f64 v[25:26], v[23:24], v[25:26], s[6:7]
	s_mov_b32 s6, 0x1852b7b0
	s_mov_b32 s7, 0x3f56c16c
	s_delay_alu instid0(VALU_DEP_2) | instskip(SKIP_2) | instid1(VALU_DEP_2)
	v_add_f64 v[17:18], v[17:18], s[10:11]
	s_mov_b32 s10, 0x804aa9a6
	s_mov_b32 s11, 0xbf1cfd7f
	v_fma_f64 v[25:26], v[23:24], v[25:26], s[6:7]
	s_mov_b32 s6, 0x11122322
	s_mov_b32 s7, 0x3f811111
	s_delay_alu instid0(VALU_DEP_2) | instskip(NEXT) | instid1(VALU_DEP_2)
	v_fma_f64 v[19:20], v[11:12], v[17:18], -v[19:20]
	v_fma_f64 v[25:26], v[23:24], v[25:26], s[6:7]
	s_mov_b32 s6, 0x555502a1
	s_mov_b32 s7, 0x3fa55555
	s_delay_alu instid0(VALU_DEP_2) | instskip(SKIP_2) | instid1(VALU_DEP_2)
	v_add_f64 v[19:20], v[19:20], s[10:11]
	s_mov_b32 s10, 0x53fcdb4c
	s_mov_b32 s11, 0xbf83fda0
	v_fma_f64 v[25:26], v[23:24], v[25:26], s[6:7]
	s_mov_b32 s6, 0x55555511
	s_mov_b32 s7, 0x3fc55555
	s_delay_alu instid0(VALU_DEP_2) | instskip(NEXT) | instid1(VALU_DEP_2)
	v_fma_f64 v[17:18], v[11:12], v[19:20], -v[17:18]
	v_fma_f64 v[25:26], v[23:24], v[25:26], s[6:7]
	s_mov_b32 s6, 11
	s_mov_b32 s7, 0x3fe00000
	s_delay_alu instid0(VALU_DEP_2) | instskip(SKIP_2) | instid1(VALU_DEP_1)
	v_add_f64 v[17:18], v[17:18], s[10:11]
	s_mov_b32 s10, 0xb55b1514
	s_mov_b32 s11, 0x3fe8ea18
	v_fma_f64 v[11:12], v[11:12], v[17:18], -v[19:20]
	s_delay_alu instid0(VALU_DEP_3) | instskip(NEXT) | instid1(VALU_DEP_2)
	v_fma_f64 v[17:18], v[23:24], v[25:26], s[6:7]
	v_add_f64 v[11:12], v[11:12], s[10:11]
	s_delay_alu instid0(VALU_DEP_2) | instskip(NEXT) | instid1(VALU_DEP_2)
	v_fma_f64 v[17:18], v[23:24], v[17:18], 1.0
	v_add_f64 v[11:12], v[11:12], -v[19:20]
	s_delay_alu instid0(VALU_DEP_2) | instskip(NEXT) | instid1(VALU_DEP_2)
	v_fma_f64 v[19:20], v[23:24], v[17:18], 1.0
	v_mul_f64 v[17:18], v[11:12], 0.5
                                        ; implicit-def: $vgpr12_vgpr13
	v_cmpx_ngt_f64_e32 0, v[15:16]
	s_xor_b32 s1, exec_lo, s1
	s_cbranch_execz .LBB9_1753
; %bb.1752:
	v_cmp_gt_f64_e64 s6, 0x10000000, |v[15:16]|
	s_delay_alu instid0(VALU_DEP_4) | instskip(SKIP_1) | instid1(VALU_DEP_3)
	v_ldexp_f64 v[19:20], v[19:20], v3
	v_cmp_nlt_f64_e64 vcc_lo, 0x40900000, |v[15:16]|
	v_cndmask_b32_e64 v7, 0, 1, s6
	v_cndmask_b32_e64 v3, 0, 0xffffff80, s6
	s_delay_alu instid0(VALU_DEP_2) | instskip(NEXT) | instid1(VALU_DEP_1)
	v_dual_cndmask_b32 v20, 0x7ff00000, v20 :: v_dual_lshlrev_b32 v7, 8, v7
	v_ldexp_f64 v[11:12], |v[15:16]|, v7
	s_delay_alu instid0(VALU_DEP_1) | instskip(SKIP_3) | instid1(VALU_DEP_1)
	v_rsq_f64_e32 v[21:22], v[11:12]
	s_waitcnt_depctr 0xfff
	v_mul_f64 v[23:24], v[11:12], v[21:22]
	v_mul_f64 v[21:22], v[21:22], 0.5
	v_fma_f64 v[25:26], -v[21:22], v[23:24], 0.5
	s_delay_alu instid0(VALU_DEP_1) | instskip(SKIP_1) | instid1(VALU_DEP_2)
	v_fma_f64 v[23:24], v[23:24], v[25:26], v[23:24]
	v_fma_f64 v[21:22], v[21:22], v[25:26], v[21:22]
	v_fma_f64 v[25:26], -v[23:24], v[23:24], v[11:12]
	s_delay_alu instid0(VALU_DEP_1) | instskip(NEXT) | instid1(VALU_DEP_1)
	v_fma_f64 v[23:24], v[25:26], v[21:22], v[23:24]
	v_fma_f64 v[25:26], -v[23:24], v[23:24], v[11:12]
	s_delay_alu instid0(VALU_DEP_1) | instskip(NEXT) | instid1(VALU_DEP_1)
	v_fma_f64 v[15:16], v[25:26], v[21:22], v[23:24]
	v_ldexp_f64 v[15:16], v[15:16], v3
	v_cndmask_b32_e32 v19, 0, v19, vcc_lo
	v_cmp_class_f64_e64 vcc_lo, v[11:12], 0x260
                                        ; implicit-def: $vgpr3
	s_delay_alu instid0(VALU_DEP_3) | instskip(NEXT) | instid1(VALU_DEP_3)
	v_cndmask_b32_e32 v12, v16, v12, vcc_lo
	v_mul_f64 v[17:18], v[19:20], v[17:18]
	v_cndmask_b32_e32 v11, v15, v11, vcc_lo
	s_delay_alu instid0(VALU_DEP_1) | instskip(NEXT) | instid1(VALU_DEP_1)
	v_div_scale_f64 v[15:16], null, v[11:12], v[11:12], v[17:18]
	v_rcp_f64_e32 v[19:20], v[15:16]
	s_waitcnt_depctr 0xfff
	v_fma_f64 v[21:22], -v[15:16], v[19:20], 1.0
	s_delay_alu instid0(VALU_DEP_1) | instskip(NEXT) | instid1(VALU_DEP_1)
	v_fma_f64 v[19:20], v[19:20], v[21:22], v[19:20]
	v_fma_f64 v[21:22], -v[15:16], v[19:20], 1.0
	s_delay_alu instid0(VALU_DEP_1) | instskip(SKIP_1) | instid1(VALU_DEP_1)
	v_fma_f64 v[19:20], v[19:20], v[21:22], v[19:20]
	v_div_scale_f64 v[21:22], vcc_lo, v[17:18], v[11:12], v[17:18]
	v_mul_f64 v[23:24], v[21:22], v[19:20]
	s_delay_alu instid0(VALU_DEP_1) | instskip(NEXT) | instid1(VALU_DEP_1)
	v_fma_f64 v[15:16], -v[15:16], v[23:24], v[21:22]
	v_div_fmas_f64 v[15:16], v[15:16], v[19:20], v[23:24]
                                        ; implicit-def: $vgpr19_vgpr20
	s_delay_alu instid0(VALU_DEP_1)
	v_div_fixup_f64 v[12:13], v[15:16], v[11:12], v[17:18]
                                        ; implicit-def: $vgpr15_vgpr16
                                        ; implicit-def: $vgpr17_vgpr18
.LBB9_1753:
	s_and_not1_saveexec_b32 s1, s1
	s_cbranch_execz .LBB9_1755
; %bb.1754:
	v_cmp_gt_f64_e64 s6, 0x10000000, |v[15:16]|
	s_delay_alu instid0(VALU_DEP_4) | instskip(SKIP_1) | instid1(VALU_DEP_3)
	v_ldexp_f64 v[19:20], -v[19:20], v3
	v_cmp_nlt_f64_e64 vcc_lo, 0x40900000, |v[15:16]|
	v_cndmask_b32_e64 v7, 0, 1, s6
	v_cndmask_b32_e64 v3, 0, 0xffffff80, s6
	s_delay_alu instid0(VALU_DEP_2) | instskip(NEXT) | instid1(VALU_DEP_1)
	v_dual_cndmask_b32 v20, 0xfff00000, v20 :: v_dual_lshlrev_b32 v7, 8, v7
	v_ldexp_f64 v[11:12], |v[15:16]|, v7
	s_delay_alu instid0(VALU_DEP_1) | instskip(SKIP_3) | instid1(VALU_DEP_1)
	v_rsq_f64_e32 v[21:22], v[11:12]
	s_waitcnt_depctr 0xfff
	v_mul_f64 v[23:24], v[11:12], v[21:22]
	v_mul_f64 v[21:22], v[21:22], 0.5
	v_fma_f64 v[25:26], -v[21:22], v[23:24], 0.5
	s_delay_alu instid0(VALU_DEP_1) | instskip(SKIP_1) | instid1(VALU_DEP_2)
	v_fma_f64 v[23:24], v[23:24], v[25:26], v[23:24]
	v_fma_f64 v[21:22], v[21:22], v[25:26], v[21:22]
	v_fma_f64 v[25:26], -v[23:24], v[23:24], v[11:12]
	s_delay_alu instid0(VALU_DEP_1) | instskip(NEXT) | instid1(VALU_DEP_1)
	v_fma_f64 v[23:24], v[25:26], v[21:22], v[23:24]
	v_fma_f64 v[25:26], -v[23:24], v[23:24], v[11:12]
	s_delay_alu instid0(VALU_DEP_1) | instskip(NEXT) | instid1(VALU_DEP_1)
	v_fma_f64 v[15:16], v[25:26], v[21:22], v[23:24]
	v_ldexp_f64 v[15:16], v[15:16], v3
	v_cndmask_b32_e32 v19, 0, v19, vcc_lo
	v_cmp_class_f64_e64 vcc_lo, v[11:12], 0x260
	s_delay_alu instid0(VALU_DEP_3) | instskip(NEXT) | instid1(VALU_DEP_3)
	v_cndmask_b32_e32 v12, v16, v12, vcc_lo
	v_mul_f64 v[17:18], v[19:20], v[17:18]
	v_cndmask_b32_e32 v11, v15, v11, vcc_lo
	s_delay_alu instid0(VALU_DEP_1) | instskip(NEXT) | instid1(VALU_DEP_1)
	v_div_scale_f64 v[15:16], null, v[11:12], v[11:12], v[17:18]
	v_rcp_f64_e32 v[19:20], v[15:16]
	s_waitcnt_depctr 0xfff
	v_fma_f64 v[21:22], -v[15:16], v[19:20], 1.0
	s_delay_alu instid0(VALU_DEP_1) | instskip(NEXT) | instid1(VALU_DEP_1)
	v_fma_f64 v[19:20], v[19:20], v[21:22], v[19:20]
	v_fma_f64 v[21:22], -v[15:16], v[19:20], 1.0
	s_delay_alu instid0(VALU_DEP_1) | instskip(SKIP_1) | instid1(VALU_DEP_1)
	v_fma_f64 v[19:20], v[19:20], v[21:22], v[19:20]
	v_div_scale_f64 v[21:22], vcc_lo, v[17:18], v[11:12], v[17:18]
	v_mul_f64 v[23:24], v[21:22], v[19:20]
	s_delay_alu instid0(VALU_DEP_1) | instskip(NEXT) | instid1(VALU_DEP_1)
	v_fma_f64 v[15:16], -v[15:16], v[23:24], v[21:22]
	v_div_fmas_f64 v[15:16], v[15:16], v[19:20], v[23:24]
	s_delay_alu instid0(VALU_DEP_1)
	v_div_fixup_f64 v[12:13], v[15:16], v[11:12], v[17:18]
.LBB9_1755:
	s_or_b32 exec_lo, exec_lo, s1
.LBB9_1756:
	s_delay_alu instid0(SALU_CYCLE_1) | instskip(SKIP_4) | instid1(VALU_DEP_1)
	s_or_b32 exec_lo, exec_lo, s0
	s_lshr_b32 s0, s3, 8
	s_mov_b32 s3, 0
	v_and_b32_e64 v17, 0xff, s0
	v_add_co_u32 v15, s0, s4, v2
	v_add_co_ci_u32_e64 v16, null, s5, 0, s0
	s_delay_alu instid0(VALU_DEP_3)
	v_cmp_gt_i16_e32 vcc_lo, 11, v17
	s_mov_b32 s0, -1
	s_cbranch_vccnz .LBB9_1834
; %bb.1757:
	v_cmp_lt_i16_e32 vcc_lo, 25, v17
	s_mov_b32 s6, -1
	s_mov_b32 s1, 0
	s_mov_b32 s0, 0
	s_cbranch_vccz .LBB9_1790
; %bb.1758:
	v_cmp_lt_i16_e32 vcc_lo, 28, v17
	s_cbranch_vccz .LBB9_1773
; %bb.1759:
	v_cmp_lt_i16_e32 vcc_lo, 43, v17
	;; [unrolled: 3-line block ×3, first 2 shown]
	s_cbranch_vccz .LBB9_1763
; %bb.1761:
	v_cmp_eq_u16_e32 vcc_lo, 46, v17
	s_mov_b32 s0, -1
	s_mov_b32 s6, 0
	s_cbranch_vccz .LBB9_1763
; %bb.1762:
	v_cvt_f32_f64_e32 v2, v[0:1]
	s_mov_b32 s0, 0
	s_mov_b32 s3, -1
	s_delay_alu instid0(VALU_DEP_1) | instskip(SKIP_1) | instid1(VALU_DEP_2)
	v_bfe_u32 v3, v2, 16, 1
	v_cmp_o_f32_e32 vcc_lo, v2, v2
	v_add3_u32 v3, v2, v3, 0x7fff
	s_delay_alu instid0(VALU_DEP_1) | instskip(NEXT) | instid1(VALU_DEP_1)
	v_lshrrev_b32_e32 v3, 16, v3
	v_cndmask_b32_e32 v2, 0x7fc0, v3, vcc_lo
	global_store_b32 v[15:16], v2, off
.LBB9_1763:
	s_and_b32 vcc_lo, exec_lo, s6
	s_cbranch_vccz .LBB9_1768
; %bb.1764:
	v_cmp_eq_u16_e32 vcc_lo, 44, v17
	s_mov_b32 s0, -1
	s_cbranch_vccz .LBB9_1768
; %bb.1765:
	v_cvt_f32_f64_e32 v2, v[0:1]
	v_mov_b32_e32 v3, 0xff
	s_mov_b32 s3, exec_lo
	s_delay_alu instid0(VALU_DEP_2) | instskip(NEXT) | instid1(VALU_DEP_1)
	v_bfe_u32 v7, v2, 23, 8
	v_cmpx_ne_u32_e32 0xff, v7
; %bb.1766:
	v_and_b32_e32 v3, 0x400000, v2
	v_and_or_b32 v7, 0x3fffff, v2, v7
	v_lshrrev_b32_e32 v2, 23, v2
	s_delay_alu instid0(VALU_DEP_3) | instskip(NEXT) | instid1(VALU_DEP_3)
	v_cmp_ne_u32_e32 vcc_lo, 0, v3
	v_cmp_ne_u32_e64 s0, 0, v7
	s_delay_alu instid0(VALU_DEP_1) | instskip(NEXT) | instid1(SALU_CYCLE_1)
	s_and_b32 s0, vcc_lo, s0
	v_cndmask_b32_e64 v3, 0, 1, s0
	s_delay_alu instid0(VALU_DEP_1)
	v_add_nc_u32_e32 v3, v2, v3
; %bb.1767:
	s_or_b32 exec_lo, exec_lo, s3
	s_mov_b32 s0, 0
	s_mov_b32 s3, -1
	global_store_b8 v[15:16], v3, off
.LBB9_1768:
	s_mov_b32 s6, 0
.LBB9_1769:
	s_delay_alu instid0(SALU_CYCLE_1)
	s_and_b32 vcc_lo, exec_lo, s6
	s_cbranch_vccz .LBB9_1772
; %bb.1770:
	v_cmp_eq_u16_e32 vcc_lo, 29, v17
	s_mov_b32 s0, -1
	s_cbranch_vccz .LBB9_1772
; %bb.1771:
	v_trunc_f64_e32 v[2:3], v[0:1]
	s_mov_b32 s0, 0
	s_mov_b32 s3, -1
	s_delay_alu instid0(VALU_DEP_1) | instskip(NEXT) | instid1(VALU_DEP_1)
	v_ldexp_f64 v[18:19], v[2:3], 0xffffffe0
	v_floor_f64_e32 v[18:19], v[18:19]
	s_delay_alu instid0(VALU_DEP_1) | instskip(SKIP_1) | instid1(VALU_DEP_2)
	v_fma_f64 v[2:3], 0xc1f00000, v[18:19], v[2:3]
	v_cvt_u32_f64_e32 v19, v[18:19]
	v_cvt_u32_f64_e32 v18, v[2:3]
	global_store_b64 v[15:16], v[18:19], off
.LBB9_1772:
	s_mov_b32 s6, 0
.LBB9_1773:
	s_delay_alu instid0(SALU_CYCLE_1)
	s_and_b32 vcc_lo, exec_lo, s6
	s_cbranch_vccz .LBB9_1789
; %bb.1774:
	v_cmp_gt_i16_e32 vcc_lo, 27, v17
	s_mov_b32 s3, -1
	s_cbranch_vccnz .LBB9_1780
; %bb.1775:
	v_cvt_u32_f64_e32 v2, v[0:1]
	v_cmp_lt_i16_e32 vcc_lo, 27, v17
	s_cbranch_vccz .LBB9_1777
; %bb.1776:
	s_mov_b32 s3, 0
	global_store_b32 v[15:16], v2, off
.LBB9_1777:
	s_and_not1_b32 vcc_lo, exec_lo, s3
	s_cbranch_vccnz .LBB9_1779
; %bb.1778:
	global_store_b16 v[15:16], v2, off
.LBB9_1779:
	s_mov_b32 s3, 0
.LBB9_1780:
	s_delay_alu instid0(SALU_CYCLE_1)
	s_and_not1_b32 vcc_lo, exec_lo, s3
	s_cbranch_vccnz .LBB9_1788
; %bb.1781:
	v_cvt_f32_f64_e32 v2, v[0:1]
	v_mov_b32_e32 v7, 0x80
	s_mov_b32 s3, exec_lo
	s_delay_alu instid0(VALU_DEP_2) | instskip(NEXT) | instid1(VALU_DEP_1)
	v_and_b32_e32 v3, 0x7fffffff, v2
	v_cmpx_gt_u32_e32 0x43800000, v3
	s_cbranch_execz .LBB9_1787
; %bb.1782:
	v_cmp_lt_u32_e32 vcc_lo, 0x3bffffff, v3
	s_mov_b32 s6, 0
                                        ; implicit-def: $vgpr3
	s_and_saveexec_b32 s7, vcc_lo
	s_delay_alu instid0(SALU_CYCLE_1)
	s_xor_b32 s7, exec_lo, s7
	s_cbranch_execz .LBB9_2234
; %bb.1783:
	v_bfe_u32 v3, v2, 20, 1
	s_mov_b32 s6, exec_lo
	s_delay_alu instid0(VALU_DEP_1) | instskip(NEXT) | instid1(VALU_DEP_1)
	v_add3_u32 v3, v2, v3, 0x487ffff
	v_lshrrev_b32_e32 v3, 20, v3
	s_or_saveexec_b32 s7, s7
                                        ; implicit-def: $sgpr10
	s_delay_alu instid0(SALU_CYCLE_1)
	s_xor_b32 exec_lo, exec_lo, s7
	s_cbranch_execnz .LBB9_2235
.LBB9_1784:
	s_or_b32 exec_lo, exec_lo, s7
	v_mov_b32_e32 v7, s10
	s_and_saveexec_b32 s7, s6
.LBB9_1785:
	v_lshrrev_b32_e32 v2, 24, v2
	s_delay_alu instid0(VALU_DEP_1)
	v_and_or_b32 v7, 0x80, v2, v3
.LBB9_1786:
	s_or_b32 exec_lo, exec_lo, s7
.LBB9_1787:
	s_delay_alu instid0(SALU_CYCLE_1)
	s_or_b32 exec_lo, exec_lo, s3
	global_store_b8 v[15:16], v7, off
.LBB9_1788:
	s_mov_b32 s3, -1
.LBB9_1789:
	s_mov_b32 s6, 0
.LBB9_1790:
	s_delay_alu instid0(SALU_CYCLE_1)
	s_and_b32 vcc_lo, exec_lo, s6
	s_cbranch_vccz .LBB9_1830
; %bb.1791:
	v_cmp_lt_i16_e32 vcc_lo, 22, v17
	s_mov_b32 s1, -1
	s_cbranch_vccz .LBB9_1823
; %bb.1792:
	v_cmp_gt_i16_e32 vcc_lo, 24, v17
	s_cbranch_vccnz .LBB9_1812
; %bb.1793:
	v_cmp_lt_i16_e32 vcc_lo, 24, v17
	s_cbranch_vccz .LBB9_1801
; %bb.1794:
	v_cvt_f32_f64_e32 v2, v[0:1]
	v_mov_b32_e32 v7, 0x80
	s_mov_b32 s1, exec_lo
	s_delay_alu instid0(VALU_DEP_2) | instskip(NEXT) | instid1(VALU_DEP_1)
	v_and_b32_e32 v3, 0x7fffffff, v2
	v_cmpx_gt_u32_e32 0x47800000, v3
	s_cbranch_execz .LBB9_1800
; %bb.1795:
	v_cmp_lt_u32_e32 vcc_lo, 0x37ffffff, v3
	s_mov_b32 s3, 0
                                        ; implicit-def: $vgpr3
	s_and_saveexec_b32 s6, vcc_lo
	s_delay_alu instid0(SALU_CYCLE_1)
	s_xor_b32 s6, exec_lo, s6
	s_cbranch_execz .LBB9_2240
; %bb.1796:
	v_bfe_u32 v3, v2, 21, 1
	s_mov_b32 s3, exec_lo
	s_delay_alu instid0(VALU_DEP_1) | instskip(NEXT) | instid1(VALU_DEP_1)
	v_add3_u32 v3, v2, v3, 0x88fffff
	v_lshrrev_b32_e32 v3, 21, v3
	s_or_saveexec_b32 s6, s6
                                        ; implicit-def: $sgpr7
	s_delay_alu instid0(SALU_CYCLE_1)
	s_xor_b32 exec_lo, exec_lo, s6
	s_cbranch_execnz .LBB9_2241
.LBB9_1797:
	s_or_b32 exec_lo, exec_lo, s6
	v_mov_b32_e32 v7, s7
	s_and_saveexec_b32 s6, s3
.LBB9_1798:
	v_lshrrev_b32_e32 v2, 24, v2
	s_delay_alu instid0(VALU_DEP_1)
	v_and_or_b32 v7, 0x80, v2, v3
.LBB9_1799:
	s_or_b32 exec_lo, exec_lo, s6
.LBB9_1800:
	s_delay_alu instid0(SALU_CYCLE_1)
	s_or_b32 exec_lo, exec_lo, s1
	s_mov_b32 s1, 0
	global_store_b8 v[15:16], v7, off
.LBB9_1801:
	s_and_b32 vcc_lo, exec_lo, s1
	s_cbranch_vccz .LBB9_1811
; %bb.1802:
	v_cvt_f32_f64_e32 v2, v[0:1]
	s_mov_b32 s1, exec_lo
                                        ; implicit-def: $vgpr3
	s_delay_alu instid0(VALU_DEP_1) | instskip(NEXT) | instid1(VALU_DEP_1)
	v_and_b32_e32 v7, 0x7fffffff, v2
	v_cmpx_gt_u32_e32 0x43f00000, v7
	s_xor_b32 s1, exec_lo, s1
	s_cbranch_execz .LBB9_1808
; %bb.1803:
	s_mov_b32 s3, exec_lo
                                        ; implicit-def: $vgpr3
	v_cmpx_lt_u32_e32 0x3c7fffff, v7
	s_xor_b32 s3, exec_lo, s3
; %bb.1804:
	v_bfe_u32 v3, v2, 20, 1
	s_delay_alu instid0(VALU_DEP_1) | instskip(NEXT) | instid1(VALU_DEP_1)
	v_add3_u32 v3, v2, v3, 0x407ffff
	v_and_b32_e32 v7, 0xff00000, v3
	v_lshrrev_b32_e32 v3, 20, v3
	s_delay_alu instid0(VALU_DEP_2) | instskip(NEXT) | instid1(VALU_DEP_2)
	v_cmp_ne_u32_e32 vcc_lo, 0x7f00000, v7
	v_cndmask_b32_e32 v3, 0x7e, v3, vcc_lo
; %bb.1805:
	s_and_not1_saveexec_b32 s3, s3
; %bb.1806:
	v_add_f32_e64 v3, 0x46800000, |v2|
; %bb.1807:
	s_or_b32 exec_lo, exec_lo, s3
                                        ; implicit-def: $vgpr7
.LBB9_1808:
	s_and_not1_saveexec_b32 s1, s1
; %bb.1809:
	v_mov_b32_e32 v3, 0x7f
	v_cmp_lt_u32_e32 vcc_lo, 0x7f800000, v7
	s_delay_alu instid0(VALU_DEP_2)
	v_cndmask_b32_e32 v3, 0x7e, v3, vcc_lo
; %bb.1810:
	s_or_b32 exec_lo, exec_lo, s1
	v_lshrrev_b32_e32 v2, 24, v2
	s_delay_alu instid0(VALU_DEP_1)
	v_and_or_b32 v2, 0x80, v2, v3
	global_store_b8 v[15:16], v2, off
.LBB9_1811:
	s_mov_b32 s1, 0
.LBB9_1812:
	s_delay_alu instid0(SALU_CYCLE_1)
	s_and_not1_b32 vcc_lo, exec_lo, s1
	s_cbranch_vccnz .LBB9_1822
; %bb.1813:
	v_cvt_f32_f64_e32 v2, v[0:1]
	s_mov_b32 s1, exec_lo
                                        ; implicit-def: $vgpr3
	s_delay_alu instid0(VALU_DEP_1) | instskip(NEXT) | instid1(VALU_DEP_1)
	v_and_b32_e32 v7, 0x7fffffff, v2
	v_cmpx_gt_u32_e32 0x47800000, v7
	s_xor_b32 s1, exec_lo, s1
	s_cbranch_execz .LBB9_1819
; %bb.1814:
	s_mov_b32 s3, exec_lo
                                        ; implicit-def: $vgpr3
	v_cmpx_lt_u32_e32 0x387fffff, v7
	s_xor_b32 s3, exec_lo, s3
; %bb.1815:
	v_bfe_u32 v3, v2, 21, 1
	s_delay_alu instid0(VALU_DEP_1) | instskip(NEXT) | instid1(VALU_DEP_1)
	v_add3_u32 v3, v2, v3, 0x80fffff
	v_lshrrev_b32_e32 v3, 21, v3
; %bb.1816:
	s_and_not1_saveexec_b32 s3, s3
; %bb.1817:
	v_add_f32_e64 v3, 0x43000000, |v2|
; %bb.1818:
	s_or_b32 exec_lo, exec_lo, s3
                                        ; implicit-def: $vgpr7
.LBB9_1819:
	s_and_not1_saveexec_b32 s1, s1
; %bb.1820:
	v_mov_b32_e32 v3, 0x7f
	v_cmp_lt_u32_e32 vcc_lo, 0x7f800000, v7
	s_delay_alu instid0(VALU_DEP_2)
	v_cndmask_b32_e32 v3, 0x7c, v3, vcc_lo
; %bb.1821:
	s_or_b32 exec_lo, exec_lo, s1
	v_lshrrev_b32_e32 v2, 24, v2
	s_delay_alu instid0(VALU_DEP_1)
	v_and_or_b32 v2, 0x80, v2, v3
	global_store_b8 v[15:16], v2, off
.LBB9_1822:
	s_mov_b32 s1, 0
	s_mov_b32 s3, -1
.LBB9_1823:
	s_and_not1_b32 vcc_lo, exec_lo, s1
	s_mov_b32 s1, 0
	s_cbranch_vccnz .LBB9_1830
; %bb.1824:
	v_cmp_lt_i16_e32 vcc_lo, 14, v17
	s_mov_b32 s1, -1
	s_cbranch_vccz .LBB9_1828
; %bb.1825:
	v_cmp_eq_u16_e32 vcc_lo, 15, v17
	s_mov_b32 s0, -1
	s_cbranch_vccz .LBB9_1827
; %bb.1826:
	v_cvt_f32_f64_e32 v2, v[0:1]
	s_mov_b32 s0, 0
	s_mov_b32 s3, -1
	s_delay_alu instid0(VALU_DEP_1) | instskip(SKIP_1) | instid1(VALU_DEP_2)
	v_bfe_u32 v3, v2, 16, 1
	v_cmp_o_f32_e32 vcc_lo, v2, v2
	v_add3_u32 v3, v2, v3, 0x7fff
	s_delay_alu instid0(VALU_DEP_1) | instskip(NEXT) | instid1(VALU_DEP_1)
	v_lshrrev_b32_e32 v3, 16, v3
	v_cndmask_b32_e32 v2, 0x7fc0, v3, vcc_lo
	global_store_b16 v[15:16], v2, off
.LBB9_1827:
	s_mov_b32 s1, 0
.LBB9_1828:
	s_delay_alu instid0(SALU_CYCLE_1)
	s_and_b32 vcc_lo, exec_lo, s1
	s_mov_b32 s1, 0
	s_cbranch_vccz .LBB9_1830
; %bb.1829:
	v_cmp_ne_u16_e64 s0, 11, v17
	s_mov_b32 s1, -1
.LBB9_1830:
	s_delay_alu instid0(VALU_DEP_1)
	s_and_b32 vcc_lo, exec_lo, s0
	s_cbranch_vccnz .LBB9_2238
; %bb.1831:
	s_and_not1_b32 vcc_lo, exec_lo, s1
	s_cbranch_vccnz .LBB9_1833
.LBB9_1832:
	v_cmp_neq_f64_e32 vcc_lo, 0, v[0:1]
	s_mov_b32 s3, -1
	v_cndmask_b32_e64 v2, 0, 1, vcc_lo
	global_store_b8 v[15:16], v2, off
.LBB9_1833:
	s_mov_b32 s0, 0
.LBB9_1834:
	s_delay_alu instid0(SALU_CYCLE_1)
	s_and_b32 vcc_lo, exec_lo, s0
	s_cbranch_vccz .LBB9_1873
; %bb.1835:
	v_cmp_gt_i16_e32 vcc_lo, 5, v17
	s_mov_b32 s0, -1
	s_cbranch_vccnz .LBB9_1856
; %bb.1836:
	v_cmp_gt_i16_e32 vcc_lo, 8, v17
	s_cbranch_vccnz .LBB9_1846
; %bb.1837:
	v_cmp_gt_i16_e32 vcc_lo, 9, v17
	s_cbranch_vccnz .LBB9_1843
; %bb.1838:
	v_cmp_lt_i16_e32 vcc_lo, 9, v17
	s_cbranch_vccz .LBB9_1840
; %bb.1839:
	v_mov_b32_e32 v2, 0
	s_mov_b32 s0, 0
	s_delay_alu instid0(VALU_DEP_1)
	v_mov_b32_e32 v3, v2
	global_store_b128 v[15:16], v[0:3], off
.LBB9_1840:
	s_and_not1_b32 vcc_lo, exec_lo, s0
	s_cbranch_vccnz .LBB9_1842
; %bb.1841:
	v_cvt_f32_f64_e32 v2, v[0:1]
	v_mov_b32_e32 v3, 0
	global_store_b64 v[15:16], v[2:3], off
.LBB9_1842:
	s_mov_b32 s0, 0
.LBB9_1843:
	s_delay_alu instid0(SALU_CYCLE_1)
	s_and_not1_b32 vcc_lo, exec_lo, s0
	s_cbranch_vccnz .LBB9_1845
; %bb.1844:
	v_cvt_f32_f64_e32 v2, v[0:1]
	s_delay_alu instid0(VALU_DEP_1) | instskip(NEXT) | instid1(VALU_DEP_1)
	v_cvt_f16_f32_e32 v2, v2
	v_and_b32_e32 v2, 0xffff, v2
	global_store_b32 v[15:16], v2, off
.LBB9_1845:
	s_mov_b32 s0, 0
.LBB9_1846:
	s_delay_alu instid0(SALU_CYCLE_1)
	s_and_not1_b32 vcc_lo, exec_lo, s0
	s_cbranch_vccnz .LBB9_1855
; %bb.1847:
	v_cmp_gt_i16_e32 vcc_lo, 6, v17
	s_mov_b32 s0, -1
	s_cbranch_vccnz .LBB9_1853
; %bb.1848:
	v_cmp_lt_i16_e32 vcc_lo, 6, v17
	s_cbranch_vccz .LBB9_1850
; %bb.1849:
	s_mov_b32 s0, 0
	global_store_b64 v[15:16], v[0:1], off
.LBB9_1850:
	s_and_not1_b32 vcc_lo, exec_lo, s0
	s_cbranch_vccnz .LBB9_1852
; %bb.1851:
	v_cvt_f32_f64_e32 v2, v[0:1]
	global_store_b32 v[15:16], v2, off
.LBB9_1852:
	s_mov_b32 s0, 0
.LBB9_1853:
	s_delay_alu instid0(SALU_CYCLE_1)
	s_and_not1_b32 vcc_lo, exec_lo, s0
	s_cbranch_vccnz .LBB9_1855
; %bb.1854:
	v_cvt_f32_f64_e32 v2, v[0:1]
	s_delay_alu instid0(VALU_DEP_1)
	v_cvt_f16_f32_e32 v2, v2
	global_store_b16 v[15:16], v2, off
.LBB9_1855:
	s_mov_b32 s0, 0
.LBB9_1856:
	s_delay_alu instid0(SALU_CYCLE_1)
	s_and_not1_b32 vcc_lo, exec_lo, s0
	s_cbranch_vccnz .LBB9_1872
; %bb.1857:
	v_cmp_gt_i16_e32 vcc_lo, 2, v17
	s_mov_b32 s0, -1
	s_cbranch_vccnz .LBB9_1867
; %bb.1858:
	v_cmp_gt_i16_e32 vcc_lo, 3, v17
	s_cbranch_vccnz .LBB9_1864
; %bb.1859:
	v_cmp_lt_i16_e32 vcc_lo, 3, v17
	s_cbranch_vccz .LBB9_1861
; %bb.1860:
	v_trunc_f64_e32 v[2:3], v[0:1]
	s_mov_b32 s0, 0
	s_delay_alu instid0(VALU_DEP_1) | instskip(NEXT) | instid1(VALU_DEP_1)
	v_ldexp_f64 v[18:19], v[2:3], 0xffffffe0
	v_floor_f64_e32 v[18:19], v[18:19]
	s_delay_alu instid0(VALU_DEP_1) | instskip(SKIP_1) | instid1(VALU_DEP_2)
	v_fma_f64 v[2:3], 0xc1f00000, v[18:19], v[2:3]
	v_cvt_i32_f64_e32 v19, v[18:19]
	v_cvt_u32_f64_e32 v18, v[2:3]
	global_store_b64 v[15:16], v[18:19], off
.LBB9_1861:
	s_and_not1_b32 vcc_lo, exec_lo, s0
	s_cbranch_vccnz .LBB9_1863
; %bb.1862:
	v_cvt_i32_f64_e32 v2, v[0:1]
	global_store_b32 v[15:16], v2, off
.LBB9_1863:
	s_mov_b32 s0, 0
.LBB9_1864:
	s_delay_alu instid0(SALU_CYCLE_1)
	s_and_not1_b32 vcc_lo, exec_lo, s0
	s_cbranch_vccnz .LBB9_1866
; %bb.1865:
	v_cvt_i32_f64_e32 v2, v[0:1]
	global_store_b16 v[15:16], v2, off
.LBB9_1866:
	s_mov_b32 s0, 0
.LBB9_1867:
	s_delay_alu instid0(SALU_CYCLE_1)
	s_and_not1_b32 vcc_lo, exec_lo, s0
	s_cbranch_vccnz .LBB9_1872
; %bb.1868:
	v_cmp_lt_i16_e32 vcc_lo, 0, v17
	s_mov_b32 s0, -1
	s_cbranch_vccz .LBB9_1870
; %bb.1869:
	v_cvt_i32_f64_e32 v2, v[0:1]
	s_mov_b32 s0, 0
	global_store_b8 v[15:16], v2, off
.LBB9_1870:
	s_and_not1_b32 vcc_lo, exec_lo, s0
	s_cbranch_vccnz .LBB9_1872
; %bb.1871:
	v_trunc_f64_e32 v[0:1], v[0:1]
	s_delay_alu instid0(VALU_DEP_1) | instskip(NEXT) | instid1(VALU_DEP_1)
	v_ldexp_f64 v[2:3], v[0:1], 0xffffffe0
	v_floor_f64_e32 v[2:3], v[2:3]
	s_delay_alu instid0(VALU_DEP_1) | instskip(NEXT) | instid1(VALU_DEP_1)
	v_fma_f64 v[0:1], 0xc1f00000, v[2:3], v[0:1]
	v_cvt_u32_f64_e32 v0, v[0:1]
	global_store_b8 v[15:16], v0, off
.LBB9_1872:
	s_mov_b32 s3, -1
.LBB9_1873:
	s_delay_alu instid0(SALU_CYCLE_1)
	s_and_not1_b32 vcc_lo, exec_lo, s3
	s_cbranch_vccnz .LBB9_2231
; %bb.1874:
	v_cmp_gt_i16_e32 vcc_lo, 11, v17
	v_add_co_u32 v0, s0, s4, v6
	s_delay_alu instid0(VALU_DEP_1)
	v_add_co_ci_u32_e64 v1, null, s5, 0, s0
	s_mov_b32 s3, 0
	s_mov_b32 s0, -1
	s_cbranch_vccnz .LBB9_1952
; %bb.1875:
	v_cmp_lt_i16_e32 vcc_lo, 25, v17
	s_mov_b32 s6, -1
	s_mov_b32 s1, 0
	s_mov_b32 s0, 0
	s_cbranch_vccz .LBB9_1908
; %bb.1876:
	v_cmp_lt_i16_e32 vcc_lo, 28, v17
	s_cbranch_vccz .LBB9_1891
; %bb.1877:
	v_cmp_lt_i16_e32 vcc_lo, 43, v17
	;; [unrolled: 3-line block ×3, first 2 shown]
	s_cbranch_vccz .LBB9_1881
; %bb.1879:
	v_cmp_eq_u16_e32 vcc_lo, 46, v17
	s_mov_b32 s0, -1
	s_mov_b32 s6, 0
	s_cbranch_vccz .LBB9_1881
; %bb.1880:
	v_cvt_f32_f64_e32 v2, v[4:5]
	s_mov_b32 s0, 0
	s_mov_b32 s3, -1
	s_delay_alu instid0(VALU_DEP_1) | instskip(SKIP_1) | instid1(VALU_DEP_2)
	v_bfe_u32 v3, v2, 16, 1
	v_cmp_o_f32_e32 vcc_lo, v2, v2
	v_add3_u32 v3, v2, v3, 0x7fff
	s_delay_alu instid0(VALU_DEP_1) | instskip(NEXT) | instid1(VALU_DEP_1)
	v_lshrrev_b32_e32 v3, 16, v3
	v_cndmask_b32_e32 v2, 0x7fc0, v3, vcc_lo
	global_store_b32 v[0:1], v2, off
.LBB9_1881:
	s_and_b32 vcc_lo, exec_lo, s6
	s_cbranch_vccz .LBB9_1886
; %bb.1882:
	v_cmp_eq_u16_e32 vcc_lo, 44, v17
	s_mov_b32 s0, -1
	s_cbranch_vccz .LBB9_1886
; %bb.1883:
	v_cvt_f32_f64_e32 v2, v[4:5]
	v_mov_b32_e32 v3, 0xff
	s_mov_b32 s3, exec_lo
	s_delay_alu instid0(VALU_DEP_2) | instskip(NEXT) | instid1(VALU_DEP_1)
	v_bfe_u32 v6, v2, 23, 8
	v_cmpx_ne_u32_e32 0xff, v6
; %bb.1884:
	v_and_b32_e32 v3, 0x400000, v2
	v_and_or_b32 v6, 0x3fffff, v2, v6
	v_lshrrev_b32_e32 v2, 23, v2
	s_delay_alu instid0(VALU_DEP_3) | instskip(NEXT) | instid1(VALU_DEP_3)
	v_cmp_ne_u32_e32 vcc_lo, 0, v3
	v_cmp_ne_u32_e64 s0, 0, v6
	s_delay_alu instid0(VALU_DEP_1) | instskip(NEXT) | instid1(SALU_CYCLE_1)
	s_and_b32 s0, vcc_lo, s0
	v_cndmask_b32_e64 v3, 0, 1, s0
	s_delay_alu instid0(VALU_DEP_1)
	v_add_nc_u32_e32 v3, v2, v3
; %bb.1885:
	s_or_b32 exec_lo, exec_lo, s3
	s_mov_b32 s0, 0
	s_mov_b32 s3, -1
	global_store_b8 v[0:1], v3, off
.LBB9_1886:
	s_mov_b32 s6, 0
.LBB9_1887:
	s_delay_alu instid0(SALU_CYCLE_1)
	s_and_b32 vcc_lo, exec_lo, s6
	s_cbranch_vccz .LBB9_1890
; %bb.1888:
	v_cmp_eq_u16_e32 vcc_lo, 29, v17
	s_mov_b32 s0, -1
	s_cbranch_vccz .LBB9_1890
; %bb.1889:
	v_trunc_f64_e32 v[2:3], v[4:5]
	s_mov_b32 s0, 0
	s_mov_b32 s3, -1
	s_delay_alu instid0(VALU_DEP_1) | instskip(NEXT) | instid1(VALU_DEP_1)
	v_ldexp_f64 v[6:7], v[2:3], 0xffffffe0
	v_floor_f64_e32 v[6:7], v[6:7]
	s_delay_alu instid0(VALU_DEP_1) | instskip(SKIP_1) | instid1(VALU_DEP_2)
	v_fma_f64 v[2:3], 0xc1f00000, v[6:7], v[2:3]
	v_cvt_u32_f64_e32 v7, v[6:7]
	v_cvt_u32_f64_e32 v6, v[2:3]
	global_store_b64 v[0:1], v[6:7], off
.LBB9_1890:
	s_mov_b32 s6, 0
.LBB9_1891:
	s_delay_alu instid0(SALU_CYCLE_1)
	s_and_b32 vcc_lo, exec_lo, s6
	s_cbranch_vccz .LBB9_1907
; %bb.1892:
	v_cmp_gt_i16_e32 vcc_lo, 27, v17
	s_mov_b32 s3, -1
	s_cbranch_vccnz .LBB9_1898
; %bb.1893:
	v_cvt_u32_f64_e32 v2, v[4:5]
	v_cmp_lt_i16_e32 vcc_lo, 27, v17
	s_cbranch_vccz .LBB9_1895
; %bb.1894:
	s_mov_b32 s3, 0
	global_store_b32 v[0:1], v2, off
.LBB9_1895:
	s_and_not1_b32 vcc_lo, exec_lo, s3
	s_cbranch_vccnz .LBB9_1897
; %bb.1896:
	global_store_b16 v[0:1], v2, off
.LBB9_1897:
	s_mov_b32 s3, 0
.LBB9_1898:
	s_delay_alu instid0(SALU_CYCLE_1)
	s_and_not1_b32 vcc_lo, exec_lo, s3
	s_cbranch_vccnz .LBB9_1906
; %bb.1899:
	v_cvt_f32_f64_e32 v2, v[4:5]
	v_mov_b32_e32 v6, 0x80
	s_mov_b32 s3, exec_lo
	s_delay_alu instid0(VALU_DEP_2) | instskip(NEXT) | instid1(VALU_DEP_1)
	v_and_b32_e32 v3, 0x7fffffff, v2
	v_cmpx_gt_u32_e32 0x43800000, v3
	s_cbranch_execz .LBB9_1905
; %bb.1900:
	v_cmp_lt_u32_e32 vcc_lo, 0x3bffffff, v3
	s_mov_b32 s6, 0
                                        ; implicit-def: $vgpr3
	s_and_saveexec_b32 s7, vcc_lo
	s_delay_alu instid0(SALU_CYCLE_1)
	s_xor_b32 s7, exec_lo, s7
	s_cbranch_execz .LBB9_2242
; %bb.1901:
	v_bfe_u32 v3, v2, 20, 1
	s_mov_b32 s6, exec_lo
	s_delay_alu instid0(VALU_DEP_1) | instskip(NEXT) | instid1(VALU_DEP_1)
	v_add3_u32 v3, v2, v3, 0x487ffff
	v_lshrrev_b32_e32 v3, 20, v3
	s_or_saveexec_b32 s7, s7
                                        ; implicit-def: $sgpr10
	s_delay_alu instid0(SALU_CYCLE_1)
	s_xor_b32 exec_lo, exec_lo, s7
	s_cbranch_execnz .LBB9_2243
.LBB9_1902:
	s_or_b32 exec_lo, exec_lo, s7
	v_mov_b32_e32 v6, s10
	s_and_saveexec_b32 s7, s6
.LBB9_1903:
	v_lshrrev_b32_e32 v2, 24, v2
	s_delay_alu instid0(VALU_DEP_1)
	v_and_or_b32 v6, 0x80, v2, v3
.LBB9_1904:
	s_or_b32 exec_lo, exec_lo, s7
.LBB9_1905:
	s_delay_alu instid0(SALU_CYCLE_1)
	s_or_b32 exec_lo, exec_lo, s3
	global_store_b8 v[0:1], v6, off
.LBB9_1906:
	s_mov_b32 s3, -1
.LBB9_1907:
	s_mov_b32 s6, 0
.LBB9_1908:
	s_delay_alu instid0(SALU_CYCLE_1)
	s_and_b32 vcc_lo, exec_lo, s6
	s_cbranch_vccz .LBB9_1948
; %bb.1909:
	v_cmp_lt_i16_e32 vcc_lo, 22, v17
	s_mov_b32 s1, -1
	s_cbranch_vccz .LBB9_1941
; %bb.1910:
	v_cmp_gt_i16_e32 vcc_lo, 24, v17
	s_cbranch_vccnz .LBB9_1930
; %bb.1911:
	v_cmp_lt_i16_e32 vcc_lo, 24, v17
	s_cbranch_vccz .LBB9_1919
; %bb.1912:
	v_cvt_f32_f64_e32 v2, v[4:5]
	v_mov_b32_e32 v6, 0x80
	s_mov_b32 s1, exec_lo
	s_delay_alu instid0(VALU_DEP_2) | instskip(NEXT) | instid1(VALU_DEP_1)
	v_and_b32_e32 v3, 0x7fffffff, v2
	v_cmpx_gt_u32_e32 0x47800000, v3
	s_cbranch_execz .LBB9_1918
; %bb.1913:
	v_cmp_lt_u32_e32 vcc_lo, 0x37ffffff, v3
	s_mov_b32 s3, 0
                                        ; implicit-def: $vgpr3
	s_and_saveexec_b32 s6, vcc_lo
	s_delay_alu instid0(SALU_CYCLE_1)
	s_xor_b32 s6, exec_lo, s6
	s_cbranch_execz .LBB9_2248
; %bb.1914:
	v_bfe_u32 v3, v2, 21, 1
	s_mov_b32 s3, exec_lo
	s_delay_alu instid0(VALU_DEP_1) | instskip(NEXT) | instid1(VALU_DEP_1)
	v_add3_u32 v3, v2, v3, 0x88fffff
	v_lshrrev_b32_e32 v3, 21, v3
	s_or_saveexec_b32 s6, s6
                                        ; implicit-def: $sgpr7
	s_delay_alu instid0(SALU_CYCLE_1)
	s_xor_b32 exec_lo, exec_lo, s6
	s_cbranch_execnz .LBB9_2249
.LBB9_1915:
	s_or_b32 exec_lo, exec_lo, s6
	v_mov_b32_e32 v6, s7
	s_and_saveexec_b32 s6, s3
.LBB9_1916:
	v_lshrrev_b32_e32 v2, 24, v2
	s_delay_alu instid0(VALU_DEP_1)
	v_and_or_b32 v6, 0x80, v2, v3
.LBB9_1917:
	s_or_b32 exec_lo, exec_lo, s6
.LBB9_1918:
	s_delay_alu instid0(SALU_CYCLE_1)
	s_or_b32 exec_lo, exec_lo, s1
	s_mov_b32 s1, 0
	global_store_b8 v[0:1], v6, off
.LBB9_1919:
	s_and_b32 vcc_lo, exec_lo, s1
	s_cbranch_vccz .LBB9_1929
; %bb.1920:
	v_cvt_f32_f64_e32 v2, v[4:5]
	s_mov_b32 s1, exec_lo
                                        ; implicit-def: $vgpr3
	s_delay_alu instid0(VALU_DEP_1) | instskip(NEXT) | instid1(VALU_DEP_1)
	v_and_b32_e32 v6, 0x7fffffff, v2
	v_cmpx_gt_u32_e32 0x43f00000, v6
	s_xor_b32 s1, exec_lo, s1
	s_cbranch_execz .LBB9_1926
; %bb.1921:
	s_mov_b32 s3, exec_lo
                                        ; implicit-def: $vgpr3
	v_cmpx_lt_u32_e32 0x3c7fffff, v6
	s_xor_b32 s3, exec_lo, s3
; %bb.1922:
	v_bfe_u32 v3, v2, 20, 1
	s_delay_alu instid0(VALU_DEP_1) | instskip(NEXT) | instid1(VALU_DEP_1)
	v_add3_u32 v3, v2, v3, 0x407ffff
	v_and_b32_e32 v6, 0xff00000, v3
	v_lshrrev_b32_e32 v3, 20, v3
	s_delay_alu instid0(VALU_DEP_2) | instskip(NEXT) | instid1(VALU_DEP_2)
	v_cmp_ne_u32_e32 vcc_lo, 0x7f00000, v6
	v_cndmask_b32_e32 v3, 0x7e, v3, vcc_lo
; %bb.1923:
	s_and_not1_saveexec_b32 s3, s3
; %bb.1924:
	v_add_f32_e64 v3, 0x46800000, |v2|
; %bb.1925:
	s_or_b32 exec_lo, exec_lo, s3
                                        ; implicit-def: $vgpr6
.LBB9_1926:
	s_and_not1_saveexec_b32 s1, s1
; %bb.1927:
	v_mov_b32_e32 v3, 0x7f
	v_cmp_lt_u32_e32 vcc_lo, 0x7f800000, v6
	s_delay_alu instid0(VALU_DEP_2)
	v_cndmask_b32_e32 v3, 0x7e, v3, vcc_lo
; %bb.1928:
	s_or_b32 exec_lo, exec_lo, s1
	v_lshrrev_b32_e32 v2, 24, v2
	s_delay_alu instid0(VALU_DEP_1)
	v_and_or_b32 v2, 0x80, v2, v3
	global_store_b8 v[0:1], v2, off
.LBB9_1929:
	s_mov_b32 s1, 0
.LBB9_1930:
	s_delay_alu instid0(SALU_CYCLE_1)
	s_and_not1_b32 vcc_lo, exec_lo, s1
	s_cbranch_vccnz .LBB9_1940
; %bb.1931:
	v_cvt_f32_f64_e32 v2, v[4:5]
	s_mov_b32 s1, exec_lo
                                        ; implicit-def: $vgpr3
	s_delay_alu instid0(VALU_DEP_1) | instskip(NEXT) | instid1(VALU_DEP_1)
	v_and_b32_e32 v6, 0x7fffffff, v2
	v_cmpx_gt_u32_e32 0x47800000, v6
	s_xor_b32 s1, exec_lo, s1
	s_cbranch_execz .LBB9_1937
; %bb.1932:
	s_mov_b32 s3, exec_lo
                                        ; implicit-def: $vgpr3
	v_cmpx_lt_u32_e32 0x387fffff, v6
	s_xor_b32 s3, exec_lo, s3
; %bb.1933:
	v_bfe_u32 v3, v2, 21, 1
	s_delay_alu instid0(VALU_DEP_1) | instskip(NEXT) | instid1(VALU_DEP_1)
	v_add3_u32 v3, v2, v3, 0x80fffff
	v_lshrrev_b32_e32 v3, 21, v3
; %bb.1934:
	s_and_not1_saveexec_b32 s3, s3
; %bb.1935:
	v_add_f32_e64 v3, 0x43000000, |v2|
; %bb.1936:
	s_or_b32 exec_lo, exec_lo, s3
                                        ; implicit-def: $vgpr6
.LBB9_1937:
	s_and_not1_saveexec_b32 s1, s1
; %bb.1938:
	v_mov_b32_e32 v3, 0x7f
	v_cmp_lt_u32_e32 vcc_lo, 0x7f800000, v6
	s_delay_alu instid0(VALU_DEP_2)
	v_cndmask_b32_e32 v3, 0x7c, v3, vcc_lo
; %bb.1939:
	s_or_b32 exec_lo, exec_lo, s1
	v_lshrrev_b32_e32 v2, 24, v2
	s_delay_alu instid0(VALU_DEP_1)
	v_and_or_b32 v2, 0x80, v2, v3
	global_store_b8 v[0:1], v2, off
.LBB9_1940:
	s_mov_b32 s1, 0
	s_mov_b32 s3, -1
.LBB9_1941:
	s_and_not1_b32 vcc_lo, exec_lo, s1
	s_mov_b32 s1, 0
	s_cbranch_vccnz .LBB9_1948
; %bb.1942:
	v_cmp_lt_i16_e32 vcc_lo, 14, v17
	s_mov_b32 s1, -1
	s_cbranch_vccz .LBB9_1946
; %bb.1943:
	v_cmp_eq_u16_e32 vcc_lo, 15, v17
	s_mov_b32 s0, -1
	s_cbranch_vccz .LBB9_1945
; %bb.1944:
	v_cvt_f32_f64_e32 v2, v[4:5]
	s_mov_b32 s0, 0
	s_mov_b32 s3, -1
	s_delay_alu instid0(VALU_DEP_1) | instskip(SKIP_1) | instid1(VALU_DEP_2)
	v_bfe_u32 v3, v2, 16, 1
	v_cmp_o_f32_e32 vcc_lo, v2, v2
	v_add3_u32 v3, v2, v3, 0x7fff
	s_delay_alu instid0(VALU_DEP_1) | instskip(NEXT) | instid1(VALU_DEP_1)
	v_lshrrev_b32_e32 v3, 16, v3
	v_cndmask_b32_e32 v2, 0x7fc0, v3, vcc_lo
	global_store_b16 v[0:1], v2, off
.LBB9_1945:
	s_mov_b32 s1, 0
.LBB9_1946:
	s_delay_alu instid0(SALU_CYCLE_1)
	s_and_b32 vcc_lo, exec_lo, s1
	s_mov_b32 s1, 0
	s_cbranch_vccz .LBB9_1948
; %bb.1947:
	v_cmp_ne_u16_e64 s0, 11, v17
	s_mov_b32 s1, -1
.LBB9_1948:
	s_delay_alu instid0(VALU_DEP_1)
	s_and_b32 vcc_lo, exec_lo, s0
	s_cbranch_vccnz .LBB9_2246
; %bb.1949:
	s_and_not1_b32 vcc_lo, exec_lo, s1
	s_cbranch_vccnz .LBB9_1951
.LBB9_1950:
	v_cmp_neq_f64_e32 vcc_lo, 0, v[4:5]
	s_mov_b32 s3, -1
	v_cndmask_b32_e64 v2, 0, 1, vcc_lo
	global_store_b8 v[0:1], v2, off
.LBB9_1951:
	s_mov_b32 s0, 0
.LBB9_1952:
	s_delay_alu instid0(SALU_CYCLE_1)
	s_and_b32 vcc_lo, exec_lo, s0
	s_cbranch_vccz .LBB9_1991
; %bb.1953:
	v_cmp_gt_i16_e32 vcc_lo, 5, v17
	s_mov_b32 s0, -1
	s_cbranch_vccnz .LBB9_1974
; %bb.1954:
	v_cmp_gt_i16_e32 vcc_lo, 8, v17
	s_cbranch_vccnz .LBB9_1964
; %bb.1955:
	v_cmp_gt_i16_e32 vcc_lo, 9, v17
	s_cbranch_vccnz .LBB9_1961
; %bb.1956:
	v_cmp_lt_i16_e32 vcc_lo, 9, v17
	s_cbranch_vccz .LBB9_1958
; %bb.1957:
	v_mov_b32_e32 v6, 0
	s_mov_b32 s0, 0
	s_delay_alu instid0(VALU_DEP_1)
	v_mov_b32_e32 v7, v6
	global_store_b128 v[0:1], v[4:7], off
.LBB9_1958:
	s_and_not1_b32 vcc_lo, exec_lo, s0
	s_cbranch_vccnz .LBB9_1960
; %bb.1959:
	v_cvt_f32_f64_e32 v2, v[4:5]
	v_mov_b32_e32 v3, 0
	global_store_b64 v[0:1], v[2:3], off
.LBB9_1960:
	s_mov_b32 s0, 0
.LBB9_1961:
	s_delay_alu instid0(SALU_CYCLE_1)
	s_and_not1_b32 vcc_lo, exec_lo, s0
	s_cbranch_vccnz .LBB9_1963
; %bb.1962:
	v_cvt_f32_f64_e32 v2, v[4:5]
	s_delay_alu instid0(VALU_DEP_1) | instskip(NEXT) | instid1(VALU_DEP_1)
	v_cvt_f16_f32_e32 v2, v2
	v_and_b32_e32 v2, 0xffff, v2
	global_store_b32 v[0:1], v2, off
.LBB9_1963:
	s_mov_b32 s0, 0
.LBB9_1964:
	s_delay_alu instid0(SALU_CYCLE_1)
	s_and_not1_b32 vcc_lo, exec_lo, s0
	s_cbranch_vccnz .LBB9_1973
; %bb.1965:
	v_cmp_gt_i16_e32 vcc_lo, 6, v17
	s_mov_b32 s0, -1
	s_cbranch_vccnz .LBB9_1971
; %bb.1966:
	v_cmp_lt_i16_e32 vcc_lo, 6, v17
	s_cbranch_vccz .LBB9_1968
; %bb.1967:
	s_mov_b32 s0, 0
	global_store_b64 v[0:1], v[4:5], off
.LBB9_1968:
	s_and_not1_b32 vcc_lo, exec_lo, s0
	s_cbranch_vccnz .LBB9_1970
; %bb.1969:
	v_cvt_f32_f64_e32 v2, v[4:5]
	global_store_b32 v[0:1], v2, off
.LBB9_1970:
	s_mov_b32 s0, 0
.LBB9_1971:
	s_delay_alu instid0(SALU_CYCLE_1)
	s_and_not1_b32 vcc_lo, exec_lo, s0
	s_cbranch_vccnz .LBB9_1973
; %bb.1972:
	v_cvt_f32_f64_e32 v2, v[4:5]
	s_delay_alu instid0(VALU_DEP_1)
	v_cvt_f16_f32_e32 v2, v2
	global_store_b16 v[0:1], v2, off
.LBB9_1973:
	s_mov_b32 s0, 0
.LBB9_1974:
	s_delay_alu instid0(SALU_CYCLE_1)
	s_and_not1_b32 vcc_lo, exec_lo, s0
	s_cbranch_vccnz .LBB9_1990
; %bb.1975:
	v_cmp_gt_i16_e32 vcc_lo, 2, v17
	s_mov_b32 s0, -1
	s_cbranch_vccnz .LBB9_1985
; %bb.1976:
	v_cmp_gt_i16_e32 vcc_lo, 3, v17
	s_cbranch_vccnz .LBB9_1982
; %bb.1977:
	v_cmp_lt_i16_e32 vcc_lo, 3, v17
	s_cbranch_vccz .LBB9_1979
; %bb.1978:
	v_trunc_f64_e32 v[2:3], v[4:5]
	s_mov_b32 s0, 0
	s_delay_alu instid0(VALU_DEP_1) | instskip(NEXT) | instid1(VALU_DEP_1)
	v_ldexp_f64 v[6:7], v[2:3], 0xffffffe0
	v_floor_f64_e32 v[6:7], v[6:7]
	s_delay_alu instid0(VALU_DEP_1) | instskip(SKIP_1) | instid1(VALU_DEP_2)
	v_fma_f64 v[2:3], 0xc1f00000, v[6:7], v[2:3]
	v_cvt_i32_f64_e32 v7, v[6:7]
	v_cvt_u32_f64_e32 v6, v[2:3]
	global_store_b64 v[0:1], v[6:7], off
.LBB9_1979:
	s_and_not1_b32 vcc_lo, exec_lo, s0
	s_cbranch_vccnz .LBB9_1981
; %bb.1980:
	v_cvt_i32_f64_e32 v2, v[4:5]
	global_store_b32 v[0:1], v2, off
.LBB9_1981:
	s_mov_b32 s0, 0
.LBB9_1982:
	s_delay_alu instid0(SALU_CYCLE_1)
	s_and_not1_b32 vcc_lo, exec_lo, s0
	s_cbranch_vccnz .LBB9_1984
; %bb.1983:
	v_cvt_i32_f64_e32 v2, v[4:5]
	global_store_b16 v[0:1], v2, off
.LBB9_1984:
	s_mov_b32 s0, 0
.LBB9_1985:
	s_delay_alu instid0(SALU_CYCLE_1)
	s_and_not1_b32 vcc_lo, exec_lo, s0
	s_cbranch_vccnz .LBB9_1990
; %bb.1986:
	v_cmp_lt_i16_e32 vcc_lo, 0, v17
	s_mov_b32 s0, -1
	s_cbranch_vccz .LBB9_1988
; %bb.1987:
	v_cvt_i32_f64_e32 v2, v[4:5]
	s_mov_b32 s0, 0
	global_store_b8 v[0:1], v2, off
.LBB9_1988:
	s_and_not1_b32 vcc_lo, exec_lo, s0
	s_cbranch_vccnz .LBB9_1990
; %bb.1989:
	v_trunc_f64_e32 v[2:3], v[4:5]
	s_delay_alu instid0(VALU_DEP_1) | instskip(NEXT) | instid1(VALU_DEP_1)
	v_ldexp_f64 v[4:5], v[2:3], 0xffffffe0
	v_floor_f64_e32 v[4:5], v[4:5]
	s_delay_alu instid0(VALU_DEP_1) | instskip(NEXT) | instid1(VALU_DEP_1)
	v_fma_f64 v[2:3], 0xc1f00000, v[4:5], v[2:3]
	v_cvt_u32_f64_e32 v2, v[2:3]
	global_store_b8 v[0:1], v2, off
.LBB9_1990:
	s_mov_b32 s3, -1
.LBB9_1991:
	s_delay_alu instid0(SALU_CYCLE_1)
	s_and_not1_b32 vcc_lo, exec_lo, s3
	s_cbranch_vccnz .LBB9_2231
; %bb.1992:
	v_cmp_gt_i16_e32 vcc_lo, 11, v17
	v_add_co_u32 v0, s0, s4, v10
	s_delay_alu instid0(VALU_DEP_1)
	v_add_co_ci_u32_e64 v1, null, s5, 0, s0
	s_mov_b32 s3, 0
	s_mov_b32 s0, -1
	s_cbranch_vccnz .LBB9_2070
; %bb.1993:
	v_cmp_lt_i16_e32 vcc_lo, 25, v17
	s_mov_b32 s6, -1
	s_mov_b32 s1, 0
	s_mov_b32 s0, 0
	s_cbranch_vccz .LBB9_2026
; %bb.1994:
	v_cmp_lt_i16_e32 vcc_lo, 28, v17
	s_cbranch_vccz .LBB9_2009
; %bb.1995:
	v_cmp_lt_i16_e32 vcc_lo, 43, v17
	;; [unrolled: 3-line block ×3, first 2 shown]
	s_cbranch_vccz .LBB9_1999
; %bb.1997:
	v_cmp_eq_u16_e32 vcc_lo, 46, v17
	s_mov_b32 s0, -1
	s_mov_b32 s6, 0
	s_cbranch_vccz .LBB9_1999
; %bb.1998:
	v_cvt_f32_f64_e32 v2, v[8:9]
	s_mov_b32 s0, 0
	s_mov_b32 s3, -1
	s_delay_alu instid0(VALU_DEP_1) | instskip(SKIP_1) | instid1(VALU_DEP_2)
	v_bfe_u32 v3, v2, 16, 1
	v_cmp_o_f32_e32 vcc_lo, v2, v2
	v_add3_u32 v3, v2, v3, 0x7fff
	s_delay_alu instid0(VALU_DEP_1) | instskip(NEXT) | instid1(VALU_DEP_1)
	v_lshrrev_b32_e32 v3, 16, v3
	v_cndmask_b32_e32 v2, 0x7fc0, v3, vcc_lo
	global_store_b32 v[0:1], v2, off
.LBB9_1999:
	s_and_b32 vcc_lo, exec_lo, s6
	s_cbranch_vccz .LBB9_2004
; %bb.2000:
	v_cmp_eq_u16_e32 vcc_lo, 44, v17
	s_mov_b32 s0, -1
	s_cbranch_vccz .LBB9_2004
; %bb.2001:
	v_cvt_f32_f64_e32 v2, v[8:9]
	v_mov_b32_e32 v3, 0xff
	s_mov_b32 s3, exec_lo
	s_delay_alu instid0(VALU_DEP_2) | instskip(NEXT) | instid1(VALU_DEP_1)
	v_bfe_u32 v4, v2, 23, 8
	v_cmpx_ne_u32_e32 0xff, v4
; %bb.2002:
	v_and_b32_e32 v3, 0x400000, v2
	v_and_or_b32 v4, 0x3fffff, v2, v4
	v_lshrrev_b32_e32 v2, 23, v2
	s_delay_alu instid0(VALU_DEP_3) | instskip(NEXT) | instid1(VALU_DEP_3)
	v_cmp_ne_u32_e32 vcc_lo, 0, v3
	v_cmp_ne_u32_e64 s0, 0, v4
	s_delay_alu instid0(VALU_DEP_1) | instskip(NEXT) | instid1(SALU_CYCLE_1)
	s_and_b32 s0, vcc_lo, s0
	v_cndmask_b32_e64 v3, 0, 1, s0
	s_delay_alu instid0(VALU_DEP_1)
	v_add_nc_u32_e32 v3, v2, v3
; %bb.2003:
	s_or_b32 exec_lo, exec_lo, s3
	s_mov_b32 s0, 0
	s_mov_b32 s3, -1
	global_store_b8 v[0:1], v3, off
.LBB9_2004:
	s_mov_b32 s6, 0
.LBB9_2005:
	s_delay_alu instid0(SALU_CYCLE_1)
	s_and_b32 vcc_lo, exec_lo, s6
	s_cbranch_vccz .LBB9_2008
; %bb.2006:
	v_cmp_eq_u16_e32 vcc_lo, 29, v17
	s_mov_b32 s0, -1
	s_cbranch_vccz .LBB9_2008
; %bb.2007:
	v_trunc_f64_e32 v[2:3], v[8:9]
	s_mov_b32 s0, 0
	s_mov_b32 s3, -1
	s_delay_alu instid0(VALU_DEP_1) | instskip(NEXT) | instid1(VALU_DEP_1)
	v_ldexp_f64 v[4:5], v[2:3], 0xffffffe0
	v_floor_f64_e32 v[4:5], v[4:5]
	s_delay_alu instid0(VALU_DEP_1) | instskip(SKIP_1) | instid1(VALU_DEP_2)
	v_fma_f64 v[2:3], 0xc1f00000, v[4:5], v[2:3]
	v_cvt_u32_f64_e32 v4, v[4:5]
	v_cvt_u32_f64_e32 v3, v[2:3]
	global_store_b64 v[0:1], v[3:4], off
.LBB9_2008:
	s_mov_b32 s6, 0
.LBB9_2009:
	s_delay_alu instid0(SALU_CYCLE_1)
	s_and_b32 vcc_lo, exec_lo, s6
	s_cbranch_vccz .LBB9_2025
; %bb.2010:
	v_cmp_gt_i16_e32 vcc_lo, 27, v17
	s_mov_b32 s3, -1
	s_cbranch_vccnz .LBB9_2016
; %bb.2011:
	v_cvt_u32_f64_e32 v2, v[8:9]
	v_cmp_lt_i16_e32 vcc_lo, 27, v17
	s_cbranch_vccz .LBB9_2013
; %bb.2012:
	s_mov_b32 s3, 0
	global_store_b32 v[0:1], v2, off
.LBB9_2013:
	s_and_not1_b32 vcc_lo, exec_lo, s3
	s_cbranch_vccnz .LBB9_2015
; %bb.2014:
	global_store_b16 v[0:1], v2, off
.LBB9_2015:
	s_mov_b32 s3, 0
.LBB9_2016:
	s_delay_alu instid0(SALU_CYCLE_1)
	s_and_not1_b32 vcc_lo, exec_lo, s3
	s_cbranch_vccnz .LBB9_2024
; %bb.2017:
	v_cvt_f32_f64_e32 v2, v[8:9]
	v_mov_b32_e32 v4, 0x80
	s_mov_b32 s3, exec_lo
	s_delay_alu instid0(VALU_DEP_2) | instskip(NEXT) | instid1(VALU_DEP_1)
	v_and_b32_e32 v3, 0x7fffffff, v2
	v_cmpx_gt_u32_e32 0x43800000, v3
	s_cbranch_execz .LBB9_2023
; %bb.2018:
	v_cmp_lt_u32_e32 vcc_lo, 0x3bffffff, v3
	s_mov_b32 s6, 0
                                        ; implicit-def: $vgpr3
	s_and_saveexec_b32 s7, vcc_lo
	s_delay_alu instid0(SALU_CYCLE_1)
	s_xor_b32 s7, exec_lo, s7
	s_cbranch_execz .LBB9_2250
; %bb.2019:
	v_bfe_u32 v3, v2, 20, 1
	s_mov_b32 s6, exec_lo
	s_delay_alu instid0(VALU_DEP_1) | instskip(NEXT) | instid1(VALU_DEP_1)
	v_add3_u32 v3, v2, v3, 0x487ffff
	v_lshrrev_b32_e32 v3, 20, v3
	s_or_saveexec_b32 s7, s7
                                        ; implicit-def: $sgpr10
	s_delay_alu instid0(SALU_CYCLE_1)
	s_xor_b32 exec_lo, exec_lo, s7
	s_cbranch_execnz .LBB9_2251
.LBB9_2020:
	s_or_b32 exec_lo, exec_lo, s7
	v_mov_b32_e32 v4, s10
	s_and_saveexec_b32 s7, s6
.LBB9_2021:
	v_lshrrev_b32_e32 v2, 24, v2
	s_delay_alu instid0(VALU_DEP_1)
	v_and_or_b32 v4, 0x80, v2, v3
.LBB9_2022:
	s_or_b32 exec_lo, exec_lo, s7
.LBB9_2023:
	s_delay_alu instid0(SALU_CYCLE_1)
	s_or_b32 exec_lo, exec_lo, s3
	global_store_b8 v[0:1], v4, off
.LBB9_2024:
	s_mov_b32 s3, -1
.LBB9_2025:
	s_mov_b32 s6, 0
.LBB9_2026:
	s_delay_alu instid0(SALU_CYCLE_1)
	s_and_b32 vcc_lo, exec_lo, s6
	s_cbranch_vccz .LBB9_2066
; %bb.2027:
	v_cmp_lt_i16_e32 vcc_lo, 22, v17
	s_mov_b32 s1, -1
	s_cbranch_vccz .LBB9_2059
; %bb.2028:
	v_cmp_gt_i16_e32 vcc_lo, 24, v17
	s_cbranch_vccnz .LBB9_2048
; %bb.2029:
	v_cmp_lt_i16_e32 vcc_lo, 24, v17
	s_cbranch_vccz .LBB9_2037
; %bb.2030:
	v_cvt_f32_f64_e32 v2, v[8:9]
	v_mov_b32_e32 v4, 0x80
	s_mov_b32 s1, exec_lo
	s_delay_alu instid0(VALU_DEP_2) | instskip(NEXT) | instid1(VALU_DEP_1)
	v_and_b32_e32 v3, 0x7fffffff, v2
	v_cmpx_gt_u32_e32 0x47800000, v3
	s_cbranch_execz .LBB9_2036
; %bb.2031:
	v_cmp_lt_u32_e32 vcc_lo, 0x37ffffff, v3
	s_mov_b32 s3, 0
                                        ; implicit-def: $vgpr3
	s_and_saveexec_b32 s6, vcc_lo
	s_delay_alu instid0(SALU_CYCLE_1)
	s_xor_b32 s6, exec_lo, s6
	s_cbranch_execz .LBB9_2256
; %bb.2032:
	v_bfe_u32 v3, v2, 21, 1
	s_mov_b32 s3, exec_lo
	s_delay_alu instid0(VALU_DEP_1) | instskip(NEXT) | instid1(VALU_DEP_1)
	v_add3_u32 v3, v2, v3, 0x88fffff
	v_lshrrev_b32_e32 v3, 21, v3
	s_or_saveexec_b32 s6, s6
                                        ; implicit-def: $sgpr7
	s_delay_alu instid0(SALU_CYCLE_1)
	s_xor_b32 exec_lo, exec_lo, s6
	s_cbranch_execnz .LBB9_2257
.LBB9_2033:
	s_or_b32 exec_lo, exec_lo, s6
	v_mov_b32_e32 v4, s7
	s_and_saveexec_b32 s6, s3
.LBB9_2034:
	v_lshrrev_b32_e32 v2, 24, v2
	s_delay_alu instid0(VALU_DEP_1)
	v_and_or_b32 v4, 0x80, v2, v3
.LBB9_2035:
	s_or_b32 exec_lo, exec_lo, s6
.LBB9_2036:
	s_delay_alu instid0(SALU_CYCLE_1)
	s_or_b32 exec_lo, exec_lo, s1
	s_mov_b32 s1, 0
	global_store_b8 v[0:1], v4, off
.LBB9_2037:
	s_and_b32 vcc_lo, exec_lo, s1
	s_cbranch_vccz .LBB9_2047
; %bb.2038:
	v_cvt_f32_f64_e32 v2, v[8:9]
	s_mov_b32 s1, exec_lo
                                        ; implicit-def: $vgpr3
	s_delay_alu instid0(VALU_DEP_1) | instskip(NEXT) | instid1(VALU_DEP_1)
	v_and_b32_e32 v4, 0x7fffffff, v2
	v_cmpx_gt_u32_e32 0x43f00000, v4
	s_xor_b32 s1, exec_lo, s1
	s_cbranch_execz .LBB9_2044
; %bb.2039:
	s_mov_b32 s3, exec_lo
                                        ; implicit-def: $vgpr3
	v_cmpx_lt_u32_e32 0x3c7fffff, v4
	s_xor_b32 s3, exec_lo, s3
; %bb.2040:
	v_bfe_u32 v3, v2, 20, 1
	s_delay_alu instid0(VALU_DEP_1) | instskip(NEXT) | instid1(VALU_DEP_1)
	v_add3_u32 v3, v2, v3, 0x407ffff
	v_and_b32_e32 v4, 0xff00000, v3
	v_lshrrev_b32_e32 v3, 20, v3
	s_delay_alu instid0(VALU_DEP_2) | instskip(NEXT) | instid1(VALU_DEP_2)
	v_cmp_ne_u32_e32 vcc_lo, 0x7f00000, v4
	v_cndmask_b32_e32 v3, 0x7e, v3, vcc_lo
; %bb.2041:
	s_and_not1_saveexec_b32 s3, s3
; %bb.2042:
	v_add_f32_e64 v3, 0x46800000, |v2|
; %bb.2043:
	s_or_b32 exec_lo, exec_lo, s3
                                        ; implicit-def: $vgpr4
.LBB9_2044:
	s_and_not1_saveexec_b32 s1, s1
; %bb.2045:
	v_mov_b32_e32 v3, 0x7f
	v_cmp_lt_u32_e32 vcc_lo, 0x7f800000, v4
	s_delay_alu instid0(VALU_DEP_2)
	v_cndmask_b32_e32 v3, 0x7e, v3, vcc_lo
; %bb.2046:
	s_or_b32 exec_lo, exec_lo, s1
	v_lshrrev_b32_e32 v2, 24, v2
	s_delay_alu instid0(VALU_DEP_1)
	v_and_or_b32 v2, 0x80, v2, v3
	global_store_b8 v[0:1], v2, off
.LBB9_2047:
	s_mov_b32 s1, 0
.LBB9_2048:
	s_delay_alu instid0(SALU_CYCLE_1)
	s_and_not1_b32 vcc_lo, exec_lo, s1
	s_cbranch_vccnz .LBB9_2058
; %bb.2049:
	v_cvt_f32_f64_e32 v2, v[8:9]
	s_mov_b32 s1, exec_lo
                                        ; implicit-def: $vgpr3
	s_delay_alu instid0(VALU_DEP_1) | instskip(NEXT) | instid1(VALU_DEP_1)
	v_and_b32_e32 v4, 0x7fffffff, v2
	v_cmpx_gt_u32_e32 0x47800000, v4
	s_xor_b32 s1, exec_lo, s1
	s_cbranch_execz .LBB9_2055
; %bb.2050:
	s_mov_b32 s3, exec_lo
                                        ; implicit-def: $vgpr3
	v_cmpx_lt_u32_e32 0x387fffff, v4
	s_xor_b32 s3, exec_lo, s3
; %bb.2051:
	v_bfe_u32 v3, v2, 21, 1
	s_delay_alu instid0(VALU_DEP_1) | instskip(NEXT) | instid1(VALU_DEP_1)
	v_add3_u32 v3, v2, v3, 0x80fffff
	v_lshrrev_b32_e32 v3, 21, v3
; %bb.2052:
	s_and_not1_saveexec_b32 s3, s3
; %bb.2053:
	v_add_f32_e64 v3, 0x43000000, |v2|
; %bb.2054:
	s_or_b32 exec_lo, exec_lo, s3
                                        ; implicit-def: $vgpr4
.LBB9_2055:
	s_and_not1_saveexec_b32 s1, s1
; %bb.2056:
	v_mov_b32_e32 v3, 0x7f
	v_cmp_lt_u32_e32 vcc_lo, 0x7f800000, v4
	s_delay_alu instid0(VALU_DEP_2)
	v_cndmask_b32_e32 v3, 0x7c, v3, vcc_lo
; %bb.2057:
	s_or_b32 exec_lo, exec_lo, s1
	v_lshrrev_b32_e32 v2, 24, v2
	s_delay_alu instid0(VALU_DEP_1)
	v_and_or_b32 v2, 0x80, v2, v3
	global_store_b8 v[0:1], v2, off
.LBB9_2058:
	s_mov_b32 s1, 0
	s_mov_b32 s3, -1
.LBB9_2059:
	s_and_not1_b32 vcc_lo, exec_lo, s1
	s_mov_b32 s1, 0
	s_cbranch_vccnz .LBB9_2066
; %bb.2060:
	v_cmp_lt_i16_e32 vcc_lo, 14, v17
	s_mov_b32 s1, -1
	s_cbranch_vccz .LBB9_2064
; %bb.2061:
	v_cmp_eq_u16_e32 vcc_lo, 15, v17
	s_mov_b32 s0, -1
	s_cbranch_vccz .LBB9_2063
; %bb.2062:
	v_cvt_f32_f64_e32 v2, v[8:9]
	s_mov_b32 s0, 0
	s_mov_b32 s3, -1
	s_delay_alu instid0(VALU_DEP_1) | instskip(SKIP_1) | instid1(VALU_DEP_2)
	v_bfe_u32 v3, v2, 16, 1
	v_cmp_o_f32_e32 vcc_lo, v2, v2
	v_add3_u32 v3, v2, v3, 0x7fff
	s_delay_alu instid0(VALU_DEP_1) | instskip(NEXT) | instid1(VALU_DEP_1)
	v_lshrrev_b32_e32 v3, 16, v3
	v_cndmask_b32_e32 v2, 0x7fc0, v3, vcc_lo
	global_store_b16 v[0:1], v2, off
.LBB9_2063:
	s_mov_b32 s1, 0
.LBB9_2064:
	s_delay_alu instid0(SALU_CYCLE_1)
	s_and_b32 vcc_lo, exec_lo, s1
	s_mov_b32 s1, 0
	s_cbranch_vccz .LBB9_2066
; %bb.2065:
	v_cmp_ne_u16_e64 s0, 11, v17
	s_mov_b32 s1, -1
.LBB9_2066:
	s_delay_alu instid0(VALU_DEP_1)
	s_and_b32 vcc_lo, exec_lo, s0
	s_cbranch_vccnz .LBB9_2254
; %bb.2067:
	s_and_not1_b32 vcc_lo, exec_lo, s1
	s_cbranch_vccnz .LBB9_2069
.LBB9_2068:
	v_cmp_neq_f64_e32 vcc_lo, 0, v[8:9]
	s_mov_b32 s3, -1
	v_cndmask_b32_e64 v2, 0, 1, vcc_lo
	global_store_b8 v[0:1], v2, off
.LBB9_2069:
	s_mov_b32 s0, 0
.LBB9_2070:
	s_delay_alu instid0(SALU_CYCLE_1)
	s_and_b32 vcc_lo, exec_lo, s0
	s_cbranch_vccz .LBB9_2109
; %bb.2071:
	v_cmp_gt_i16_e32 vcc_lo, 5, v17
	s_mov_b32 s0, -1
	s_cbranch_vccnz .LBB9_2092
; %bb.2072:
	v_cmp_gt_i16_e32 vcc_lo, 8, v17
	s_cbranch_vccnz .LBB9_2082
; %bb.2073:
	v_cmp_gt_i16_e32 vcc_lo, 9, v17
	s_cbranch_vccnz .LBB9_2079
; %bb.2074:
	v_cmp_lt_i16_e32 vcc_lo, 9, v17
	s_cbranch_vccz .LBB9_2076
; %bb.2075:
	v_mov_b32_e32 v10, 0
	s_mov_b32 s0, 0
	s_delay_alu instid0(VALU_DEP_1)
	v_mov_b32_e32 v11, v10
	global_store_b128 v[0:1], v[8:11], off
.LBB9_2076:
	s_and_not1_b32 vcc_lo, exec_lo, s0
	s_cbranch_vccnz .LBB9_2078
; %bb.2077:
	v_cvt_f32_f64_e32 v2, v[8:9]
	v_mov_b32_e32 v3, 0
	global_store_b64 v[0:1], v[2:3], off
.LBB9_2078:
	s_mov_b32 s0, 0
.LBB9_2079:
	s_delay_alu instid0(SALU_CYCLE_1)
	s_and_not1_b32 vcc_lo, exec_lo, s0
	s_cbranch_vccnz .LBB9_2081
; %bb.2080:
	v_cvt_f32_f64_e32 v2, v[8:9]
	s_delay_alu instid0(VALU_DEP_1) | instskip(NEXT) | instid1(VALU_DEP_1)
	v_cvt_f16_f32_e32 v2, v2
	v_and_b32_e32 v2, 0xffff, v2
	global_store_b32 v[0:1], v2, off
.LBB9_2081:
	s_mov_b32 s0, 0
.LBB9_2082:
	s_delay_alu instid0(SALU_CYCLE_1)
	s_and_not1_b32 vcc_lo, exec_lo, s0
	s_cbranch_vccnz .LBB9_2091
; %bb.2083:
	v_cmp_gt_i16_e32 vcc_lo, 6, v17
	s_mov_b32 s0, -1
	s_cbranch_vccnz .LBB9_2089
; %bb.2084:
	v_cmp_lt_i16_e32 vcc_lo, 6, v17
	s_cbranch_vccz .LBB9_2086
; %bb.2085:
	s_mov_b32 s0, 0
	global_store_b64 v[0:1], v[8:9], off
.LBB9_2086:
	s_and_not1_b32 vcc_lo, exec_lo, s0
	s_cbranch_vccnz .LBB9_2088
; %bb.2087:
	v_cvt_f32_f64_e32 v2, v[8:9]
	global_store_b32 v[0:1], v2, off
.LBB9_2088:
	s_mov_b32 s0, 0
.LBB9_2089:
	s_delay_alu instid0(SALU_CYCLE_1)
	s_and_not1_b32 vcc_lo, exec_lo, s0
	s_cbranch_vccnz .LBB9_2091
; %bb.2090:
	v_cvt_f32_f64_e32 v2, v[8:9]
	s_delay_alu instid0(VALU_DEP_1)
	v_cvt_f16_f32_e32 v2, v2
	global_store_b16 v[0:1], v2, off
.LBB9_2091:
	s_mov_b32 s0, 0
.LBB9_2092:
	s_delay_alu instid0(SALU_CYCLE_1)
	s_and_not1_b32 vcc_lo, exec_lo, s0
	s_cbranch_vccnz .LBB9_2108
; %bb.2093:
	v_cmp_gt_i16_e32 vcc_lo, 2, v17
	s_mov_b32 s0, -1
	s_cbranch_vccnz .LBB9_2103
; %bb.2094:
	v_cmp_gt_i16_e32 vcc_lo, 3, v17
	s_cbranch_vccnz .LBB9_2100
; %bb.2095:
	v_cmp_lt_i16_e32 vcc_lo, 3, v17
	s_cbranch_vccz .LBB9_2097
; %bb.2096:
	v_trunc_f64_e32 v[2:3], v[8:9]
	s_mov_b32 s0, 0
	s_delay_alu instid0(VALU_DEP_1) | instskip(NEXT) | instid1(VALU_DEP_1)
	v_ldexp_f64 v[4:5], v[2:3], 0xffffffe0
	v_floor_f64_e32 v[4:5], v[4:5]
	s_delay_alu instid0(VALU_DEP_1) | instskip(SKIP_1) | instid1(VALU_DEP_2)
	v_fma_f64 v[2:3], 0xc1f00000, v[4:5], v[2:3]
	v_cvt_i32_f64_e32 v4, v[4:5]
	v_cvt_u32_f64_e32 v3, v[2:3]
	global_store_b64 v[0:1], v[3:4], off
.LBB9_2097:
	s_and_not1_b32 vcc_lo, exec_lo, s0
	s_cbranch_vccnz .LBB9_2099
; %bb.2098:
	v_cvt_i32_f64_e32 v2, v[8:9]
	global_store_b32 v[0:1], v2, off
.LBB9_2099:
	s_mov_b32 s0, 0
.LBB9_2100:
	s_delay_alu instid0(SALU_CYCLE_1)
	s_and_not1_b32 vcc_lo, exec_lo, s0
	s_cbranch_vccnz .LBB9_2102
; %bb.2101:
	v_cvt_i32_f64_e32 v2, v[8:9]
	global_store_b16 v[0:1], v2, off
.LBB9_2102:
	s_mov_b32 s0, 0
.LBB9_2103:
	s_delay_alu instid0(SALU_CYCLE_1)
	s_and_not1_b32 vcc_lo, exec_lo, s0
	s_cbranch_vccnz .LBB9_2108
; %bb.2104:
	v_cmp_lt_i16_e32 vcc_lo, 0, v17
	s_mov_b32 s0, -1
	s_cbranch_vccz .LBB9_2106
; %bb.2105:
	v_cvt_i32_f64_e32 v2, v[8:9]
	s_mov_b32 s0, 0
	global_store_b8 v[0:1], v2, off
.LBB9_2106:
	s_and_not1_b32 vcc_lo, exec_lo, s0
	s_cbranch_vccnz .LBB9_2108
; %bb.2107:
	v_trunc_f64_e32 v[2:3], v[8:9]
	s_delay_alu instid0(VALU_DEP_1) | instskip(NEXT) | instid1(VALU_DEP_1)
	v_ldexp_f64 v[4:5], v[2:3], 0xffffffe0
	v_floor_f64_e32 v[4:5], v[4:5]
	s_delay_alu instid0(VALU_DEP_1) | instskip(NEXT) | instid1(VALU_DEP_1)
	v_fma_f64 v[2:3], 0xc1f00000, v[4:5], v[2:3]
	v_cvt_u32_f64_e32 v2, v[2:3]
	global_store_b8 v[0:1], v2, off
.LBB9_2108:
	s_mov_b32 s3, -1
.LBB9_2109:
	s_delay_alu instid0(SALU_CYCLE_1)
	s_and_not1_b32 vcc_lo, exec_lo, s3
	s_cbranch_vccnz .LBB9_2231
; %bb.2110:
	v_cmp_gt_i16_e32 vcc_lo, 11, v17
	v_add_co_u32 v0, s0, s4, v14
	s_delay_alu instid0(VALU_DEP_1)
	v_add_co_ci_u32_e64 v1, null, s5, 0, s0
	s_mov_b32 s1, 0
	s_mov_b32 s0, -1
	s_cbranch_vccnz .LBB9_2187
; %bb.2111:
	v_cmp_lt_i16_e32 vcc_lo, 25, v17
	s_mov_b32 s3, -1
	s_mov_b32 s0, 0
	s_cbranch_vccz .LBB9_2144
; %bb.2112:
	v_cmp_lt_i16_e32 vcc_lo, 28, v17
	s_cbranch_vccz .LBB9_2128
; %bb.2113:
	v_cmp_lt_i16_e32 vcc_lo, 43, v17
	;; [unrolled: 3-line block ×3, first 2 shown]
	s_cbranch_vccz .LBB9_2118
; %bb.2115:
	v_cmp_eq_u16_e32 vcc_lo, 46, v17
	s_mov_b32 s0, -1
	s_cbranch_vccz .LBB9_2117
; %bb.2116:
	v_cvt_f32_f64_e32 v2, v[12:13]
	s_mov_b32 s0, 0
	s_delay_alu instid0(VALU_DEP_1) | instskip(SKIP_1) | instid1(VALU_DEP_2)
	v_bfe_u32 v3, v2, 16, 1
	v_cmp_o_f32_e32 vcc_lo, v2, v2
	v_add3_u32 v3, v2, v3, 0x7fff
	s_delay_alu instid0(VALU_DEP_1) | instskip(NEXT) | instid1(VALU_DEP_1)
	v_lshrrev_b32_e32 v3, 16, v3
	v_cndmask_b32_e32 v2, 0x7fc0, v3, vcc_lo
	global_store_b32 v[0:1], v2, off
.LBB9_2117:
	s_mov_b32 s3, 0
.LBB9_2118:
	s_delay_alu instid0(SALU_CYCLE_1)
	s_and_b32 vcc_lo, exec_lo, s3
	s_cbranch_vccz .LBB9_2123
; %bb.2119:
	v_cmp_eq_u16_e32 vcc_lo, 44, v17
	s_mov_b32 s0, -1
	s_cbranch_vccz .LBB9_2123
; %bb.2120:
	v_cvt_f32_f64_e32 v2, v[12:13]
	v_mov_b32_e32 v3, 0xff
	s_mov_b32 s3, exec_lo
	s_delay_alu instid0(VALU_DEP_2) | instskip(NEXT) | instid1(VALU_DEP_1)
	v_bfe_u32 v4, v2, 23, 8
	v_cmpx_ne_u32_e32 0xff, v4
; %bb.2121:
	v_and_b32_e32 v3, 0x400000, v2
	v_and_or_b32 v4, 0x3fffff, v2, v4
	v_lshrrev_b32_e32 v2, 23, v2
	s_delay_alu instid0(VALU_DEP_3) | instskip(NEXT) | instid1(VALU_DEP_3)
	v_cmp_ne_u32_e32 vcc_lo, 0, v3
	v_cmp_ne_u32_e64 s0, 0, v4
	s_delay_alu instid0(VALU_DEP_1) | instskip(NEXT) | instid1(SALU_CYCLE_1)
	s_and_b32 s0, vcc_lo, s0
	v_cndmask_b32_e64 v3, 0, 1, s0
	s_delay_alu instid0(VALU_DEP_1)
	v_add_nc_u32_e32 v3, v2, v3
; %bb.2122:
	s_or_b32 exec_lo, exec_lo, s3
	s_mov_b32 s0, 0
	global_store_b8 v[0:1], v3, off
.LBB9_2123:
	s_mov_b32 s3, 0
.LBB9_2124:
	s_delay_alu instid0(SALU_CYCLE_1)
	s_and_b32 vcc_lo, exec_lo, s3
	s_cbranch_vccz .LBB9_2127
; %bb.2125:
	v_cmp_eq_u16_e32 vcc_lo, 29, v17
	s_mov_b32 s0, -1
	s_cbranch_vccz .LBB9_2127
; %bb.2126:
	v_trunc_f64_e32 v[2:3], v[12:13]
	s_mov_b32 s0, 0
	s_delay_alu instid0(VALU_DEP_1) | instskip(NEXT) | instid1(VALU_DEP_1)
	v_ldexp_f64 v[4:5], v[2:3], 0xffffffe0
	v_floor_f64_e32 v[4:5], v[4:5]
	s_delay_alu instid0(VALU_DEP_1) | instskip(SKIP_1) | instid1(VALU_DEP_2)
	v_fma_f64 v[2:3], 0xc1f00000, v[4:5], v[2:3]
	v_cvt_u32_f64_e32 v4, v[4:5]
	v_cvt_u32_f64_e32 v3, v[2:3]
	global_store_b64 v[0:1], v[3:4], off
.LBB9_2127:
	s_mov_b32 s3, 0
.LBB9_2128:
	s_delay_alu instid0(SALU_CYCLE_1)
	s_and_b32 vcc_lo, exec_lo, s3
	s_cbranch_vccz .LBB9_2143
; %bb.2129:
	v_cmp_gt_i16_e32 vcc_lo, 27, v17
	s_mov_b32 s3, -1
	s_cbranch_vccnz .LBB9_2135
; %bb.2130:
	v_cvt_u32_f64_e32 v2, v[12:13]
	v_cmp_lt_i16_e32 vcc_lo, 27, v17
	s_cbranch_vccz .LBB9_2132
; %bb.2131:
	s_mov_b32 s3, 0
	global_store_b32 v[0:1], v2, off
.LBB9_2132:
	s_and_not1_b32 vcc_lo, exec_lo, s3
	s_cbranch_vccnz .LBB9_2134
; %bb.2133:
	global_store_b16 v[0:1], v2, off
.LBB9_2134:
	s_mov_b32 s3, 0
.LBB9_2135:
	s_delay_alu instid0(SALU_CYCLE_1)
	s_and_not1_b32 vcc_lo, exec_lo, s3
	s_cbranch_vccnz .LBB9_2143
; %bb.2136:
	v_cvt_f32_f64_e32 v2, v[12:13]
	v_mov_b32_e32 v4, 0x80
	s_mov_b32 s3, exec_lo
	s_delay_alu instid0(VALU_DEP_2) | instskip(NEXT) | instid1(VALU_DEP_1)
	v_and_b32_e32 v3, 0x7fffffff, v2
	v_cmpx_gt_u32_e32 0x43800000, v3
	s_cbranch_execz .LBB9_2142
; %bb.2137:
	v_cmp_lt_u32_e32 vcc_lo, 0x3bffffff, v3
	s_mov_b32 s4, 0
                                        ; implicit-def: $vgpr3
	s_and_saveexec_b32 s5, vcc_lo
	s_delay_alu instid0(SALU_CYCLE_1)
	s_xor_b32 s5, exec_lo, s5
	s_cbranch_execz .LBB9_2258
; %bb.2138:
	v_bfe_u32 v3, v2, 20, 1
	s_mov_b32 s4, exec_lo
	s_delay_alu instid0(VALU_DEP_1) | instskip(NEXT) | instid1(VALU_DEP_1)
	v_add3_u32 v3, v2, v3, 0x487ffff
	v_lshrrev_b32_e32 v3, 20, v3
	s_or_saveexec_b32 s5, s5
                                        ; implicit-def: $sgpr6
	s_delay_alu instid0(SALU_CYCLE_1)
	s_xor_b32 exec_lo, exec_lo, s5
	s_cbranch_execnz .LBB9_2259
.LBB9_2139:
	s_or_b32 exec_lo, exec_lo, s5
	v_mov_b32_e32 v4, s6
	s_and_saveexec_b32 s5, s4
.LBB9_2140:
	v_lshrrev_b32_e32 v2, 24, v2
	s_delay_alu instid0(VALU_DEP_1)
	v_and_or_b32 v4, 0x80, v2, v3
.LBB9_2141:
	s_or_b32 exec_lo, exec_lo, s5
.LBB9_2142:
	s_delay_alu instid0(SALU_CYCLE_1)
	s_or_b32 exec_lo, exec_lo, s3
	global_store_b8 v[0:1], v4, off
.LBB9_2143:
	s_mov_b32 s3, 0
.LBB9_2144:
	s_delay_alu instid0(SALU_CYCLE_1)
	s_and_b32 vcc_lo, exec_lo, s3
	s_cbranch_vccz .LBB9_2184
; %bb.2145:
	v_cmp_lt_i16_e32 vcc_lo, 22, v17
	s_mov_b32 s1, -1
	s_cbranch_vccz .LBB9_2177
; %bb.2146:
	v_cmp_gt_i16_e32 vcc_lo, 24, v17
	s_cbranch_vccnz .LBB9_2166
; %bb.2147:
	v_cmp_lt_i16_e32 vcc_lo, 24, v17
	s_cbranch_vccz .LBB9_2155
; %bb.2148:
	v_cvt_f32_f64_e32 v2, v[12:13]
	v_mov_b32_e32 v4, 0x80
	s_mov_b32 s1, exec_lo
	s_delay_alu instid0(VALU_DEP_2) | instskip(NEXT) | instid1(VALU_DEP_1)
	v_and_b32_e32 v3, 0x7fffffff, v2
	v_cmpx_gt_u32_e32 0x47800000, v3
	s_cbranch_execz .LBB9_2154
; %bb.2149:
	v_cmp_lt_u32_e32 vcc_lo, 0x37ffffff, v3
	s_mov_b32 s3, 0
                                        ; implicit-def: $vgpr3
	s_and_saveexec_b32 s4, vcc_lo
	s_delay_alu instid0(SALU_CYCLE_1)
	s_xor_b32 s4, exec_lo, s4
	s_cbranch_execz .LBB9_2264
; %bb.2150:
	v_bfe_u32 v3, v2, 21, 1
	s_mov_b32 s3, exec_lo
	s_delay_alu instid0(VALU_DEP_1) | instskip(NEXT) | instid1(VALU_DEP_1)
	v_add3_u32 v3, v2, v3, 0x88fffff
	v_lshrrev_b32_e32 v3, 21, v3
	s_or_saveexec_b32 s4, s4
                                        ; implicit-def: $sgpr5
	s_delay_alu instid0(SALU_CYCLE_1)
	s_xor_b32 exec_lo, exec_lo, s4
	s_cbranch_execnz .LBB9_2265
.LBB9_2151:
	s_or_b32 exec_lo, exec_lo, s4
	v_mov_b32_e32 v4, s5
	s_and_saveexec_b32 s4, s3
.LBB9_2152:
	v_lshrrev_b32_e32 v2, 24, v2
	s_delay_alu instid0(VALU_DEP_1)
	v_and_or_b32 v4, 0x80, v2, v3
.LBB9_2153:
	s_or_b32 exec_lo, exec_lo, s4
.LBB9_2154:
	s_delay_alu instid0(SALU_CYCLE_1)
	s_or_b32 exec_lo, exec_lo, s1
	s_mov_b32 s1, 0
	global_store_b8 v[0:1], v4, off
.LBB9_2155:
	s_and_b32 vcc_lo, exec_lo, s1
	s_cbranch_vccz .LBB9_2165
; %bb.2156:
	v_cvt_f32_f64_e32 v2, v[12:13]
	s_mov_b32 s1, exec_lo
                                        ; implicit-def: $vgpr3
	s_delay_alu instid0(VALU_DEP_1) | instskip(NEXT) | instid1(VALU_DEP_1)
	v_and_b32_e32 v4, 0x7fffffff, v2
	v_cmpx_gt_u32_e32 0x43f00000, v4
	s_xor_b32 s1, exec_lo, s1
	s_cbranch_execz .LBB9_2162
; %bb.2157:
	s_mov_b32 s3, exec_lo
                                        ; implicit-def: $vgpr3
	v_cmpx_lt_u32_e32 0x3c7fffff, v4
	s_xor_b32 s3, exec_lo, s3
; %bb.2158:
	v_bfe_u32 v3, v2, 20, 1
	s_delay_alu instid0(VALU_DEP_1) | instskip(NEXT) | instid1(VALU_DEP_1)
	v_add3_u32 v3, v2, v3, 0x407ffff
	v_and_b32_e32 v4, 0xff00000, v3
	v_lshrrev_b32_e32 v3, 20, v3
	s_delay_alu instid0(VALU_DEP_2) | instskip(NEXT) | instid1(VALU_DEP_2)
	v_cmp_ne_u32_e32 vcc_lo, 0x7f00000, v4
	v_cndmask_b32_e32 v3, 0x7e, v3, vcc_lo
; %bb.2159:
	s_and_not1_saveexec_b32 s3, s3
; %bb.2160:
	v_add_f32_e64 v3, 0x46800000, |v2|
; %bb.2161:
	s_or_b32 exec_lo, exec_lo, s3
                                        ; implicit-def: $vgpr4
.LBB9_2162:
	s_and_not1_saveexec_b32 s1, s1
; %bb.2163:
	v_mov_b32_e32 v3, 0x7f
	v_cmp_lt_u32_e32 vcc_lo, 0x7f800000, v4
	s_delay_alu instid0(VALU_DEP_2)
	v_cndmask_b32_e32 v3, 0x7e, v3, vcc_lo
; %bb.2164:
	s_or_b32 exec_lo, exec_lo, s1
	v_lshrrev_b32_e32 v2, 24, v2
	s_delay_alu instid0(VALU_DEP_1)
	v_and_or_b32 v2, 0x80, v2, v3
	global_store_b8 v[0:1], v2, off
.LBB9_2165:
	s_mov_b32 s1, 0
.LBB9_2166:
	s_delay_alu instid0(SALU_CYCLE_1)
	s_and_not1_b32 vcc_lo, exec_lo, s1
	s_cbranch_vccnz .LBB9_2176
; %bb.2167:
	v_cvt_f32_f64_e32 v2, v[12:13]
	s_mov_b32 s1, exec_lo
                                        ; implicit-def: $vgpr3
	s_delay_alu instid0(VALU_DEP_1) | instskip(NEXT) | instid1(VALU_DEP_1)
	v_and_b32_e32 v4, 0x7fffffff, v2
	v_cmpx_gt_u32_e32 0x47800000, v4
	s_xor_b32 s1, exec_lo, s1
	s_cbranch_execz .LBB9_2173
; %bb.2168:
	s_mov_b32 s3, exec_lo
                                        ; implicit-def: $vgpr3
	v_cmpx_lt_u32_e32 0x387fffff, v4
	s_xor_b32 s3, exec_lo, s3
; %bb.2169:
	v_bfe_u32 v3, v2, 21, 1
	s_delay_alu instid0(VALU_DEP_1) | instskip(NEXT) | instid1(VALU_DEP_1)
	v_add3_u32 v3, v2, v3, 0x80fffff
	v_lshrrev_b32_e32 v3, 21, v3
; %bb.2170:
	s_and_not1_saveexec_b32 s3, s3
; %bb.2171:
	v_add_f32_e64 v3, 0x43000000, |v2|
; %bb.2172:
	s_or_b32 exec_lo, exec_lo, s3
                                        ; implicit-def: $vgpr4
.LBB9_2173:
	s_and_not1_saveexec_b32 s1, s1
; %bb.2174:
	v_mov_b32_e32 v3, 0x7f
	v_cmp_lt_u32_e32 vcc_lo, 0x7f800000, v4
	s_delay_alu instid0(VALU_DEP_2)
	v_cndmask_b32_e32 v3, 0x7c, v3, vcc_lo
; %bb.2175:
	s_or_b32 exec_lo, exec_lo, s1
	v_lshrrev_b32_e32 v2, 24, v2
	s_delay_alu instid0(VALU_DEP_1)
	v_and_or_b32 v2, 0x80, v2, v3
	global_store_b8 v[0:1], v2, off
.LBB9_2176:
	s_mov_b32 s1, 0
.LBB9_2177:
	s_delay_alu instid0(SALU_CYCLE_1)
	s_and_not1_b32 vcc_lo, exec_lo, s1
	s_mov_b32 s1, 0
	s_cbranch_vccnz .LBB9_2184
; %bb.2178:
	v_cmp_lt_i16_e32 vcc_lo, 14, v17
	s_mov_b32 s1, -1
	s_cbranch_vccz .LBB9_2182
; %bb.2179:
	v_cmp_eq_u16_e32 vcc_lo, 15, v17
	s_mov_b32 s0, -1
	s_cbranch_vccz .LBB9_2181
; %bb.2180:
	v_cvt_f32_f64_e32 v2, v[12:13]
	s_mov_b32 s0, 0
	s_delay_alu instid0(VALU_DEP_1) | instskip(SKIP_1) | instid1(VALU_DEP_2)
	v_bfe_u32 v3, v2, 16, 1
	v_cmp_o_f32_e32 vcc_lo, v2, v2
	v_add3_u32 v3, v2, v3, 0x7fff
	s_delay_alu instid0(VALU_DEP_1) | instskip(NEXT) | instid1(VALU_DEP_1)
	v_lshrrev_b32_e32 v3, 16, v3
	v_cndmask_b32_e32 v2, 0x7fc0, v3, vcc_lo
	global_store_b16 v[0:1], v2, off
.LBB9_2181:
	s_mov_b32 s1, 0
.LBB9_2182:
	s_delay_alu instid0(SALU_CYCLE_1)
	s_and_b32 vcc_lo, exec_lo, s1
	s_mov_b32 s1, 0
	s_cbranch_vccz .LBB9_2184
; %bb.2183:
	v_cmp_ne_u16_e64 s0, 11, v17
	s_mov_b32 s1, -1
.LBB9_2184:
	s_delay_alu instid0(VALU_DEP_1)
	s_and_b32 vcc_lo, exec_lo, s0
	s_cbranch_vccnz .LBB9_2262
.LBB9_2185:
	s_mov_b32 s0, 0
	s_branch .LBB9_2187
.LBB9_2186:
	s_mov_b32 s0, 0
	s_mov_b32 s1, 0
                                        ; implicit-def: $vgpr0_vgpr1
                                        ; implicit-def: $vgpr17
                                        ; implicit-def: $vgpr12_vgpr13
.LBB9_2187:
	s_and_b32 s3, s0, exec_lo
	s_and_not1_b32 s0, s8, exec_lo
	s_and_b32 s2, s2, exec_lo
	s_and_b32 s26, s1, exec_lo
	s_or_b32 s8, s0, s2
.LBB9_2188:
	s_or_b32 exec_lo, exec_lo, s9
	s_and_saveexec_b32 s0, s8
	s_cbranch_execz .LBB9_2191
; %bb.2189:
	; divergent unreachable
	s_or_b32 exec_lo, exec_lo, s0
	s_and_saveexec_b32 s0, s26
	s_delay_alu instid0(SALU_CYCLE_1)
	s_xor_b32 s0, exec_lo, s0
	s_cbranch_execnz .LBB9_2192
.LBB9_2190:
	s_or_b32 exec_lo, exec_lo, s0
	s_and_saveexec_b32 s0, s3
	s_cbranch_execnz .LBB9_2193
	s_branch .LBB9_2230
.LBB9_2191:
	s_or_b32 exec_lo, exec_lo, s0
	s_and_saveexec_b32 s0, s26
	s_delay_alu instid0(SALU_CYCLE_1)
	s_xor_b32 s0, exec_lo, s0
	s_cbranch_execz .LBB9_2190
.LBB9_2192:
	s_waitcnt vmcnt(0)
	s_delay_alu instid0(VALU_DEP_1)
	v_cmp_neq_f64_e32 vcc_lo, 0, v[12:13]
	v_cndmask_b32_e64 v2, 0, 1, vcc_lo
	global_store_b8 v[0:1], v2, off
	s_or_b32 exec_lo, exec_lo, s0
	s_and_saveexec_b32 s0, s3
	s_cbranch_execz .LBB9_2230
.LBB9_2193:
	v_cmp_gt_i16_e32 vcc_lo, 5, v17
	s_mov_b32 s0, -1
	s_cbranch_vccnz .LBB9_2214
; %bb.2194:
	v_cmp_gt_i16_e32 vcc_lo, 8, v17
	s_cbranch_vccnz .LBB9_2204
; %bb.2195:
	v_cmp_gt_i16_e32 vcc_lo, 9, v17
	s_cbranch_vccnz .LBB9_2201
; %bb.2196:
	v_cmp_lt_i16_e32 vcc_lo, 9, v17
	s_cbranch_vccz .LBB9_2198
; %bb.2197:
	v_mov_b32_e32 v14, 0
	s_mov_b32 s0, 0
	s_waitcnt vmcnt(0)
	s_delay_alu instid0(VALU_DEP_1)
	v_mov_b32_e32 v15, v14
	global_store_b128 v[0:1], v[12:15], off
.LBB9_2198:
	s_and_not1_b32 vcc_lo, exec_lo, s0
	s_cbranch_vccnz .LBB9_2200
; %bb.2199:
	s_waitcnt vmcnt(0)
	v_cvt_f32_f64_e32 v2, v[12:13]
	v_mov_b32_e32 v3, 0
	global_store_b64 v[0:1], v[2:3], off
.LBB9_2200:
	s_mov_b32 s0, 0
.LBB9_2201:
	s_delay_alu instid0(SALU_CYCLE_1)
	s_and_not1_b32 vcc_lo, exec_lo, s0
	s_cbranch_vccnz .LBB9_2203
; %bb.2202:
	s_waitcnt vmcnt(0)
	v_cvt_f32_f64_e32 v2, v[12:13]
	s_delay_alu instid0(VALU_DEP_1) | instskip(NEXT) | instid1(VALU_DEP_1)
	v_cvt_f16_f32_e32 v2, v2
	v_and_b32_e32 v2, 0xffff, v2
	global_store_b32 v[0:1], v2, off
.LBB9_2203:
	s_mov_b32 s0, 0
.LBB9_2204:
	s_delay_alu instid0(SALU_CYCLE_1)
	s_and_not1_b32 vcc_lo, exec_lo, s0
	s_cbranch_vccnz .LBB9_2213
; %bb.2205:
	v_cmp_gt_i16_e32 vcc_lo, 6, v17
	s_mov_b32 s0, -1
	s_cbranch_vccnz .LBB9_2211
; %bb.2206:
	v_cmp_lt_i16_e32 vcc_lo, 6, v17
	s_cbranch_vccz .LBB9_2208
; %bb.2207:
	s_mov_b32 s0, 0
	s_waitcnt vmcnt(0)
	global_store_b64 v[0:1], v[12:13], off
.LBB9_2208:
	s_and_not1_b32 vcc_lo, exec_lo, s0
	s_cbranch_vccnz .LBB9_2210
; %bb.2209:
	s_waitcnt vmcnt(0)
	v_cvt_f32_f64_e32 v2, v[12:13]
	global_store_b32 v[0:1], v2, off
.LBB9_2210:
	s_mov_b32 s0, 0
.LBB9_2211:
	s_delay_alu instid0(SALU_CYCLE_1)
	s_and_not1_b32 vcc_lo, exec_lo, s0
	s_cbranch_vccnz .LBB9_2213
; %bb.2212:
	s_waitcnt vmcnt(0)
	v_cvt_f32_f64_e32 v2, v[12:13]
	s_delay_alu instid0(VALU_DEP_1)
	v_cvt_f16_f32_e32 v2, v2
	global_store_b16 v[0:1], v2, off
.LBB9_2213:
	s_mov_b32 s0, 0
.LBB9_2214:
	s_delay_alu instid0(SALU_CYCLE_1)
	s_and_not1_b32 vcc_lo, exec_lo, s0
	s_cbranch_vccnz .LBB9_2230
; %bb.2215:
	v_cmp_gt_i16_e32 vcc_lo, 2, v17
	s_mov_b32 s0, -1
	s_cbranch_vccnz .LBB9_2225
; %bb.2216:
	v_cmp_gt_i16_e32 vcc_lo, 3, v17
	s_cbranch_vccnz .LBB9_2222
; %bb.2217:
	v_cmp_lt_i16_e32 vcc_lo, 3, v17
	s_cbranch_vccz .LBB9_2219
; %bb.2218:
	s_waitcnt vmcnt(0)
	v_trunc_f64_e32 v[2:3], v[12:13]
	s_mov_b32 s0, 0
	s_delay_alu instid0(VALU_DEP_1) | instskip(NEXT) | instid1(VALU_DEP_1)
	v_ldexp_f64 v[4:5], v[2:3], 0xffffffe0
	v_floor_f64_e32 v[4:5], v[4:5]
	s_delay_alu instid0(VALU_DEP_1) | instskip(SKIP_1) | instid1(VALU_DEP_2)
	v_fma_f64 v[2:3], 0xc1f00000, v[4:5], v[2:3]
	v_cvt_i32_f64_e32 v4, v[4:5]
	v_cvt_u32_f64_e32 v3, v[2:3]
	global_store_b64 v[0:1], v[3:4], off
.LBB9_2219:
	s_and_not1_b32 vcc_lo, exec_lo, s0
	s_cbranch_vccnz .LBB9_2221
; %bb.2220:
	s_waitcnt vmcnt(0)
	v_cvt_i32_f64_e32 v2, v[12:13]
	global_store_b32 v[0:1], v2, off
.LBB9_2221:
	s_mov_b32 s0, 0
.LBB9_2222:
	s_delay_alu instid0(SALU_CYCLE_1)
	s_and_not1_b32 vcc_lo, exec_lo, s0
	s_cbranch_vccnz .LBB9_2224
; %bb.2223:
	s_waitcnt vmcnt(0)
	v_cvt_i32_f64_e32 v2, v[12:13]
	global_store_b16 v[0:1], v2, off
.LBB9_2224:
	s_mov_b32 s0, 0
.LBB9_2225:
	s_delay_alu instid0(SALU_CYCLE_1)
	s_and_not1_b32 vcc_lo, exec_lo, s0
	s_cbranch_vccnz .LBB9_2230
; %bb.2226:
	v_cmp_lt_i16_e32 vcc_lo, 0, v17
	s_mov_b32 s0, -1
	s_cbranch_vccz .LBB9_2228
; %bb.2227:
	s_waitcnt vmcnt(0)
	v_cvt_i32_f64_e32 v2, v[12:13]
	s_mov_b32 s0, 0
	global_store_b8 v[0:1], v2, off
.LBB9_2228:
	s_and_not1_b32 vcc_lo, exec_lo, s0
	s_cbranch_vccnz .LBB9_2230
; %bb.2229:
	s_waitcnt vmcnt(0)
	v_trunc_f64_e32 v[2:3], v[12:13]
	s_delay_alu instid0(VALU_DEP_1) | instskip(NEXT) | instid1(VALU_DEP_1)
	v_ldexp_f64 v[4:5], v[2:3], 0xffffffe0
	v_floor_f64_e32 v[4:5], v[4:5]
	s_delay_alu instid0(VALU_DEP_1) | instskip(NEXT) | instid1(VALU_DEP_1)
	v_fma_f64 v[2:3], 0xc1f00000, v[4:5], v[2:3]
	v_cvt_u32_f64_e32 v2, v[2:3]
	global_store_b8 v[0:1], v2, off
	s_nop 0
	s_sendmsg sendmsg(MSG_DEALLOC_VGPRS)
	s_endpgm
.LBB9_2230:
	s_nop 0
	s_sendmsg sendmsg(MSG_DEALLOC_VGPRS)
	s_endpgm
.LBB9_2231:
	s_mov_b32 s0, 0
	s_mov_b32 s1, 0
                                        ; implicit-def: $vgpr0_vgpr1
                                        ; implicit-def: $vgpr17
	s_branch .LBB9_2187
.LBB9_2232:
	s_cbranch_execnz .LBB9_2236
; %bb.2233:
	s_or_b32 s2, s2, exec_lo
                                        ; implicit-def: $vgpr15_vgpr16
	s_cbranch_execz .LBB9_1692
	s_branch .LBB9_1693
.LBB9_2234:
	s_or_saveexec_b32 s7, s7
                                        ; implicit-def: $sgpr10
	s_delay_alu instid0(SALU_CYCLE_1)
	s_xor_b32 exec_lo, exec_lo, s7
	s_cbranch_execz .LBB9_1784
.LBB9_2235:
	v_add_f32_e64 v3, 0x46000000, |v2|
	s_and_not1_b32 s6, s6, exec_lo
	s_mov_b32 s10, 0
	s_delay_alu instid0(VALU_DEP_1) | instskip(NEXT) | instid1(VALU_DEP_1)
	v_and_b32_e32 v3, 0xff, v3
	v_cmp_ne_u32_e32 vcc_lo, 0, v3
	s_and_b32 s11, vcc_lo, exec_lo
	s_delay_alu instid0(SALU_CYCLE_1)
	s_or_b32 s6, s6, s11
	s_or_b32 exec_lo, exec_lo, s7
	v_mov_b32_e32 v7, s10
	s_and_saveexec_b32 s7, s6
	s_cbranch_execnz .LBB9_1785
	s_branch .LBB9_1786
.LBB9_2236:
	s_trap 2
	s_sendmsg_rtn_b32 s0, sendmsg(MSG_RTN_GET_DOORBELL)
	s_mov_b32 ttmp2, m0
	s_waitcnt lgkmcnt(0)
	s_and_b32 s0, s0, 0x3ff
	s_delay_alu instid0(SALU_CYCLE_1) | instskip(NEXT) | instid1(SALU_CYCLE_1)
	s_bitset1_b32 s0, 10
	s_mov_b32 m0, s0
	s_sendmsg sendmsg(MSG_INTERRUPT)
	s_mov_b32 m0, ttmp2
.LBB9_2237:                             ; =>This Inner Loop Header: Depth=1
	s_sethalt 5
	s_branch .LBB9_2237
.LBB9_2238:
	s_cbranch_execnz .LBB9_2244
; %bb.2239:
	s_or_b32 s2, s2, exec_lo
	s_cbranch_execz .LBB9_1832
	s_branch .LBB9_1833
.LBB9_2240:
	s_or_saveexec_b32 s6, s6
                                        ; implicit-def: $sgpr7
	s_delay_alu instid0(SALU_CYCLE_1)
	s_xor_b32 exec_lo, exec_lo, s6
	s_cbranch_execz .LBB9_1797
.LBB9_2241:
	v_add_f32_e64 v3, 0x42800000, |v2|
	s_and_not1_b32 s3, s3, exec_lo
	s_mov_b32 s7, 0
	s_delay_alu instid0(VALU_DEP_1) | instskip(NEXT) | instid1(VALU_DEP_1)
	v_and_b32_e32 v3, 0xff, v3
	v_cmp_ne_u32_e32 vcc_lo, 0, v3
	s_and_b32 s10, vcc_lo, exec_lo
	s_delay_alu instid0(SALU_CYCLE_1)
	s_or_b32 s3, s3, s10
	s_or_b32 exec_lo, exec_lo, s6
	v_mov_b32_e32 v7, s7
	s_and_saveexec_b32 s6, s3
	s_cbranch_execnz .LBB9_1798
	s_branch .LBB9_1799
.LBB9_2242:
	s_or_saveexec_b32 s7, s7
                                        ; implicit-def: $sgpr10
	s_delay_alu instid0(SALU_CYCLE_1)
	s_xor_b32 exec_lo, exec_lo, s7
	s_cbranch_execz .LBB9_1902
.LBB9_2243:
	v_add_f32_e64 v3, 0x46000000, |v2|
	s_and_not1_b32 s6, s6, exec_lo
	s_mov_b32 s10, 0
	s_delay_alu instid0(VALU_DEP_1) | instskip(NEXT) | instid1(VALU_DEP_1)
	v_and_b32_e32 v3, 0xff, v3
	v_cmp_ne_u32_e32 vcc_lo, 0, v3
	s_and_b32 s11, vcc_lo, exec_lo
	s_delay_alu instid0(SALU_CYCLE_1)
	s_or_b32 s6, s6, s11
	s_or_b32 exec_lo, exec_lo, s7
	v_mov_b32_e32 v6, s10
	s_and_saveexec_b32 s7, s6
	s_cbranch_execnz .LBB9_1903
	s_branch .LBB9_1904
.LBB9_2244:
	s_trap 2
	s_sendmsg_rtn_b32 s0, sendmsg(MSG_RTN_GET_DOORBELL)
	s_mov_b32 ttmp2, m0
	s_waitcnt lgkmcnt(0)
	s_and_b32 s0, s0, 0x3ff
	s_delay_alu instid0(SALU_CYCLE_1) | instskip(NEXT) | instid1(SALU_CYCLE_1)
	s_bitset1_b32 s0, 10
	s_mov_b32 m0, s0
	s_sendmsg sendmsg(MSG_INTERRUPT)
	s_mov_b32 m0, ttmp2
.LBB9_2245:                             ; =>This Inner Loop Header: Depth=1
	s_sethalt 5
	s_branch .LBB9_2245
.LBB9_2246:
	s_cbranch_execnz .LBB9_2252
; %bb.2247:
	s_or_b32 s2, s2, exec_lo
	s_cbranch_execz .LBB9_1950
	s_branch .LBB9_1951
.LBB9_2248:
	s_or_saveexec_b32 s6, s6
                                        ; implicit-def: $sgpr7
	s_delay_alu instid0(SALU_CYCLE_1)
	s_xor_b32 exec_lo, exec_lo, s6
	s_cbranch_execz .LBB9_1915
.LBB9_2249:
	v_add_f32_e64 v3, 0x42800000, |v2|
	s_and_not1_b32 s3, s3, exec_lo
	s_mov_b32 s7, 0
	s_delay_alu instid0(VALU_DEP_1) | instskip(NEXT) | instid1(VALU_DEP_1)
	v_and_b32_e32 v3, 0xff, v3
	v_cmp_ne_u32_e32 vcc_lo, 0, v3
	s_and_b32 s10, vcc_lo, exec_lo
	s_delay_alu instid0(SALU_CYCLE_1)
	s_or_b32 s3, s3, s10
	s_or_b32 exec_lo, exec_lo, s6
	v_mov_b32_e32 v6, s7
	s_and_saveexec_b32 s6, s3
	s_cbranch_execnz .LBB9_1916
	s_branch .LBB9_1917
.LBB9_2250:
	s_or_saveexec_b32 s7, s7
                                        ; implicit-def: $sgpr10
	s_delay_alu instid0(SALU_CYCLE_1)
	s_xor_b32 exec_lo, exec_lo, s7
	s_cbranch_execz .LBB9_2020
.LBB9_2251:
	v_add_f32_e64 v3, 0x46000000, |v2|
	s_and_not1_b32 s6, s6, exec_lo
	s_mov_b32 s10, 0
	s_delay_alu instid0(VALU_DEP_1) | instskip(NEXT) | instid1(VALU_DEP_1)
	v_and_b32_e32 v3, 0xff, v3
	v_cmp_ne_u32_e32 vcc_lo, 0, v3
	s_and_b32 s11, vcc_lo, exec_lo
	s_delay_alu instid0(SALU_CYCLE_1)
	s_or_b32 s6, s6, s11
	s_or_b32 exec_lo, exec_lo, s7
	v_mov_b32_e32 v4, s10
	s_and_saveexec_b32 s7, s6
	s_cbranch_execnz .LBB9_2021
	s_branch .LBB9_2022
.LBB9_2252:
	s_trap 2
	s_sendmsg_rtn_b32 s0, sendmsg(MSG_RTN_GET_DOORBELL)
	s_mov_b32 ttmp2, m0
	s_waitcnt lgkmcnt(0)
	s_and_b32 s0, s0, 0x3ff
	s_delay_alu instid0(SALU_CYCLE_1) | instskip(NEXT) | instid1(SALU_CYCLE_1)
	s_bitset1_b32 s0, 10
	s_mov_b32 m0, s0
	s_sendmsg sendmsg(MSG_INTERRUPT)
	s_mov_b32 m0, ttmp2
.LBB9_2253:                             ; =>This Inner Loop Header: Depth=1
	s_sethalt 5
	s_branch .LBB9_2253
.LBB9_2254:
	s_cbranch_execnz .LBB9_2260
; %bb.2255:
	s_or_b32 s2, s2, exec_lo
	s_cbranch_execz .LBB9_2068
	s_branch .LBB9_2069
.LBB9_2256:
	s_or_saveexec_b32 s6, s6
                                        ; implicit-def: $sgpr7
	s_delay_alu instid0(SALU_CYCLE_1)
	s_xor_b32 exec_lo, exec_lo, s6
	s_cbranch_execz .LBB9_2033
.LBB9_2257:
	v_add_f32_e64 v3, 0x42800000, |v2|
	s_and_not1_b32 s3, s3, exec_lo
	s_mov_b32 s7, 0
	s_delay_alu instid0(VALU_DEP_1) | instskip(NEXT) | instid1(VALU_DEP_1)
	v_and_b32_e32 v3, 0xff, v3
	v_cmp_ne_u32_e32 vcc_lo, 0, v3
	s_and_b32 s10, vcc_lo, exec_lo
	s_delay_alu instid0(SALU_CYCLE_1)
	s_or_b32 s3, s3, s10
	s_or_b32 exec_lo, exec_lo, s6
	v_mov_b32_e32 v4, s7
	s_and_saveexec_b32 s6, s3
	s_cbranch_execnz .LBB9_2034
	s_branch .LBB9_2035
.LBB9_2258:
	s_or_saveexec_b32 s5, s5
                                        ; implicit-def: $sgpr6
	s_delay_alu instid0(SALU_CYCLE_1)
	s_xor_b32 exec_lo, exec_lo, s5
	s_cbranch_execz .LBB9_2139
.LBB9_2259:
	v_add_f32_e64 v3, 0x46000000, |v2|
	s_and_not1_b32 s4, s4, exec_lo
	s_mov_b32 s6, 0
	s_delay_alu instid0(VALU_DEP_1) | instskip(NEXT) | instid1(VALU_DEP_1)
	v_and_b32_e32 v3, 0xff, v3
	v_cmp_ne_u32_e32 vcc_lo, 0, v3
	s_and_b32 s7, vcc_lo, exec_lo
	s_delay_alu instid0(SALU_CYCLE_1)
	s_or_b32 s4, s4, s7
	s_or_b32 exec_lo, exec_lo, s5
	v_mov_b32_e32 v4, s6
	s_and_saveexec_b32 s5, s4
	s_cbranch_execnz .LBB9_2140
	s_branch .LBB9_2141
.LBB9_2260:
	s_trap 2
	s_sendmsg_rtn_b32 s0, sendmsg(MSG_RTN_GET_DOORBELL)
	s_mov_b32 ttmp2, m0
	s_waitcnt lgkmcnt(0)
	s_and_b32 s0, s0, 0x3ff
	s_delay_alu instid0(SALU_CYCLE_1) | instskip(NEXT) | instid1(SALU_CYCLE_1)
	s_bitset1_b32 s0, 10
	s_mov_b32 m0, s0
	s_sendmsg sendmsg(MSG_INTERRUPT)
	s_mov_b32 m0, ttmp2
.LBB9_2261:                             ; =>This Inner Loop Header: Depth=1
	s_sethalt 5
	s_branch .LBB9_2261
.LBB9_2262:
	s_cbranch_execnz .LBB9_2266
; %bb.2263:
	s_mov_b32 s1, 0
	s_or_b32 s2, s2, exec_lo
	s_branch .LBB9_2185
.LBB9_2264:
	s_or_saveexec_b32 s4, s4
                                        ; implicit-def: $sgpr5
	s_delay_alu instid0(SALU_CYCLE_1)
	s_xor_b32 exec_lo, exec_lo, s4
	s_cbranch_execz .LBB9_2151
.LBB9_2265:
	v_add_f32_e64 v3, 0x42800000, |v2|
	s_and_not1_b32 s3, s3, exec_lo
	s_mov_b32 s5, 0
	s_delay_alu instid0(VALU_DEP_1) | instskip(NEXT) | instid1(VALU_DEP_1)
	v_and_b32_e32 v3, 0xff, v3
	v_cmp_ne_u32_e32 vcc_lo, 0, v3
	s_and_b32 s6, vcc_lo, exec_lo
	s_delay_alu instid0(SALU_CYCLE_1)
	s_or_b32 s3, s3, s6
	s_or_b32 exec_lo, exec_lo, s4
	v_mov_b32_e32 v4, s5
	s_and_saveexec_b32 s4, s3
	s_cbranch_execnz .LBB9_2152
	s_branch .LBB9_2153
.LBB9_2266:
	s_trap 2
	s_sendmsg_rtn_b32 s0, sendmsg(MSG_RTN_GET_DOORBELL)
	s_mov_b32 ttmp2, m0
	s_waitcnt lgkmcnt(0)
	s_and_b32 s0, s0, 0x3ff
	s_delay_alu instid0(SALU_CYCLE_1) | instskip(NEXT) | instid1(SALU_CYCLE_1)
	s_bitset1_b32 s0, 10
	s_mov_b32 m0, s0
	s_sendmsg sendmsg(MSG_INTERRUPT)
	s_mov_b32 m0, ttmp2
.LBB9_2267:                             ; =>This Inner Loop Header: Depth=1
	s_sethalt 5
	s_branch .LBB9_2267
	.section	.rodata,"a",@progbits
	.p2align	6, 0x0
	.amdhsa_kernel _ZN2at6native32elementwise_kernel_manual_unrollILi128ELi4EZNS0_15gpu_kernel_implIZZZNS0_12_GLOBAL__N_130modified_bessel_i1_kernel_cudaERNS_18TensorIteratorBaseEENKUlvE_clEvENKUlvE_clEvEUldE_EEvS5_RKT_EUlibE0_EEviT1_
		.amdhsa_group_segment_fixed_size 0
		.amdhsa_private_segment_fixed_size 0
		.amdhsa_kernarg_size 360
		.amdhsa_user_sgpr_count 15
		.amdhsa_user_sgpr_dispatch_ptr 0
		.amdhsa_user_sgpr_queue_ptr 0
		.amdhsa_user_sgpr_kernarg_segment_ptr 1
		.amdhsa_user_sgpr_dispatch_id 0
		.amdhsa_user_sgpr_private_segment_size 0
		.amdhsa_wavefront_size32 1
		.amdhsa_uses_dynamic_stack 0
		.amdhsa_enable_private_segment 0
		.amdhsa_system_sgpr_workgroup_id_x 1
		.amdhsa_system_sgpr_workgroup_id_y 0
		.amdhsa_system_sgpr_workgroup_id_z 0
		.amdhsa_system_sgpr_workgroup_info 0
		.amdhsa_system_vgpr_workitem_id 0
		.amdhsa_next_free_vgpr 27
		.amdhsa_next_free_sgpr 68
		.amdhsa_reserve_vcc 1
		.amdhsa_float_round_mode_32 0
		.amdhsa_float_round_mode_16_64 0
		.amdhsa_float_denorm_mode_32 3
		.amdhsa_float_denorm_mode_16_64 3
		.amdhsa_dx10_clamp 1
		.amdhsa_ieee_mode 1
		.amdhsa_fp16_overflow 0
		.amdhsa_workgroup_processor_mode 1
		.amdhsa_memory_ordered 1
		.amdhsa_forward_progress 0
		.amdhsa_shared_vgpr_count 0
		.amdhsa_exception_fp_ieee_invalid_op 0
		.amdhsa_exception_fp_denorm_src 0
		.amdhsa_exception_fp_ieee_div_zero 0
		.amdhsa_exception_fp_ieee_overflow 0
		.amdhsa_exception_fp_ieee_underflow 0
		.amdhsa_exception_fp_ieee_inexact 0
		.amdhsa_exception_int_div_zero 0
	.end_amdhsa_kernel
	.section	.text._ZN2at6native32elementwise_kernel_manual_unrollILi128ELi4EZNS0_15gpu_kernel_implIZZZNS0_12_GLOBAL__N_130modified_bessel_i1_kernel_cudaERNS_18TensorIteratorBaseEENKUlvE_clEvENKUlvE_clEvEUldE_EEvS5_RKT_EUlibE0_EEviT1_,"axG",@progbits,_ZN2at6native32elementwise_kernel_manual_unrollILi128ELi4EZNS0_15gpu_kernel_implIZZZNS0_12_GLOBAL__N_130modified_bessel_i1_kernel_cudaERNS_18TensorIteratorBaseEENKUlvE_clEvENKUlvE_clEvEUldE_EEvS5_RKT_EUlibE0_EEviT1_,comdat
.Lfunc_end9:
	.size	_ZN2at6native32elementwise_kernel_manual_unrollILi128ELi4EZNS0_15gpu_kernel_implIZZZNS0_12_GLOBAL__N_130modified_bessel_i1_kernel_cudaERNS_18TensorIteratorBaseEENKUlvE_clEvENKUlvE_clEvEUldE_EEvS5_RKT_EUlibE0_EEviT1_, .Lfunc_end9-_ZN2at6native32elementwise_kernel_manual_unrollILi128ELi4EZNS0_15gpu_kernel_implIZZZNS0_12_GLOBAL__N_130modified_bessel_i1_kernel_cudaERNS_18TensorIteratorBaseEENKUlvE_clEvENKUlvE_clEvEUldE_EEvS5_RKT_EUlibE0_EEviT1_
                                        ; -- End function
	.section	.AMDGPU.csdata,"",@progbits
; Kernel info:
; codeLenInByte = 73632
; NumSgprs: 70
; NumVgprs: 27
; ScratchSize: 0
; MemoryBound: 1
; FloatMode: 240
; IeeeMode: 1
; LDSByteSize: 0 bytes/workgroup (compile time only)
; SGPRBlocks: 8
; VGPRBlocks: 3
; NumSGPRsForWavesPerEU: 70
; NumVGPRsForWavesPerEU: 27
; Occupancy: 16
; WaveLimiterHint : 1
; COMPUTE_PGM_RSRC2:SCRATCH_EN: 0
; COMPUTE_PGM_RSRC2:USER_SGPR: 15
; COMPUTE_PGM_RSRC2:TRAP_HANDLER: 0
; COMPUTE_PGM_RSRC2:TGID_X_EN: 1
; COMPUTE_PGM_RSRC2:TGID_Y_EN: 0
; COMPUTE_PGM_RSRC2:TGID_Z_EN: 0
; COMPUTE_PGM_RSRC2:TIDIG_COMP_CNT: 0
	.text
	.p2align	2                               ; -- Begin function _ZN2at6native25elementwise_kernel_helperILb0EZZZNS0_12_GLOBAL__N_130modified_bessel_i1_kernel_cudaERNS_18TensorIteratorBaseEENKUlvE_clEvENKUlvE0_clEvEUlfE_NS0_6memory8policies11unroll_baseILi256ESt5arrayIPcLm2EE23TrivialOffsetCalculatorILi1EjESF_NS8_15LoadWithoutCastENS8_16StoreWithoutCastELi4ELi1EEEEEvT0_T1_
	.type	_ZN2at6native25elementwise_kernel_helperILb0EZZZNS0_12_GLOBAL__N_130modified_bessel_i1_kernel_cudaERNS_18TensorIteratorBaseEENKUlvE_clEvENKUlvE0_clEvEUlfE_NS0_6memory8policies11unroll_baseILi256ESt5arrayIPcLm2EE23TrivialOffsetCalculatorILi1EjESF_NS8_15LoadWithoutCastENS8_16StoreWithoutCastELi4ELi1EEEEEvT0_T1_,@function
_ZN2at6native25elementwise_kernel_helperILb0EZZZNS0_12_GLOBAL__N_130modified_bessel_i1_kernel_cudaERNS_18TensorIteratorBaseEENKUlvE_clEvENKUlvE0_clEvEUlfE_NS0_6memory8policies11unroll_baseILi256ESt5arrayIPcLm2EE23TrivialOffsetCalculatorILi1EjESF_NS8_15LoadWithoutCastENS8_16StoreWithoutCastELi4ELi1EEEEEvT0_T1_: ; @_ZN2at6native25elementwise_kernel_helperILb0EZZZNS0_12_GLOBAL__N_130modified_bessel_i1_kernel_cudaERNS_18TensorIteratorBaseEENKUlvE_clEvENKUlvE0_clEvEUlfE_NS0_6memory8policies11unroll_baseILi256ESt5arrayIPcLm2EE23TrivialOffsetCalculatorILi1EjESF_NS8_15LoadWithoutCastENS8_16StoreWithoutCastELi4ELi1EEEEEvT0_T1_
; %bb.0:
	s_waitcnt vmcnt(0) expcnt(0) lgkmcnt(0)
	v_dual_mov_b32 v14, 0 :: v_dual_and_b32 v11, 0x3ff, v31
	s_lshl_b32 s2, s12, 10
	v_mov_b32_e32 v15, 0
	s_delay_alu instid0(VALU_DEP_2) | instskip(SKIP_2) | instid1(VALU_DEP_3)
	v_cmp_lt_i32_e64 s0, v11, v4
	v_or_b32_e32 v9, s2, v11
	v_dual_mov_b32 v5, v11 :: v_dual_add_nc_u32 v12, 0x100, v11
	s_and_saveexec_b32 s1, s0
	s_cbranch_execz .LBB10_2
; %bb.1:
	v_mov_b32_e32 v10, 0
	s_delay_alu instid0(VALU_DEP_1) | instskip(NEXT) | instid1(VALU_DEP_1)
	v_lshlrev_b64 v[5:6], 2, v[9:10]
	v_add_co_u32 v5, vcc_lo, v2, v5
	s_delay_alu instid0(VALU_DEP_2)
	v_add_co_ci_u32_e32 v6, vcc_lo, v3, v6, vcc_lo
	flat_load_b32 v15, v[5:6]
	v_add_nc_u32_e32 v5, 0x100, v11
.LBB10_2:
	s_or_b32 exec_lo, exec_lo, s1
	s_delay_alu instid0(SALU_CYCLE_1) | instskip(NEXT) | instid1(VALU_DEP_1)
	s_mov_b32 s1, exec_lo
	v_cmpx_lt_i32_e64 v5, v4
	s_cbranch_execz .LBB10_4
; %bb.3:
	v_dual_mov_b32 v7, 0 :: v_dual_add_nc_u32 v6, s2, v5
	v_add_nc_u32_e32 v5, 0x100, v5
	s_delay_alu instid0(VALU_DEP_2) | instskip(NEXT) | instid1(VALU_DEP_1)
	v_lshlrev_b64 v[6:7], 2, v[6:7]
	v_add_co_u32 v6, vcc_lo, v2, v6
	s_delay_alu instid0(VALU_DEP_2)
	v_add_co_ci_u32_e32 v7, vcc_lo, v3, v7, vcc_lo
	flat_load_b32 v14, v[6:7]
.LBB10_4:
	s_or_b32 exec_lo, exec_lo, s1
	v_dual_mov_b32 v10, 0 :: v_dual_mov_b32 v13, 0
	s_mov_b32 s1, exec_lo
	v_cmpx_lt_i32_e64 v5, v4
	s_cbranch_execnz .LBB10_8
; %bb.5:
	s_or_b32 exec_lo, exec_lo, s1
	s_delay_alu instid0(SALU_CYCLE_1)
	s_mov_b32 s1, exec_lo
	v_cmpx_lt_i32_e64 v5, v4
	s_cbranch_execnz .LBB10_9
.LBB10_6:
	s_or_b32 exec_lo, exec_lo, s1
                                        ; implicit-def: $vgpr5_vgpr6_vgpr7_vgpr8
	s_and_saveexec_b32 s3, s0
	s_cbranch_execnz .LBB10_10
.LBB10_7:
	s_or_b32 exec_lo, exec_lo, s3
	s_delay_alu instid0(SALU_CYCLE_1)
	s_mov_b32 s3, exec_lo
	v_cmpx_lt_i32_e64 v12, v4
	s_cbranch_execnz .LBB10_23
	s_branch .LBB10_36
.LBB10_8:
	v_dual_mov_b32 v7, 0 :: v_dual_add_nc_u32 v6, s2, v5
	v_add_nc_u32_e32 v5, 0x100, v5
	s_delay_alu instid0(VALU_DEP_2) | instskip(NEXT) | instid1(VALU_DEP_1)
	v_lshlrev_b64 v[6:7], 2, v[6:7]
	v_add_co_u32 v6, vcc_lo, v2, v6
	s_delay_alu instid0(VALU_DEP_2) | instskip(SKIP_2) | instid1(SALU_CYCLE_1)
	v_add_co_ci_u32_e32 v7, vcc_lo, v3, v7, vcc_lo
	flat_load_b32 v13, v[6:7]
	s_or_b32 exec_lo, exec_lo, s1
	s_mov_b32 s1, exec_lo
	v_cmpx_lt_i32_e64 v5, v4
	s_cbranch_execz .LBB10_6
.LBB10_9:
	v_dual_mov_b32 v6, 0 :: v_dual_add_nc_u32 v5, s2, v5
	s_delay_alu instid0(VALU_DEP_1) | instskip(NEXT) | instid1(VALU_DEP_1)
	v_lshlrev_b64 v[5:6], 2, v[5:6]
	v_add_co_u32 v2, vcc_lo, v2, v5
	s_delay_alu instid0(VALU_DEP_2)
	v_add_co_ci_u32_e32 v3, vcc_lo, v3, v6, vcc_lo
	flat_load_b32 v10, v[2:3]
	s_or_b32 exec_lo, exec_lo, s1
                                        ; implicit-def: $vgpr5_vgpr6_vgpr7_vgpr8
	s_and_saveexec_b32 s3, s0
	s_cbranch_execz .LBB10_7
.LBB10_10:
	s_waitcnt vmcnt(0) lgkmcnt(0)
	v_cmp_ge_f32_e64 s1, 0x41000000, |v15|
                                        ; implicit-def: $vgpr5
	s_delay_alu instid0(VALU_DEP_1) | instskip(NEXT) | instid1(SALU_CYCLE_1)
	s_and_saveexec_b32 s4, s1
	s_xor_b32 s1, exec_lo, s4
	s_cbranch_execz .LBB10_16
; %bb.11:
	v_fma_f32 v2, |v15|, 0.5, -2.0
	s_mov_b32 s4, 0x224cf950
	s_delay_alu instid0(VALU_DEP_1) | instid1(SALU_CYCLE_1)
	v_fmaak_f32 v3, s4, v2, 0xa3c2be86
	s_mov_b32 s4, exec_lo
	s_delay_alu instid0(VALU_DEP_1) | instskip(NEXT) | instid1(VALU_DEP_1)
	v_fmaak_f32 v5, v2, v3, 0xa24cf950
	v_add_f32_e32 v5, 0x25331f1f, v5
	s_delay_alu instid0(VALU_DEP_1) | instskip(NEXT) | instid1(VALU_DEP_1)
	v_fma_f32 v3, v2, v5, -v3
	v_add_f32_e32 v3, 0xa69f5554, v3
	s_delay_alu instid0(VALU_DEP_1) | instskip(NEXT) | instid1(VALU_DEP_1)
	v_fma_f32 v5, v2, v3, -v5
	;; [unrolled: 3-line block ×26, first 2 shown]
	v_add_f32_e32 v2, 0x3e81531c, v2
	s_delay_alu instid0(VALU_DEP_1)
	v_sub_f32_e32 v2, v2, v5
                                        ; implicit-def: $vgpr5
	v_cmpx_ngt_f32_e32 0, v15
	s_xor_b32 s4, exec_lo, s4
	s_cbranch_execz .LBB10_13
; %bb.12:
	v_mul_f32_e64 v3, 0x3fb8aa3b, |v15|
	v_cmp_ngt_f32_e64 vcc_lo, 0xc2ce8ed0, |v15|
	v_mul_f32_e32 v2, 0.5, v2
	s_delay_alu instid0(VALU_DEP_3) | instskip(SKIP_1) | instid1(VALU_DEP_3)
	v_rndne_f32_e32 v5, v3
	v_fma_f32 v6, 0x3fb8aa3b, |v15|, -v3
	v_mul_f32_e64 v2, |v15|, v2
	s_delay_alu instid0(VALU_DEP_3) | instskip(NEXT) | instid1(VALU_DEP_3)
	v_sub_f32_e32 v3, v3, v5
	v_fma_f32 v6, 0x32a5705f, |v15|, v6
	v_cvt_i32_f32_e32 v5, v5
	s_delay_alu instid0(VALU_DEP_2) | instskip(NEXT) | instid1(VALU_DEP_1)
	v_add_f32_e32 v3, v3, v6
	v_exp_f32_e32 v3, v3
	s_waitcnt_depctr 0xfff
	v_ldexp_f32 v3, v3, v5
	s_delay_alu instid0(VALU_DEP_1) | instskip(SKIP_1) | instid1(VALU_DEP_2)
	v_cndmask_b32_e32 v3, 0, v3, vcc_lo
	v_cmp_nlt_f32_e64 vcc_lo, 0x42b17218, |v15|
                                        ; implicit-def: $vgpr15
	v_cndmask_b32_e32 v3, 0x7f800000, v3, vcc_lo
	s_delay_alu instid0(VALU_DEP_1)
	v_mul_f32_e32 v5, v3, v2
                                        ; implicit-def: $vgpr2
.LBB10_13:
	s_and_not1_saveexec_b32 s4, s4
	s_cbranch_execz .LBB10_15
; %bb.14:
	v_mul_f32_e64 v3, 0x3fb8aa3b, |v15|
	v_cmp_ngt_f32_e64 vcc_lo, 0xc2ce8ed0, |v15|
	v_mul_f32_e32 v2, -0.5, v2
	s_delay_alu instid0(VALU_DEP_3) | instskip(SKIP_1) | instid1(VALU_DEP_3)
	v_rndne_f32_e32 v5, v3
	v_fma_f32 v6, 0x3fb8aa3b, |v15|, -v3
	v_mul_f32_e64 v2, |v15|, v2
	s_delay_alu instid0(VALU_DEP_3) | instskip(NEXT) | instid1(VALU_DEP_3)
	v_sub_f32_e32 v3, v3, v5
	v_fma_f32 v6, 0x32a5705f, |v15|, v6
	v_cvt_i32_f32_e32 v5, v5
	s_delay_alu instid0(VALU_DEP_2) | instskip(NEXT) | instid1(VALU_DEP_1)
	v_add_f32_e32 v3, v3, v6
	v_exp_f32_e32 v3, v3
	s_waitcnt_depctr 0xfff
	v_ldexp_f32 v3, v3, v5
	s_delay_alu instid0(VALU_DEP_1) | instskip(SKIP_1) | instid1(VALU_DEP_2)
	v_cndmask_b32_e32 v3, 0, v3, vcc_lo
	v_cmp_nlt_f32_e64 vcc_lo, 0x42b17218, |v15|
	v_cndmask_b32_e32 v3, 0x7f800000, v3, vcc_lo
	s_delay_alu instid0(VALU_DEP_1)
	v_mul_f32_e32 v5, v3, v2
.LBB10_15:
	s_or_b32 exec_lo, exec_lo, s4
                                        ; implicit-def: $vgpr15
.LBB10_16:
	s_and_not1_saveexec_b32 s4, s1
	s_cbranch_execz .LBB10_22
; %bb.17:
	v_and_b32_e32 v2, 0x7fffffff, v15
	s_mov_b32 s1, 0x230aab6e
	s_delay_alu instid0(VALU_DEP_1) | instskip(NEXT) | instid1(VALU_DEP_1)
	v_div_scale_f32 v3, null, v2, v2, 0x42000000
	v_rcp_f32_e32 v5, v3
	s_waitcnt_depctr 0xfff
	v_fma_f32 v6, -v3, v5, 1.0
	s_delay_alu instid0(VALU_DEP_1) | instskip(SKIP_1) | instid1(VALU_DEP_1)
	v_fmac_f32_e32 v5, v6, v5
	v_div_scale_f32 v2, vcc_lo, 0x42000000, v2, 0x42000000
	v_mul_f32_e32 v6, v2, v5
	s_delay_alu instid0(VALU_DEP_1) | instskip(NEXT) | instid1(VALU_DEP_1)
	v_fma_f32 v7, -v3, v6, v2
	v_fmac_f32_e32 v6, v7, v5
	s_delay_alu instid0(VALU_DEP_1) | instskip(NEXT) | instid1(VALU_DEP_1)
	v_fma_f32 v2, -v3, v6, v2
	v_div_fmas_f32 v2, v2, v5, v6
	v_mul_f32_e64 v6, 0x3fb8aa3b, |v15|
	v_cmp_ngt_f32_e64 vcc_lo, 0xc2ce8ed0, |v15|
	s_delay_alu instid0(VALU_DEP_3) | instskip(NEXT) | instid1(VALU_DEP_3)
	v_div_fixup_f32 v2, v2, |v15|, 0x42000000
	v_rndne_f32_e32 v7, v6
	v_fma_f32 v8, 0x3fb8aa3b, |v15|, -v6
	s_delay_alu instid0(VALU_DEP_3) | instskip(NEXT) | instid1(VALU_DEP_3)
	v_add_f32_e32 v2, -2.0, v2
	v_sub_f32_e32 v6, v6, v7
	s_delay_alu instid0(VALU_DEP_3) | instskip(SKIP_1) | instid1(VALU_DEP_4)
	v_fma_f32 v8, 0x32a5705f, |v15|, v8
	v_cvt_i32_f32_e32 v7, v7
	v_fmaak_f32 v3, s1, v2, 0x22a2dc57
	v_cmp_nlt_f32_e64 s1, 0x42b17218, |v15|
	s_delay_alu instid0(VALU_DEP_4) | instskip(NEXT) | instid1(VALU_DEP_3)
	v_add_f32_e32 v6, v6, v8
	v_fmaak_f32 v5, v2, v3, 0xa30aab6e
	s_delay_alu instid0(VALU_DEP_2) | instskip(NEXT) | instid1(VALU_DEP_1)
	v_exp_f32_e32 v6, v6
	v_add_f32_e32 v5, 0xa456751e, v5
	s_delay_alu instid0(VALU_DEP_1) | instskip(NEXT) | instid1(VALU_DEP_1)
	v_fma_f32 v3, v2, v5, -v3
	v_add_f32_e32 v3, 0xa4140365, v3
	s_delay_alu instid0(VALU_DEP_1) | instskip(NEXT) | instid1(VALU_DEP_1)
	v_fma_f32 v5, v2, v3, -v5
	;; [unrolled: 3-line block ×21, first 2 shown]
	v_add_f32_e32 v3, 0xbc1fed03, v3
	s_delay_alu instid0(VALU_DEP_1) | instskip(SKIP_2) | instid1(VALU_DEP_2)
	v_fma_f32 v2, v2, v3, -v5
	v_ldexp_f32 v3, v6, v7
	v_mul_f32_e64 v6, 0x4f800000, |v15|
	v_dual_add_f32 v2, 0x3f4750c6, v2 :: v_dual_cndmask_b32 v3, 0, v3
	s_delay_alu instid0(VALU_DEP_1) | instskip(NEXT) | instid1(VALU_DEP_2)
	v_sub_f32_e32 v5, v2, v5
	v_cndmask_b32_e64 v2, 0x7f800000, v3, s1
	s_mov_b32 s1, exec_lo
	s_delay_alu instid0(VALU_DEP_2)
	v_mul_f32_e32 v3, 0.5, v5
                                        ; implicit-def: $vgpr5
	v_cmpx_ngt_f32_e32 0, v15
	s_xor_b32 s5, exec_lo, s1
	s_cbranch_execz .LBB10_19
; %bb.18:
	v_cmp_gt_f32_e64 vcc_lo, 0xf800000, |v15|
	v_mul_f32_e32 v2, v2, v3
	s_delay_alu instid0(VALU_DEP_2) | instskip(NEXT) | instid1(VALU_DEP_1)
	v_cndmask_b32_e64 v5, |v15|, v6, vcc_lo
	v_sqrt_f32_e32 v6, v5
	s_waitcnt_depctr 0xfff
	v_add_nc_u32_e32 v7, -1, v6
	v_add_nc_u32_e32 v8, 1, v6
	s_delay_alu instid0(VALU_DEP_2) | instskip(NEXT) | instid1(VALU_DEP_2)
	v_fma_f32 v15, -v7, v6, v5
	v_fma_f32 v16, -v8, v6, v5
	s_delay_alu instid0(VALU_DEP_2) | instskip(NEXT) | instid1(VALU_DEP_1)
	v_cmp_ge_f32_e64 s1, 0, v15
	v_cndmask_b32_e64 v6, v6, v7, s1
	s_delay_alu instid0(VALU_DEP_3) | instskip(NEXT) | instid1(VALU_DEP_1)
	v_cmp_lt_f32_e64 s1, 0, v16
	v_cndmask_b32_e64 v6, v6, v8, s1
	s_delay_alu instid0(VALU_DEP_1) | instskip(NEXT) | instid1(VALU_DEP_1)
	v_mul_f32_e32 v7, 0x37800000, v6
	v_cndmask_b32_e32 v6, v6, v7, vcc_lo
	v_cmp_class_f32_e64 vcc_lo, v5, 0x260
	s_delay_alu instid0(VALU_DEP_2) | instskip(NEXT) | instid1(VALU_DEP_1)
	v_cndmask_b32_e32 v3, v6, v5, vcc_lo
	v_div_scale_f32 v5, null, v3, v3, v2
	s_delay_alu instid0(VALU_DEP_1) | instskip(SKIP_2) | instid1(VALU_DEP_1)
	v_rcp_f32_e32 v6, v5
	s_waitcnt_depctr 0xfff
	v_fma_f32 v7, -v5, v6, 1.0
	v_fmac_f32_e32 v6, v7, v6
	v_div_scale_f32 v7, vcc_lo, v2, v3, v2
	s_delay_alu instid0(VALU_DEP_1) | instskip(NEXT) | instid1(VALU_DEP_1)
	v_mul_f32_e32 v8, v7, v6
	v_fma_f32 v15, -v5, v8, v7
	s_delay_alu instid0(VALU_DEP_1) | instskip(NEXT) | instid1(VALU_DEP_1)
	v_fmac_f32_e32 v8, v15, v6
                                        ; implicit-def: $vgpr15
	v_fma_f32 v5, -v5, v8, v7
	s_delay_alu instid0(VALU_DEP_1) | instskip(NEXT) | instid1(VALU_DEP_1)
	v_div_fmas_f32 v5, v5, v6, v8
                                        ; implicit-def: $vgpr6
	v_div_fixup_f32 v5, v5, v3, v2
                                        ; implicit-def: $vgpr2
                                        ; implicit-def: $vgpr3
.LBB10_19:
	s_and_not1_saveexec_b32 s5, s5
	s_cbranch_execz .LBB10_21
; %bb.20:
	v_cmp_gt_f32_e64 vcc_lo, 0xf800000, |v15|
	v_mul_f32_e64 v2, v3, -v2
	s_delay_alu instid0(VALU_DEP_2) | instskip(NEXT) | instid1(VALU_DEP_1)
	v_cndmask_b32_e64 v5, |v15|, v6, vcc_lo
	v_sqrt_f32_e32 v6, v5
	s_waitcnt_depctr 0xfff
	v_add_nc_u32_e32 v7, -1, v6
	v_add_nc_u32_e32 v8, 1, v6
	s_delay_alu instid0(VALU_DEP_2) | instskip(NEXT) | instid1(VALU_DEP_2)
	v_fma_f32 v15, -v7, v6, v5
	v_fma_f32 v16, -v8, v6, v5
	s_delay_alu instid0(VALU_DEP_2) | instskip(NEXT) | instid1(VALU_DEP_1)
	v_cmp_ge_f32_e64 s1, 0, v15
	v_cndmask_b32_e64 v6, v6, v7, s1
	s_delay_alu instid0(VALU_DEP_3) | instskip(NEXT) | instid1(VALU_DEP_1)
	v_cmp_lt_f32_e64 s1, 0, v16
	v_cndmask_b32_e64 v6, v6, v8, s1
	s_delay_alu instid0(VALU_DEP_1) | instskip(NEXT) | instid1(VALU_DEP_1)
	v_mul_f32_e32 v7, 0x37800000, v6
	v_cndmask_b32_e32 v6, v6, v7, vcc_lo
	v_cmp_class_f32_e64 vcc_lo, v5, 0x260
	s_delay_alu instid0(VALU_DEP_2) | instskip(NEXT) | instid1(VALU_DEP_1)
	v_cndmask_b32_e32 v3, v6, v5, vcc_lo
	v_div_scale_f32 v5, null, v3, v3, v2
	s_delay_alu instid0(VALU_DEP_1) | instskip(SKIP_2) | instid1(VALU_DEP_1)
	v_rcp_f32_e32 v6, v5
	s_waitcnt_depctr 0xfff
	v_fma_f32 v7, -v5, v6, 1.0
	v_fmac_f32_e32 v6, v7, v6
	v_div_scale_f32 v7, vcc_lo, v2, v3, v2
	s_delay_alu instid0(VALU_DEP_1) | instskip(NEXT) | instid1(VALU_DEP_1)
	v_mul_f32_e32 v8, v7, v6
	v_fma_f32 v15, -v5, v8, v7
	s_delay_alu instid0(VALU_DEP_1) | instskip(NEXT) | instid1(VALU_DEP_1)
	v_fmac_f32_e32 v8, v15, v6
	v_fma_f32 v5, -v5, v8, v7
	s_delay_alu instid0(VALU_DEP_1) | instskip(NEXT) | instid1(VALU_DEP_1)
	v_div_fmas_f32 v5, v5, v6, v8
	v_div_fixup_f32 v5, v5, v3, v2
.LBB10_21:
	s_or_b32 exec_lo, exec_lo, s5
.LBB10_22:
	s_delay_alu instid0(SALU_CYCLE_1) | instskip(NEXT) | instid1(SALU_CYCLE_1)
	s_or_b32 exec_lo, exec_lo, s4
	s_or_b32 exec_lo, exec_lo, s3
	s_delay_alu instid0(SALU_CYCLE_1)
	s_mov_b32 s3, exec_lo
	v_cmpx_lt_i32_e64 v12, v4
	s_cbranch_execz .LBB10_36
.LBB10_23:
	s_waitcnt vmcnt(0) lgkmcnt(0)
	v_cmp_ge_f32_e64 s1, 0x41000000, |v14|
	s_delay_alu instid0(VALU_DEP_1) | instskip(NEXT) | instid1(SALU_CYCLE_1)
	s_and_saveexec_b32 s4, s1
	s_xor_b32 s1, exec_lo, s4
	s_cbranch_execz .LBB10_29
; %bb.24:
	v_fma_f32 v2, |v14|, 0.5, -2.0
	s_mov_b32 s4, 0x224cf950
	s_delay_alu instid0(VALU_DEP_1) | instid1(SALU_CYCLE_1)
	v_fmaak_f32 v3, s4, v2, 0xa3c2be86
	s_mov_b32 s4, exec_lo
	s_delay_alu instid0(VALU_DEP_1) | instskip(NEXT) | instid1(VALU_DEP_1)
	v_fmaak_f32 v6, v2, v3, 0xa24cf950
	v_add_f32_e32 v6, 0x25331f1f, v6
	s_delay_alu instid0(VALU_DEP_1) | instskip(NEXT) | instid1(VALU_DEP_1)
	v_fma_f32 v3, v2, v6, -v3
	v_add_f32_e32 v3, 0xa69f5554, v3
	s_delay_alu instid0(VALU_DEP_1) | instskip(NEXT) | instid1(VALU_DEP_1)
	v_fma_f32 v6, v2, v3, -v6
	;; [unrolled: 3-line block ×26, first 2 shown]
	v_add_f32_e32 v2, 0x3e81531c, v2
	s_delay_alu instid0(VALU_DEP_1)
	v_sub_f32_e32 v2, v2, v6
	v_cmpx_ngt_f32_e32 0, v14
	s_xor_b32 s4, exec_lo, s4
	s_cbranch_execz .LBB10_26
; %bb.25:
	v_mul_f32_e64 v3, 0x3fb8aa3b, |v14|
	v_cmp_ngt_f32_e64 vcc_lo, 0xc2ce8ed0, |v14|
	v_mul_f32_e32 v2, 0.5, v2
	s_delay_alu instid0(VALU_DEP_3) | instskip(SKIP_1) | instid1(VALU_DEP_3)
	v_rndne_f32_e32 v6, v3
	v_fma_f32 v15, 0x3fb8aa3b, |v14|, -v3
	v_mul_f32_e64 v2, |v14|, v2
	s_delay_alu instid0(VALU_DEP_3) | instskip(NEXT) | instid1(VALU_DEP_3)
	v_sub_f32_e32 v3, v3, v6
	v_fma_f32 v15, 0x32a5705f, |v14|, v15
	v_cvt_i32_f32_e32 v6, v6
	s_delay_alu instid0(VALU_DEP_2) | instskip(NEXT) | instid1(VALU_DEP_1)
	v_add_f32_e32 v3, v3, v15
	v_exp_f32_e32 v3, v3
	s_waitcnt_depctr 0xfff
	v_ldexp_f32 v3, v3, v6
	s_delay_alu instid0(VALU_DEP_1) | instskip(SKIP_1) | instid1(VALU_DEP_2)
	v_cndmask_b32_e32 v3, 0, v3, vcc_lo
	v_cmp_nlt_f32_e64 vcc_lo, 0x42b17218, |v14|
                                        ; implicit-def: $vgpr14
	v_cndmask_b32_e32 v3, 0x7f800000, v3, vcc_lo
	s_delay_alu instid0(VALU_DEP_1)
	v_mul_f32_e32 v6, v3, v2
                                        ; implicit-def: $vgpr2
.LBB10_26:
	s_and_not1_saveexec_b32 s4, s4
	s_cbranch_execz .LBB10_28
; %bb.27:
	v_mul_f32_e64 v3, 0x3fb8aa3b, |v14|
	v_cmp_ngt_f32_e64 vcc_lo, 0xc2ce8ed0, |v14|
	v_mul_f32_e32 v2, -0.5, v2
	s_delay_alu instid0(VALU_DEP_3) | instskip(SKIP_1) | instid1(VALU_DEP_3)
	v_rndne_f32_e32 v6, v3
	v_fma_f32 v15, 0x3fb8aa3b, |v14|, -v3
	v_mul_f32_e64 v2, |v14|, v2
	s_delay_alu instid0(VALU_DEP_3) | instskip(NEXT) | instid1(VALU_DEP_3)
	v_sub_f32_e32 v3, v3, v6
	v_fma_f32 v15, 0x32a5705f, |v14|, v15
	v_cvt_i32_f32_e32 v6, v6
	s_delay_alu instid0(VALU_DEP_2) | instskip(NEXT) | instid1(VALU_DEP_1)
	v_add_f32_e32 v3, v3, v15
	v_exp_f32_e32 v3, v3
	s_waitcnt_depctr 0xfff
	v_ldexp_f32 v3, v3, v6
	s_delay_alu instid0(VALU_DEP_1) | instskip(SKIP_1) | instid1(VALU_DEP_2)
	v_cndmask_b32_e32 v3, 0, v3, vcc_lo
	v_cmp_nlt_f32_e64 vcc_lo, 0x42b17218, |v14|
	v_cndmask_b32_e32 v3, 0x7f800000, v3, vcc_lo
	s_delay_alu instid0(VALU_DEP_1)
	v_mul_f32_e32 v6, v3, v2
.LBB10_28:
	s_or_b32 exec_lo, exec_lo, s4
                                        ; implicit-def: $vgpr14
.LBB10_29:
	s_and_not1_saveexec_b32 s4, s1
	s_cbranch_execz .LBB10_35
; %bb.30:
	v_and_b32_e32 v2, 0x7fffffff, v14
	s_mov_b32 s1, 0x230aab6e
	s_delay_alu instid0(VALU_DEP_1) | instskip(SKIP_1) | instid1(VALU_DEP_2)
	v_div_scale_f32 v3, null, v2, v2, 0x42000000
	v_div_scale_f32 v2, vcc_lo, 0x42000000, v2, 0x42000000
	v_rcp_f32_e32 v6, v3
	s_waitcnt_depctr 0xfff
	v_fma_f32 v15, -v3, v6, 1.0
	s_delay_alu instid0(VALU_DEP_1) | instskip(NEXT) | instid1(VALU_DEP_1)
	v_fmac_f32_e32 v6, v15, v6
	v_mul_f32_e32 v15, v2, v6
	s_delay_alu instid0(VALU_DEP_1) | instskip(NEXT) | instid1(VALU_DEP_1)
	v_fma_f32 v16, -v3, v15, v2
	v_fmac_f32_e32 v15, v16, v6
	s_delay_alu instid0(VALU_DEP_1) | instskip(NEXT) | instid1(VALU_DEP_1)
	v_fma_f32 v2, -v3, v15, v2
	v_div_fmas_f32 v2, v2, v6, v15
	v_mul_f32_e64 v15, 0x3fb8aa3b, |v14|
	v_cmp_ngt_f32_e64 vcc_lo, 0xc2ce8ed0, |v14|
	s_delay_alu instid0(VALU_DEP_3) | instskip(NEXT) | instid1(VALU_DEP_3)
	v_div_fixup_f32 v2, v2, |v14|, 0x42000000
	v_rndne_f32_e32 v16, v15
	v_fma_f32 v17, 0x3fb8aa3b, |v14|, -v15
	s_delay_alu instid0(VALU_DEP_2) | instskip(NEXT) | instid1(VALU_DEP_2)
	v_dual_add_f32 v2, -2.0, v2 :: v_dual_sub_f32 v15, v15, v16
	v_fma_f32 v17, 0x32a5705f, |v14|, v17
	v_cvt_i32_f32_e32 v16, v16
	s_delay_alu instid0(VALU_DEP_3) | instskip(SKIP_1) | instid1(VALU_DEP_2)
	v_fmaak_f32 v3, s1, v2, 0x22a2dc57
	v_cmp_nlt_f32_e64 s1, 0x42b17218, |v14|
	v_dual_add_f32 v15, v15, v17 :: v_dual_fmaak_f32 v6, v2, v3, 0xa30aab6e
	s_delay_alu instid0(VALU_DEP_1) | instskip(NEXT) | instid1(VALU_DEP_1)
	v_exp_f32_e32 v15, v15
	v_add_f32_e32 v6, 0xa456751e, v6
	s_delay_alu instid0(VALU_DEP_1) | instskip(NEXT) | instid1(VALU_DEP_1)
	v_fma_f32 v3, v2, v6, -v3
	v_add_f32_e32 v3, 0xa4140365, v3
	s_delay_alu instid0(VALU_DEP_1) | instskip(NEXT) | instid1(VALU_DEP_1)
	v_fma_f32 v6, v2, v3, -v6
	;; [unrolled: 3-line block ×21, first 2 shown]
	v_add_f32_e32 v3, 0xbc1fed03, v3
	s_delay_alu instid0(VALU_DEP_1) | instskip(SKIP_2) | instid1(VALU_DEP_2)
	v_fma_f32 v2, v2, v3, -v6
	v_ldexp_f32 v3, v15, v16
	v_mul_f32_e64 v15, 0x4f800000, |v14|
	v_dual_add_f32 v2, 0x3f4750c6, v2 :: v_dual_cndmask_b32 v3, 0, v3
	s_delay_alu instid0(VALU_DEP_1) | instskip(NEXT) | instid1(VALU_DEP_2)
	v_sub_f32_e32 v6, v2, v6
	v_cndmask_b32_e64 v2, 0x7f800000, v3, s1
	s_mov_b32 s1, exec_lo
	s_delay_alu instid0(VALU_DEP_2)
	v_mul_f32_e32 v3, 0.5, v6
	v_cmpx_ngt_f32_e32 0, v14
	s_xor_b32 s5, exec_lo, s1
	s_cbranch_execz .LBB10_32
; %bb.31:
	v_cmp_gt_f32_e64 vcc_lo, 0xf800000, |v14|
	v_mul_f32_e32 v2, v2, v3
	s_delay_alu instid0(VALU_DEP_2) | instskip(NEXT) | instid1(VALU_DEP_1)
	v_cndmask_b32_e64 v6, |v14|, v15, vcc_lo
	v_sqrt_f32_e32 v14, v6
	s_waitcnt_depctr 0xfff
	v_add_nc_u32_e32 v15, -1, v14
	v_add_nc_u32_e32 v16, 1, v14
	s_delay_alu instid0(VALU_DEP_2) | instskip(NEXT) | instid1(VALU_DEP_2)
	v_fma_f32 v17, -v15, v14, v6
	v_fma_f32 v18, -v16, v14, v6
	s_delay_alu instid0(VALU_DEP_2) | instskip(NEXT) | instid1(VALU_DEP_1)
	v_cmp_ge_f32_e64 s1, 0, v17
	v_cndmask_b32_e64 v14, v14, v15, s1
	s_delay_alu instid0(VALU_DEP_3) | instskip(NEXT) | instid1(VALU_DEP_1)
	v_cmp_lt_f32_e64 s1, 0, v18
	v_cndmask_b32_e64 v14, v14, v16, s1
	s_delay_alu instid0(VALU_DEP_1) | instskip(NEXT) | instid1(VALU_DEP_1)
	v_mul_f32_e32 v15, 0x37800000, v14
	v_cndmask_b32_e32 v14, v14, v15, vcc_lo
	v_cmp_class_f32_e64 vcc_lo, v6, 0x260
	s_delay_alu instid0(VALU_DEP_2) | instskip(NEXT) | instid1(VALU_DEP_1)
	v_cndmask_b32_e32 v3, v14, v6, vcc_lo
	v_div_scale_f32 v6, null, v3, v3, v2
	s_delay_alu instid0(VALU_DEP_1) | instskip(SKIP_2) | instid1(VALU_DEP_1)
	v_rcp_f32_e32 v14, v6
	s_waitcnt_depctr 0xfff
	v_fma_f32 v15, -v6, v14, 1.0
	v_fmac_f32_e32 v14, v15, v14
	v_div_scale_f32 v15, vcc_lo, v2, v3, v2
	s_delay_alu instid0(VALU_DEP_1) | instskip(NEXT) | instid1(VALU_DEP_1)
	v_mul_f32_e32 v16, v15, v14
	v_fma_f32 v17, -v6, v16, v15
	s_delay_alu instid0(VALU_DEP_1) | instskip(NEXT) | instid1(VALU_DEP_1)
	v_fmac_f32_e32 v16, v17, v14
	v_fma_f32 v6, -v6, v16, v15
                                        ; implicit-def: $vgpr15
	s_delay_alu instid0(VALU_DEP_1) | instskip(NEXT) | instid1(VALU_DEP_1)
	v_div_fmas_f32 v6, v6, v14, v16
                                        ; implicit-def: $vgpr14
	v_div_fixup_f32 v6, v6, v3, v2
                                        ; implicit-def: $vgpr2
                                        ; implicit-def: $vgpr3
.LBB10_32:
	s_and_not1_saveexec_b32 s5, s5
	s_cbranch_execz .LBB10_34
; %bb.33:
	v_cmp_gt_f32_e64 vcc_lo, 0xf800000, |v14|
	v_mul_f32_e64 v2, v3, -v2
	s_delay_alu instid0(VALU_DEP_2) | instskip(NEXT) | instid1(VALU_DEP_1)
	v_cndmask_b32_e64 v6, |v14|, v15, vcc_lo
	v_sqrt_f32_e32 v14, v6
	s_waitcnt_depctr 0xfff
	v_add_nc_u32_e32 v15, -1, v14
	v_add_nc_u32_e32 v16, 1, v14
	s_delay_alu instid0(VALU_DEP_2) | instskip(NEXT) | instid1(VALU_DEP_2)
	v_fma_f32 v17, -v15, v14, v6
	v_fma_f32 v18, -v16, v14, v6
	s_delay_alu instid0(VALU_DEP_2) | instskip(NEXT) | instid1(VALU_DEP_1)
	v_cmp_ge_f32_e64 s1, 0, v17
	v_cndmask_b32_e64 v14, v14, v15, s1
	s_delay_alu instid0(VALU_DEP_3) | instskip(NEXT) | instid1(VALU_DEP_1)
	v_cmp_lt_f32_e64 s1, 0, v18
	v_cndmask_b32_e64 v14, v14, v16, s1
	s_delay_alu instid0(VALU_DEP_1) | instskip(NEXT) | instid1(VALU_DEP_1)
	v_mul_f32_e32 v15, 0x37800000, v14
	v_cndmask_b32_e32 v14, v14, v15, vcc_lo
	v_cmp_class_f32_e64 vcc_lo, v6, 0x260
	s_delay_alu instid0(VALU_DEP_2) | instskip(NEXT) | instid1(VALU_DEP_1)
	v_cndmask_b32_e32 v3, v14, v6, vcc_lo
	v_div_scale_f32 v6, null, v3, v3, v2
	s_delay_alu instid0(VALU_DEP_1) | instskip(SKIP_2) | instid1(VALU_DEP_1)
	v_rcp_f32_e32 v14, v6
	s_waitcnt_depctr 0xfff
	v_fma_f32 v15, -v6, v14, 1.0
	v_fmac_f32_e32 v14, v15, v14
	v_div_scale_f32 v15, vcc_lo, v2, v3, v2
	s_delay_alu instid0(VALU_DEP_1) | instskip(NEXT) | instid1(VALU_DEP_1)
	v_mul_f32_e32 v16, v15, v14
	v_fma_f32 v17, -v6, v16, v15
	s_delay_alu instid0(VALU_DEP_1) | instskip(NEXT) | instid1(VALU_DEP_1)
	v_fmac_f32_e32 v16, v17, v14
	v_fma_f32 v6, -v6, v16, v15
	s_delay_alu instid0(VALU_DEP_1) | instskip(NEXT) | instid1(VALU_DEP_1)
	v_div_fmas_f32 v6, v6, v14, v16
	v_div_fixup_f32 v6, v6, v3, v2
.LBB10_34:
	s_or_b32 exec_lo, exec_lo, s5
.LBB10_35:
	s_delay_alu instid0(SALU_CYCLE_1)
	s_or_b32 exec_lo, exec_lo, s4
.LBB10_36:
	s_delay_alu instid0(SALU_CYCLE_1) | instskip(SKIP_2) | instid1(VALU_DEP_1)
	s_or_b32 exec_lo, exec_lo, s3
	v_add_nc_u32_e32 v2, 0x200, v11
	s_mov_b32 s3, exec_lo
	v_cmpx_lt_i32_e64 v2, v4
	s_cbranch_execz .LBB10_50
; %bb.37:
	s_waitcnt vmcnt(0) lgkmcnt(0)
	v_cmp_ge_f32_e64 s1, 0x41000000, |v13|
	s_delay_alu instid0(VALU_DEP_1) | instskip(NEXT) | instid1(SALU_CYCLE_1)
	s_and_saveexec_b32 s4, s1
	s_xor_b32 s1, exec_lo, s4
	s_cbranch_execz .LBB10_43
; %bb.38:
	v_fma_f32 v2, |v13|, 0.5, -2.0
	s_mov_b32 s4, 0x224cf950
	s_delay_alu instid0(VALU_DEP_1) | instid1(SALU_CYCLE_1)
	v_fmaak_f32 v3, s4, v2, 0xa3c2be86
	s_mov_b32 s4, exec_lo
	s_delay_alu instid0(VALU_DEP_1) | instskip(NEXT) | instid1(VALU_DEP_1)
	v_fmaak_f32 v7, v2, v3, 0xa24cf950
	v_add_f32_e32 v7, 0x25331f1f, v7
	s_delay_alu instid0(VALU_DEP_1) | instskip(NEXT) | instid1(VALU_DEP_1)
	v_fma_f32 v3, v2, v7, -v3
	v_add_f32_e32 v3, 0xa69f5554, v3
	s_delay_alu instid0(VALU_DEP_1) | instskip(NEXT) | instid1(VALU_DEP_1)
	v_fma_f32 v7, v2, v3, -v7
	v_add_f32_e32 v7, 0x2808ebf8, v7
	s_delay_alu instid0(VALU_DEP_1) | instskip(NEXT) | instid1(VALU_DEP_1)
	v_fma_f32 v3, v2, v7, -v3
	v_add_f32_e32 v3, 0xa9631471, v3
	s_delay_alu instid0(VALU_DEP_1) | instskip(NEXT) | instid1(VALU_DEP_1)
	v_fma_f32 v7, v2, v3, -v7
	v_add_f32_e32 v7, 0x2ab57bc2, v7
	s_delay_alu instid0(VALU_DEP_1) | instskip(NEXT) | instid1(VALU_DEP_1)
	v_fma_f32 v3, v2, v7, -v3
	v_add_f32_e32 v3, 0xac0b9c1b, v3
	s_delay_alu instid0(VALU_DEP_1) | instskip(NEXT) | instid1(VALU_DEP_1)
	v_fma_f32 v7, v2, v3, -v7
	v_add_f32_e32 v7, 0x2d4e7716, v7
	s_delay_alu instid0(VALU_DEP_1) | instskip(NEXT) | instid1(VALU_DEP_1)
	v_fma_f32 v3, v2, v7, -v3
	v_add_f32_e32 v3, 0xae92881d, v3
	s_delay_alu instid0(VALU_DEP_1) | instskip(NEXT) | instid1(VALU_DEP_1)
	v_fma_f32 v7, v2, v3, -v7
	v_add_f32_e32 v7, 0x2fc751a6, v7
	s_delay_alu instid0(VALU_DEP_1) | instskip(NEXT) | instid1(VALU_DEP_1)
	v_fma_f32 v3, v2, v7, -v3
	v_add_f32_e32 v3, 0xb101b0d9, v3
	s_delay_alu instid0(VALU_DEP_1) | instskip(NEXT) | instid1(VALU_DEP_1)
	v_fma_f32 v7, v2, v3, -v7
	v_add_f32_e32 v7, 0x32212c70, v7
	s_delay_alu instid0(VALU_DEP_1) | instskip(NEXT) | instid1(VALU_DEP_1)
	v_fma_f32 v3, v2, v7, -v3
	v_add_f32_e32 v3, 0xb33ee9f1, v3
	s_delay_alu instid0(VALU_DEP_1) | instskip(NEXT) | instid1(VALU_DEP_1)
	v_fma_f32 v7, v2, v3, -v7
	v_add_f32_e32 v7, 0x34571a26, v7
	s_delay_alu instid0(VALU_DEP_1) | instskip(NEXT) | instid1(VALU_DEP_1)
	v_fma_f32 v3, v2, v7, -v3
	v_add_f32_e32 v3, 0xb56603cc, v3
	s_delay_alu instid0(VALU_DEP_1) | instskip(NEXT) | instid1(VALU_DEP_1)
	v_fma_f32 v7, v2, v3, -v7
	v_add_f32_e32 v7, 0x3668e277, v7
	s_delay_alu instid0(VALU_DEP_1) | instskip(NEXT) | instid1(VALU_DEP_1)
	v_fma_f32 v3, v2, v7, -v3
	v_add_f32_e32 v3, 0xb75eafce, v3
	s_delay_alu instid0(VALU_DEP_1) | instskip(NEXT) | instid1(VALU_DEP_1)
	v_fma_f32 v7, v2, v3, -v7
	v_add_f32_e32 v7, 0x38488daa, v7
	s_delay_alu instid0(VALU_DEP_1) | instskip(NEXT) | instid1(VALU_DEP_1)
	v_fma_f32 v3, v2, v7, -v3
	v_add_f32_e32 v3, 0xb9299e57, v3
	s_delay_alu instid0(VALU_DEP_1) | instskip(NEXT) | instid1(VALU_DEP_1)
	v_fma_f32 v7, v2, v3, -v7
	v_add_f32_e32 v7, 0x3a064aee, v7
	s_delay_alu instid0(VALU_DEP_1) | instskip(NEXT) | instid1(VALU_DEP_1)
	v_fma_f32 v3, v2, v7, -v3
	v_add_f32_e32 v3, 0xbac66310, v3
	s_delay_alu instid0(VALU_DEP_1) | instskip(NEXT) | instid1(VALU_DEP_1)
	v_fma_f32 v7, v2, v3, -v7
	v_add_f32_e32 v7, 0x3b88329a, v7
	s_delay_alu instid0(VALU_DEP_1) | instskip(NEXT) | instid1(VALU_DEP_1)
	v_fma_f32 v3, v2, v7, -v3
	v_add_f32_e32 v3, 0xbc2d14fc, v3
	s_delay_alu instid0(VALU_DEP_1) | instskip(NEXT) | instid1(VALU_DEP_1)
	v_fma_f32 v7, v2, v3, -v7
	v_add_f32_e32 v7, 0x3cca8f1f, v7
	s_delay_alu instid0(VALU_DEP_1) | instskip(NEXT) | instid1(VALU_DEP_1)
	v_fma_f32 v3, v2, v7, -v3
	v_add_f32_e32 v3, 0xbd58dde3, v3
	s_delay_alu instid0(VALU_DEP_1) | instskip(NEXT) | instid1(VALU_DEP_1)
	v_fma_f32 v7, v2, v3, -v7
	v_add_f32_e32 v7, 0x3dd236d7, v7
	s_delay_alu instid0(VALU_DEP_1) | instskip(NEXT) | instid1(VALU_DEP_1)
	v_fma_f32 v3, v2, v7, -v3
	v_add_f32_e32 v3, 0xbe34a688, v3
	s_delay_alu instid0(VALU_DEP_1) | instskip(NEXT) | instid1(VALU_DEP_1)
	v_fma_f32 v2, v2, v3, -v7
	v_add_f32_e32 v2, 0x3e81531c, v2
	s_delay_alu instid0(VALU_DEP_1)
	v_sub_f32_e32 v2, v2, v7
	v_cmpx_ngt_f32_e32 0, v13
	s_xor_b32 s4, exec_lo, s4
	s_cbranch_execz .LBB10_40
; %bb.39:
	v_mul_f32_e64 v3, 0x3fb8aa3b, |v13|
	v_cmp_ngt_f32_e64 vcc_lo, 0xc2ce8ed0, |v13|
	v_mul_f32_e32 v2, 0.5, v2
	s_delay_alu instid0(VALU_DEP_3) | instskip(SKIP_1) | instid1(VALU_DEP_3)
	v_rndne_f32_e32 v7, v3
	v_fma_f32 v14, 0x3fb8aa3b, |v13|, -v3
	v_mul_f32_e64 v2, |v13|, v2
	s_delay_alu instid0(VALU_DEP_3) | instskip(NEXT) | instid1(VALU_DEP_3)
	v_sub_f32_e32 v3, v3, v7
	v_fma_f32 v14, 0x32a5705f, |v13|, v14
	v_cvt_i32_f32_e32 v7, v7
	s_delay_alu instid0(VALU_DEP_2) | instskip(NEXT) | instid1(VALU_DEP_1)
	v_add_f32_e32 v3, v3, v14
	v_exp_f32_e32 v3, v3
	s_waitcnt_depctr 0xfff
	v_ldexp_f32 v3, v3, v7
	s_delay_alu instid0(VALU_DEP_1) | instskip(SKIP_1) | instid1(VALU_DEP_2)
	v_cndmask_b32_e32 v3, 0, v3, vcc_lo
	v_cmp_nlt_f32_e64 vcc_lo, 0x42b17218, |v13|
                                        ; implicit-def: $vgpr13
	v_cndmask_b32_e32 v3, 0x7f800000, v3, vcc_lo
	s_delay_alu instid0(VALU_DEP_1)
	v_mul_f32_e32 v7, v3, v2
                                        ; implicit-def: $vgpr2
.LBB10_40:
	s_and_not1_saveexec_b32 s4, s4
	s_cbranch_execz .LBB10_42
; %bb.41:
	v_mul_f32_e64 v3, 0x3fb8aa3b, |v13|
	v_cmp_ngt_f32_e64 vcc_lo, 0xc2ce8ed0, |v13|
	v_mul_f32_e32 v2, -0.5, v2
	s_delay_alu instid0(VALU_DEP_3) | instskip(SKIP_1) | instid1(VALU_DEP_3)
	v_rndne_f32_e32 v7, v3
	v_fma_f32 v14, 0x3fb8aa3b, |v13|, -v3
	v_mul_f32_e64 v2, |v13|, v2
	s_delay_alu instid0(VALU_DEP_3) | instskip(NEXT) | instid1(VALU_DEP_3)
	v_sub_f32_e32 v3, v3, v7
	v_fma_f32 v14, 0x32a5705f, |v13|, v14
	v_cvt_i32_f32_e32 v7, v7
	s_delay_alu instid0(VALU_DEP_2) | instskip(NEXT) | instid1(VALU_DEP_1)
	v_add_f32_e32 v3, v3, v14
	v_exp_f32_e32 v3, v3
	s_waitcnt_depctr 0xfff
	v_ldexp_f32 v3, v3, v7
	s_delay_alu instid0(VALU_DEP_1) | instskip(SKIP_1) | instid1(VALU_DEP_2)
	v_cndmask_b32_e32 v3, 0, v3, vcc_lo
	v_cmp_nlt_f32_e64 vcc_lo, 0x42b17218, |v13|
	v_cndmask_b32_e32 v3, 0x7f800000, v3, vcc_lo
	s_delay_alu instid0(VALU_DEP_1)
	v_mul_f32_e32 v7, v3, v2
.LBB10_42:
	s_or_b32 exec_lo, exec_lo, s4
                                        ; implicit-def: $vgpr13
.LBB10_43:
	s_and_not1_saveexec_b32 s4, s1
	s_cbranch_execz .LBB10_49
; %bb.44:
	v_and_b32_e32 v2, 0x7fffffff, v13
	s_mov_b32 s1, 0x230aab6e
	s_delay_alu instid0(VALU_DEP_1) | instskip(NEXT) | instid1(VALU_DEP_1)
	v_div_scale_f32 v3, null, v2, v2, 0x42000000
	v_rcp_f32_e32 v7, v3
	s_waitcnt_depctr 0xfff
	v_fma_f32 v14, -v3, v7, 1.0
	s_delay_alu instid0(VALU_DEP_1) | instskip(SKIP_1) | instid1(VALU_DEP_1)
	v_fmac_f32_e32 v7, v14, v7
	v_div_scale_f32 v2, vcc_lo, 0x42000000, v2, 0x42000000
	v_mul_f32_e32 v14, v2, v7
	s_delay_alu instid0(VALU_DEP_1) | instskip(NEXT) | instid1(VALU_DEP_1)
	v_fma_f32 v15, -v3, v14, v2
	v_fmac_f32_e32 v14, v15, v7
	s_delay_alu instid0(VALU_DEP_1) | instskip(NEXT) | instid1(VALU_DEP_1)
	v_fma_f32 v2, -v3, v14, v2
	v_div_fmas_f32 v2, v2, v7, v14
	v_mul_f32_e64 v14, 0x3fb8aa3b, |v13|
	v_cmp_ngt_f32_e64 vcc_lo, 0xc2ce8ed0, |v13|
	s_delay_alu instid0(VALU_DEP_3) | instskip(NEXT) | instid1(VALU_DEP_3)
	v_div_fixup_f32 v2, v2, |v13|, 0x42000000
	v_rndne_f32_e32 v15, v14
	v_fma_f32 v16, 0x3fb8aa3b, |v13|, -v14
	s_delay_alu instid0(VALU_DEP_3) | instskip(NEXT) | instid1(VALU_DEP_3)
	v_add_f32_e32 v2, -2.0, v2
	v_sub_f32_e32 v14, v14, v15
	s_delay_alu instid0(VALU_DEP_3) | instskip(SKIP_1) | instid1(VALU_DEP_4)
	v_fma_f32 v16, 0x32a5705f, |v13|, v16
	v_cvt_i32_f32_e32 v15, v15
	v_fmaak_f32 v3, s1, v2, 0x22a2dc57
	v_cmp_nlt_f32_e64 s1, 0x42b17218, |v13|
	s_delay_alu instid0(VALU_DEP_4) | instskip(NEXT) | instid1(VALU_DEP_3)
	v_add_f32_e32 v14, v14, v16
	v_fmaak_f32 v7, v2, v3, 0xa30aab6e
	s_delay_alu instid0(VALU_DEP_2) | instskip(NEXT) | instid1(VALU_DEP_1)
	v_exp_f32_e32 v14, v14
	v_add_f32_e32 v7, 0xa456751e, v7
	s_delay_alu instid0(VALU_DEP_1) | instskip(NEXT) | instid1(VALU_DEP_1)
	v_fma_f32 v3, v2, v7, -v3
	v_add_f32_e32 v3, 0xa4140365, v3
	s_delay_alu instid0(VALU_DEP_1) | instskip(NEXT) | instid1(VALU_DEP_1)
	v_fma_f32 v7, v2, v3, -v7
	;; [unrolled: 3-line block ×21, first 2 shown]
	v_add_f32_e32 v3, 0xbc1fed03, v3
	s_delay_alu instid0(VALU_DEP_1) | instskip(SKIP_2) | instid1(VALU_DEP_2)
	v_fma_f32 v2, v2, v3, -v7
	v_ldexp_f32 v3, v14, v15
	v_mul_f32_e64 v14, 0x4f800000, |v13|
	v_dual_add_f32 v2, 0x3f4750c6, v2 :: v_dual_cndmask_b32 v3, 0, v3
	s_delay_alu instid0(VALU_DEP_1) | instskip(NEXT) | instid1(VALU_DEP_2)
	v_sub_f32_e32 v7, v2, v7
	v_cndmask_b32_e64 v2, 0x7f800000, v3, s1
	s_mov_b32 s1, exec_lo
	s_delay_alu instid0(VALU_DEP_2)
	v_mul_f32_e32 v3, 0.5, v7
	v_cmpx_ngt_f32_e32 0, v13
	s_xor_b32 s5, exec_lo, s1
	s_cbranch_execz .LBB10_46
; %bb.45:
	v_cmp_gt_f32_e64 vcc_lo, 0xf800000, |v13|
	v_mul_f32_e32 v2, v2, v3
	s_delay_alu instid0(VALU_DEP_2) | instskip(NEXT) | instid1(VALU_DEP_1)
	v_cndmask_b32_e64 v7, |v13|, v14, vcc_lo
	v_sqrt_f32_e32 v13, v7
	s_waitcnt_depctr 0xfff
	v_add_nc_u32_e32 v14, -1, v13
	v_add_nc_u32_e32 v15, 1, v13
	s_delay_alu instid0(VALU_DEP_2) | instskip(NEXT) | instid1(VALU_DEP_2)
	v_fma_f32 v16, -v14, v13, v7
	v_fma_f32 v17, -v15, v13, v7
	s_delay_alu instid0(VALU_DEP_2) | instskip(NEXT) | instid1(VALU_DEP_1)
	v_cmp_ge_f32_e64 s1, 0, v16
	v_cndmask_b32_e64 v13, v13, v14, s1
	s_delay_alu instid0(VALU_DEP_3) | instskip(NEXT) | instid1(VALU_DEP_1)
	v_cmp_lt_f32_e64 s1, 0, v17
	v_cndmask_b32_e64 v13, v13, v15, s1
	s_delay_alu instid0(VALU_DEP_1) | instskip(NEXT) | instid1(VALU_DEP_1)
	v_mul_f32_e32 v14, 0x37800000, v13
	v_cndmask_b32_e32 v13, v13, v14, vcc_lo
	v_cmp_class_f32_e64 vcc_lo, v7, 0x260
	s_delay_alu instid0(VALU_DEP_2) | instskip(NEXT) | instid1(VALU_DEP_1)
	v_cndmask_b32_e32 v3, v13, v7, vcc_lo
	v_div_scale_f32 v7, null, v3, v3, v2
	s_delay_alu instid0(VALU_DEP_1) | instskip(SKIP_2) | instid1(VALU_DEP_1)
	v_rcp_f32_e32 v13, v7
	s_waitcnt_depctr 0xfff
	v_fma_f32 v14, -v7, v13, 1.0
	v_fmac_f32_e32 v13, v14, v13
	v_div_scale_f32 v14, vcc_lo, v2, v3, v2
	s_delay_alu instid0(VALU_DEP_1) | instskip(NEXT) | instid1(VALU_DEP_1)
	v_mul_f32_e32 v15, v14, v13
	v_fma_f32 v16, -v7, v15, v14
	s_delay_alu instid0(VALU_DEP_1) | instskip(NEXT) | instid1(VALU_DEP_1)
	v_fmac_f32_e32 v15, v16, v13
	v_fma_f32 v7, -v7, v15, v14
                                        ; implicit-def: $vgpr14
	s_delay_alu instid0(VALU_DEP_1) | instskip(NEXT) | instid1(VALU_DEP_1)
	v_div_fmas_f32 v7, v7, v13, v15
                                        ; implicit-def: $vgpr13
	v_div_fixup_f32 v7, v7, v3, v2
                                        ; implicit-def: $vgpr2
                                        ; implicit-def: $vgpr3
.LBB10_46:
	s_and_not1_saveexec_b32 s5, s5
	s_cbranch_execz .LBB10_48
; %bb.47:
	v_cmp_gt_f32_e64 vcc_lo, 0xf800000, |v13|
	v_mul_f32_e64 v2, v3, -v2
	s_delay_alu instid0(VALU_DEP_2) | instskip(NEXT) | instid1(VALU_DEP_1)
	v_cndmask_b32_e64 v7, |v13|, v14, vcc_lo
	v_sqrt_f32_e32 v13, v7
	s_waitcnt_depctr 0xfff
	v_add_nc_u32_e32 v14, -1, v13
	v_add_nc_u32_e32 v15, 1, v13
	s_delay_alu instid0(VALU_DEP_2) | instskip(NEXT) | instid1(VALU_DEP_2)
	v_fma_f32 v16, -v14, v13, v7
	v_fma_f32 v17, -v15, v13, v7
	s_delay_alu instid0(VALU_DEP_2) | instskip(NEXT) | instid1(VALU_DEP_1)
	v_cmp_ge_f32_e64 s1, 0, v16
	v_cndmask_b32_e64 v13, v13, v14, s1
	s_delay_alu instid0(VALU_DEP_3) | instskip(NEXT) | instid1(VALU_DEP_1)
	v_cmp_lt_f32_e64 s1, 0, v17
	v_cndmask_b32_e64 v13, v13, v15, s1
	s_delay_alu instid0(VALU_DEP_1) | instskip(NEXT) | instid1(VALU_DEP_1)
	v_mul_f32_e32 v14, 0x37800000, v13
	v_cndmask_b32_e32 v13, v13, v14, vcc_lo
	v_cmp_class_f32_e64 vcc_lo, v7, 0x260
	s_delay_alu instid0(VALU_DEP_2) | instskip(NEXT) | instid1(VALU_DEP_1)
	v_cndmask_b32_e32 v3, v13, v7, vcc_lo
	v_div_scale_f32 v7, null, v3, v3, v2
	s_delay_alu instid0(VALU_DEP_1) | instskip(SKIP_2) | instid1(VALU_DEP_1)
	v_rcp_f32_e32 v13, v7
	s_waitcnt_depctr 0xfff
	v_fma_f32 v14, -v7, v13, 1.0
	v_fmac_f32_e32 v13, v14, v13
	v_div_scale_f32 v14, vcc_lo, v2, v3, v2
	s_delay_alu instid0(VALU_DEP_1) | instskip(NEXT) | instid1(VALU_DEP_1)
	v_mul_f32_e32 v15, v14, v13
	v_fma_f32 v16, -v7, v15, v14
	s_delay_alu instid0(VALU_DEP_1) | instskip(NEXT) | instid1(VALU_DEP_1)
	v_fmac_f32_e32 v15, v16, v13
	v_fma_f32 v7, -v7, v15, v14
	s_delay_alu instid0(VALU_DEP_1) | instskip(NEXT) | instid1(VALU_DEP_1)
	v_div_fmas_f32 v7, v7, v13, v15
	v_div_fixup_f32 v7, v7, v3, v2
.LBB10_48:
	s_or_b32 exec_lo, exec_lo, s5
.LBB10_49:
	s_delay_alu instid0(SALU_CYCLE_1)
	s_or_b32 exec_lo, exec_lo, s4
.LBB10_50:
	s_delay_alu instid0(SALU_CYCLE_1) | instskip(SKIP_2) | instid1(VALU_DEP_1)
	s_or_b32 exec_lo, exec_lo, s3
	v_add_nc_u32_e32 v2, 0x300, v11
	s_mov_b32 s3, exec_lo
	v_cmpx_lt_i32_e64 v2, v4
	s_cbranch_execnz .LBB10_56
; %bb.51:
	s_or_b32 exec_lo, exec_lo, s3
	s_and_saveexec_b32 s1, s0
	s_delay_alu instid0(SALU_CYCLE_1)
	s_xor_b32 s0, exec_lo, s1
	s_cbranch_execnz .LBB10_69
.LBB10_52:
	s_or_b32 exec_lo, exec_lo, s0
	s_delay_alu instid0(SALU_CYCLE_1)
	s_mov_b32 s0, exec_lo
	v_cmpx_lt_i32_e64 v11, v4
	s_cbranch_execnz .LBB10_70
.LBB10_53:
	s_or_b32 exec_lo, exec_lo, s0
	s_delay_alu instid0(SALU_CYCLE_1)
	s_mov_b32 s0, exec_lo
	v_cmpx_lt_i32_e64 v11, v4
	s_cbranch_execnz .LBB10_71
.LBB10_54:
	s_or_b32 exec_lo, exec_lo, s0
	s_delay_alu instid0(SALU_CYCLE_1)
	s_mov_b32 s0, exec_lo
	v_cmpx_lt_i32_e64 v11, v4
	s_cbranch_execnz .LBB10_72
.LBB10_55:
	s_or_b32 exec_lo, exec_lo, s0
	s_waitcnt vmcnt(0) lgkmcnt(0)
	s_setpc_b64 s[30:31]
.LBB10_56:
	s_waitcnt vmcnt(0) lgkmcnt(0)
	v_cmp_ge_f32_e64 s1, 0x41000000, |v10|
	s_delay_alu instid0(VALU_DEP_1) | instskip(NEXT) | instid1(SALU_CYCLE_1)
	s_and_saveexec_b32 s4, s1
	s_xor_b32 s1, exec_lo, s4
	s_cbranch_execz .LBB10_62
; %bb.57:
	v_fma_f32 v2, |v10|, 0.5, -2.0
	s_mov_b32 s4, 0x224cf950
	s_delay_alu instid0(VALU_DEP_1) | instid1(SALU_CYCLE_1)
	v_fmaak_f32 v3, s4, v2, 0xa3c2be86
	s_mov_b32 s4, exec_lo
	s_delay_alu instid0(VALU_DEP_1) | instskip(NEXT) | instid1(VALU_DEP_1)
	v_fmaak_f32 v8, v2, v3, 0xa24cf950
	v_add_f32_e32 v8, 0x25331f1f, v8
	s_delay_alu instid0(VALU_DEP_1) | instskip(NEXT) | instid1(VALU_DEP_1)
	v_fma_f32 v3, v2, v8, -v3
	v_add_f32_e32 v3, 0xa69f5554, v3
	s_delay_alu instid0(VALU_DEP_1) | instskip(NEXT) | instid1(VALU_DEP_1)
	v_fma_f32 v8, v2, v3, -v8
	;; [unrolled: 3-line block ×26, first 2 shown]
	v_add_f32_e32 v2, 0x3e81531c, v2
	s_delay_alu instid0(VALU_DEP_1)
	v_sub_f32_e32 v2, v2, v8
	v_cmpx_ngt_f32_e32 0, v10
	s_xor_b32 s4, exec_lo, s4
	s_cbranch_execz .LBB10_59
; %bb.58:
	v_mul_f32_e64 v3, 0x3fb8aa3b, |v10|
	v_cmp_ngt_f32_e64 vcc_lo, 0xc2ce8ed0, |v10|
	v_mul_f32_e32 v2, 0.5, v2
	s_delay_alu instid0(VALU_DEP_3) | instskip(SKIP_1) | instid1(VALU_DEP_3)
	v_rndne_f32_e32 v8, v3
	v_fma_f32 v13, 0x3fb8aa3b, |v10|, -v3
	v_mul_f32_e64 v2, |v10|, v2
	s_delay_alu instid0(VALU_DEP_3) | instskip(NEXT) | instid1(VALU_DEP_3)
	v_sub_f32_e32 v3, v3, v8
	v_fma_f32 v13, 0x32a5705f, |v10|, v13
	v_cvt_i32_f32_e32 v8, v8
	s_delay_alu instid0(VALU_DEP_2) | instskip(NEXT) | instid1(VALU_DEP_1)
	v_add_f32_e32 v3, v3, v13
	v_exp_f32_e32 v3, v3
	s_waitcnt_depctr 0xfff
	v_ldexp_f32 v3, v3, v8
	s_delay_alu instid0(VALU_DEP_1) | instskip(SKIP_1) | instid1(VALU_DEP_2)
	v_cndmask_b32_e32 v3, 0, v3, vcc_lo
	v_cmp_nlt_f32_e64 vcc_lo, 0x42b17218, |v10|
                                        ; implicit-def: $vgpr10
	v_cndmask_b32_e32 v3, 0x7f800000, v3, vcc_lo
	s_delay_alu instid0(VALU_DEP_1)
	v_mul_f32_e32 v8, v3, v2
                                        ; implicit-def: $vgpr2
.LBB10_59:
	s_and_not1_saveexec_b32 s4, s4
	s_cbranch_execz .LBB10_61
; %bb.60:
	v_mul_f32_e64 v3, 0x3fb8aa3b, |v10|
	v_cmp_ngt_f32_e64 vcc_lo, 0xc2ce8ed0, |v10|
	v_mul_f32_e32 v2, -0.5, v2
	s_delay_alu instid0(VALU_DEP_3) | instskip(SKIP_1) | instid1(VALU_DEP_3)
	v_rndne_f32_e32 v8, v3
	v_fma_f32 v13, 0x3fb8aa3b, |v10|, -v3
	v_mul_f32_e64 v2, |v10|, v2
	s_delay_alu instid0(VALU_DEP_3) | instskip(NEXT) | instid1(VALU_DEP_3)
	v_sub_f32_e32 v3, v3, v8
	v_fma_f32 v13, 0x32a5705f, |v10|, v13
	v_cvt_i32_f32_e32 v8, v8
	s_delay_alu instid0(VALU_DEP_2) | instskip(NEXT) | instid1(VALU_DEP_1)
	v_add_f32_e32 v3, v3, v13
	v_exp_f32_e32 v3, v3
	s_waitcnt_depctr 0xfff
	v_ldexp_f32 v3, v3, v8
	s_delay_alu instid0(VALU_DEP_1) | instskip(SKIP_1) | instid1(VALU_DEP_2)
	v_cndmask_b32_e32 v3, 0, v3, vcc_lo
	v_cmp_nlt_f32_e64 vcc_lo, 0x42b17218, |v10|
	v_cndmask_b32_e32 v3, 0x7f800000, v3, vcc_lo
	s_delay_alu instid0(VALU_DEP_1)
	v_mul_f32_e32 v8, v3, v2
.LBB10_61:
	s_or_b32 exec_lo, exec_lo, s4
                                        ; implicit-def: $vgpr10
.LBB10_62:
	s_and_not1_saveexec_b32 s4, s1
	s_cbranch_execz .LBB10_68
; %bb.63:
	v_and_b32_e32 v2, 0x7fffffff, v10
	s_mov_b32 s1, 0x230aab6e
	s_delay_alu instid0(VALU_DEP_1) | instskip(SKIP_1) | instid1(VALU_DEP_2)
	v_div_scale_f32 v3, null, v2, v2, 0x42000000
	v_div_scale_f32 v2, vcc_lo, 0x42000000, v2, 0x42000000
	v_rcp_f32_e32 v8, v3
	s_waitcnt_depctr 0xfff
	v_fma_f32 v13, -v3, v8, 1.0
	s_delay_alu instid0(VALU_DEP_1) | instskip(NEXT) | instid1(VALU_DEP_1)
	v_fmac_f32_e32 v8, v13, v8
	v_mul_f32_e32 v13, v2, v8
	s_delay_alu instid0(VALU_DEP_1) | instskip(NEXT) | instid1(VALU_DEP_1)
	v_fma_f32 v14, -v3, v13, v2
	v_fmac_f32_e32 v13, v14, v8
	s_delay_alu instid0(VALU_DEP_1) | instskip(NEXT) | instid1(VALU_DEP_1)
	v_fma_f32 v2, -v3, v13, v2
	v_div_fmas_f32 v2, v2, v8, v13
	v_mul_f32_e64 v13, 0x3fb8aa3b, |v10|
	v_cmp_ngt_f32_e64 vcc_lo, 0xc2ce8ed0, |v10|
	s_delay_alu instid0(VALU_DEP_3) | instskip(NEXT) | instid1(VALU_DEP_3)
	v_div_fixup_f32 v2, v2, |v10|, 0x42000000
	v_rndne_f32_e32 v14, v13
	v_fma_f32 v15, 0x3fb8aa3b, |v10|, -v13
	s_delay_alu instid0(VALU_DEP_3) | instskip(NEXT) | instid1(VALU_DEP_3)
	v_add_f32_e32 v2, -2.0, v2
	v_sub_f32_e32 v13, v13, v14
	s_delay_alu instid0(VALU_DEP_3) | instskip(SKIP_1) | instid1(VALU_DEP_4)
	v_fma_f32 v15, 0x32a5705f, |v10|, v15
	v_cvt_i32_f32_e32 v14, v14
	v_fmaak_f32 v3, s1, v2, 0x22a2dc57
	v_cmp_nlt_f32_e64 s1, 0x42b17218, |v10|
	s_delay_alu instid0(VALU_DEP_4) | instskip(NEXT) | instid1(VALU_DEP_3)
	v_add_f32_e32 v13, v13, v15
	v_fmaak_f32 v8, v2, v3, 0xa30aab6e
	s_delay_alu instid0(VALU_DEP_2) | instskip(NEXT) | instid1(VALU_DEP_1)
	v_exp_f32_e32 v13, v13
	v_add_f32_e32 v8, 0xa456751e, v8
	s_delay_alu instid0(VALU_DEP_1) | instskip(NEXT) | instid1(VALU_DEP_1)
	v_fma_f32 v3, v2, v8, -v3
	v_add_f32_e32 v3, 0xa4140365, v3
	s_delay_alu instid0(VALU_DEP_1) | instskip(NEXT) | instid1(VALU_DEP_1)
	v_fma_f32 v8, v2, v3, -v8
	;; [unrolled: 3-line block ×21, first 2 shown]
	v_add_f32_e32 v3, 0xbc1fed03, v3
	s_delay_alu instid0(VALU_DEP_1) | instskip(SKIP_2) | instid1(VALU_DEP_2)
	v_fma_f32 v2, v2, v3, -v8
	v_ldexp_f32 v3, v13, v14
	v_mul_f32_e64 v13, 0x4f800000, |v10|
	v_dual_add_f32 v2, 0x3f4750c6, v2 :: v_dual_cndmask_b32 v3, 0, v3
	s_delay_alu instid0(VALU_DEP_1) | instskip(NEXT) | instid1(VALU_DEP_2)
	v_sub_f32_e32 v8, v2, v8
	v_cndmask_b32_e64 v2, 0x7f800000, v3, s1
	s_mov_b32 s1, exec_lo
	s_delay_alu instid0(VALU_DEP_2)
	v_mul_f32_e32 v3, 0.5, v8
	v_cmpx_ngt_f32_e32 0, v10
	s_xor_b32 s5, exec_lo, s1
	s_cbranch_execz .LBB10_65
; %bb.64:
	v_cmp_gt_f32_e64 vcc_lo, 0xf800000, |v10|
	v_mul_f32_e32 v2, v2, v3
	s_delay_alu instid0(VALU_DEP_2) | instskip(NEXT) | instid1(VALU_DEP_1)
	v_cndmask_b32_e64 v8, |v10|, v13, vcc_lo
	v_sqrt_f32_e32 v10, v8
	s_waitcnt_depctr 0xfff
	v_add_nc_u32_e32 v13, -1, v10
	v_add_nc_u32_e32 v14, 1, v10
	s_delay_alu instid0(VALU_DEP_2) | instskip(NEXT) | instid1(VALU_DEP_2)
	v_fma_f32 v15, -v13, v10, v8
	v_fma_f32 v16, -v14, v10, v8
	s_delay_alu instid0(VALU_DEP_2) | instskip(NEXT) | instid1(VALU_DEP_1)
	v_cmp_ge_f32_e64 s1, 0, v15
	v_cndmask_b32_e64 v10, v10, v13, s1
	s_delay_alu instid0(VALU_DEP_3) | instskip(NEXT) | instid1(VALU_DEP_1)
	v_cmp_lt_f32_e64 s1, 0, v16
	v_cndmask_b32_e64 v10, v10, v14, s1
	s_delay_alu instid0(VALU_DEP_1) | instskip(NEXT) | instid1(VALU_DEP_1)
	v_mul_f32_e32 v13, 0x37800000, v10
	v_cndmask_b32_e32 v10, v10, v13, vcc_lo
	v_cmp_class_f32_e64 vcc_lo, v8, 0x260
	s_delay_alu instid0(VALU_DEP_2) | instskip(NEXT) | instid1(VALU_DEP_1)
	v_cndmask_b32_e32 v3, v10, v8, vcc_lo
	v_div_scale_f32 v8, null, v3, v3, v2
	s_delay_alu instid0(VALU_DEP_1) | instskip(SKIP_2) | instid1(VALU_DEP_1)
	v_rcp_f32_e32 v10, v8
	s_waitcnt_depctr 0xfff
	v_fma_f32 v13, -v8, v10, 1.0
	v_fmac_f32_e32 v10, v13, v10
	v_div_scale_f32 v13, vcc_lo, v2, v3, v2
	s_delay_alu instid0(VALU_DEP_1) | instskip(NEXT) | instid1(VALU_DEP_1)
	v_mul_f32_e32 v14, v13, v10
	v_fma_f32 v15, -v8, v14, v13
	s_delay_alu instid0(VALU_DEP_1) | instskip(NEXT) | instid1(VALU_DEP_1)
	v_fmac_f32_e32 v14, v15, v10
	v_fma_f32 v8, -v8, v14, v13
                                        ; implicit-def: $vgpr13
	s_delay_alu instid0(VALU_DEP_1) | instskip(NEXT) | instid1(VALU_DEP_1)
	v_div_fmas_f32 v8, v8, v10, v14
                                        ; implicit-def: $vgpr10
	v_div_fixup_f32 v8, v8, v3, v2
                                        ; implicit-def: $vgpr2
                                        ; implicit-def: $vgpr3
.LBB10_65:
	s_and_not1_saveexec_b32 s5, s5
	s_cbranch_execz .LBB10_67
; %bb.66:
	v_cmp_gt_f32_e64 vcc_lo, 0xf800000, |v10|
	v_mul_f32_e64 v2, v3, -v2
	s_delay_alu instid0(VALU_DEP_2) | instskip(NEXT) | instid1(VALU_DEP_1)
	v_cndmask_b32_e64 v8, |v10|, v13, vcc_lo
	v_sqrt_f32_e32 v10, v8
	s_waitcnt_depctr 0xfff
	v_add_nc_u32_e32 v13, -1, v10
	v_add_nc_u32_e32 v14, 1, v10
	s_delay_alu instid0(VALU_DEP_2) | instskip(NEXT) | instid1(VALU_DEP_2)
	v_fma_f32 v15, -v13, v10, v8
	v_fma_f32 v16, -v14, v10, v8
	s_delay_alu instid0(VALU_DEP_2) | instskip(NEXT) | instid1(VALU_DEP_1)
	v_cmp_ge_f32_e64 s1, 0, v15
	v_cndmask_b32_e64 v10, v10, v13, s1
	s_delay_alu instid0(VALU_DEP_3) | instskip(NEXT) | instid1(VALU_DEP_1)
	v_cmp_lt_f32_e64 s1, 0, v16
	v_cndmask_b32_e64 v10, v10, v14, s1
	s_delay_alu instid0(VALU_DEP_1) | instskip(NEXT) | instid1(VALU_DEP_1)
	v_mul_f32_e32 v13, 0x37800000, v10
	v_cndmask_b32_e32 v10, v10, v13, vcc_lo
	v_cmp_class_f32_e64 vcc_lo, v8, 0x260
	s_delay_alu instid0(VALU_DEP_2) | instskip(NEXT) | instid1(VALU_DEP_1)
	v_cndmask_b32_e32 v3, v10, v8, vcc_lo
	v_div_scale_f32 v8, null, v3, v3, v2
	s_delay_alu instid0(VALU_DEP_1) | instskip(SKIP_2) | instid1(VALU_DEP_1)
	v_rcp_f32_e32 v10, v8
	s_waitcnt_depctr 0xfff
	v_fma_f32 v13, -v8, v10, 1.0
	v_fmac_f32_e32 v10, v13, v10
	v_div_scale_f32 v13, vcc_lo, v2, v3, v2
	s_delay_alu instid0(VALU_DEP_1) | instskip(NEXT) | instid1(VALU_DEP_1)
	v_mul_f32_e32 v14, v13, v10
	v_fma_f32 v15, -v8, v14, v13
	s_delay_alu instid0(VALU_DEP_1) | instskip(NEXT) | instid1(VALU_DEP_1)
	v_fmac_f32_e32 v14, v15, v10
	v_fma_f32 v8, -v8, v14, v13
	s_delay_alu instid0(VALU_DEP_1) | instskip(NEXT) | instid1(VALU_DEP_1)
	v_div_fmas_f32 v8, v8, v10, v14
	v_div_fixup_f32 v8, v8, v3, v2
.LBB10_67:
	s_or_b32 exec_lo, exec_lo, s5
.LBB10_68:
	s_delay_alu instid0(SALU_CYCLE_1) | instskip(NEXT) | instid1(SALU_CYCLE_1)
	s_or_b32 exec_lo, exec_lo, s4
	s_or_b32 exec_lo, exec_lo, s3
	s_and_saveexec_b32 s1, s0
	s_delay_alu instid0(SALU_CYCLE_1)
	s_xor_b32 s0, exec_lo, s1
	s_cbranch_execz .LBB10_52
.LBB10_69:
	s_waitcnt vmcnt(0) lgkmcnt(0)
	v_dual_mov_b32 v10, 0 :: v_dual_mov_b32 v11, v12
	s_delay_alu instid0(VALU_DEP_1) | instskip(NEXT) | instid1(VALU_DEP_1)
	v_lshlrev_b64 v[2:3], 2, v[9:10]
	v_add_co_u32 v2, vcc_lo, v0, v2
	s_delay_alu instid0(VALU_DEP_2) | instskip(SKIP_2) | instid1(SALU_CYCLE_1)
	v_add_co_ci_u32_e32 v3, vcc_lo, v1, v3, vcc_lo
	flat_store_b32 v[2:3], v5
	s_or_b32 exec_lo, exec_lo, s0
	s_mov_b32 s0, exec_lo
	v_cmpx_lt_i32_e64 v11, v4
	s_cbranch_execz .LBB10_53
.LBB10_70:
	v_dual_mov_b32 v3, 0 :: v_dual_add_nc_u32 v2, s2, v11
	v_add_nc_u32_e32 v11, 0x100, v11
	s_delay_alu instid0(VALU_DEP_2) | instskip(NEXT) | instid1(VALU_DEP_1)
	v_lshlrev_b64 v[2:3], 2, v[2:3]
	v_add_co_u32 v2, vcc_lo, v0, v2
	s_delay_alu instid0(VALU_DEP_2) | instskip(SKIP_2) | instid1(SALU_CYCLE_1)
	v_add_co_ci_u32_e32 v3, vcc_lo, v1, v3, vcc_lo
	flat_store_b32 v[2:3], v6
	s_or_b32 exec_lo, exec_lo, s0
	s_mov_b32 s0, exec_lo
	v_cmpx_lt_i32_e64 v11, v4
	s_cbranch_execz .LBB10_54
.LBB10_71:
	v_dual_mov_b32 v3, 0 :: v_dual_add_nc_u32 v2, s2, v11
	v_add_nc_u32_e32 v11, 0x100, v11
	s_delay_alu instid0(VALU_DEP_2) | instskip(NEXT) | instid1(VALU_DEP_1)
	v_lshlrev_b64 v[2:3], 2, v[2:3]
	v_add_co_u32 v2, vcc_lo, v0, v2
	s_delay_alu instid0(VALU_DEP_2) | instskip(SKIP_2) | instid1(SALU_CYCLE_1)
	v_add_co_ci_u32_e32 v3, vcc_lo, v1, v3, vcc_lo
	flat_store_b32 v[2:3], v7
	s_or_b32 exec_lo, exec_lo, s0
	s_mov_b32 s0, exec_lo
	v_cmpx_lt_i32_e64 v11, v4
	s_cbranch_execz .LBB10_55
.LBB10_72:
	v_dual_mov_b32 v3, 0 :: v_dual_add_nc_u32 v2, s2, v11
	s_delay_alu instid0(VALU_DEP_1) | instskip(NEXT) | instid1(VALU_DEP_1)
	v_lshlrev_b64 v[2:3], 2, v[2:3]
	v_add_co_u32 v0, vcc_lo, v0, v2
	s_delay_alu instid0(VALU_DEP_2)
	v_add_co_ci_u32_e32 v1, vcc_lo, v1, v3, vcc_lo
	flat_store_b32 v[0:1], v8
	s_or_b32 exec_lo, exec_lo, s0
	s_waitcnt vmcnt(0) lgkmcnt(0)
	s_setpc_b64 s[30:31]
.Lfunc_end10:
	.size	_ZN2at6native25elementwise_kernel_helperILb0EZZZNS0_12_GLOBAL__N_130modified_bessel_i1_kernel_cudaERNS_18TensorIteratorBaseEENKUlvE_clEvENKUlvE0_clEvEUlfE_NS0_6memory8policies11unroll_baseILi256ESt5arrayIPcLm2EE23TrivialOffsetCalculatorILi1EjESF_NS8_15LoadWithoutCastENS8_16StoreWithoutCastELi4ELi1EEEEEvT0_T1_, .Lfunc_end10-_ZN2at6native25elementwise_kernel_helperILb0EZZZNS0_12_GLOBAL__N_130modified_bessel_i1_kernel_cudaERNS_18TensorIteratorBaseEENKUlvE_clEvENKUlvE0_clEvEUlfE_NS0_6memory8policies11unroll_baseILi256ESt5arrayIPcLm2EE23TrivialOffsetCalculatorILi1EjESF_NS8_15LoadWithoutCastENS8_16StoreWithoutCastELi4ELi1EEEEEvT0_T1_
                                        ; -- End function
	.section	.AMDGPU.csdata,"",@progbits
; Function info:
; codeLenInByte = 9552
; NumSgprs: 34
; NumVgprs: 32
; ScratchSize: 0
; MemoryBound: 0
	.text
	.p2align	2                               ; -- Begin function _ZN2at6native25elementwise_kernel_helperILb0EZZZNS0_12_GLOBAL__N_130modified_bessel_i1_kernel_cudaERNS_18TensorIteratorBaseEENKUlvE_clEvENKUlvE0_clEvEUlfE_NS0_6memory8policies10vectorizedILi4ESt5arrayIPcLm2EELi4EEEEEvT0_T1_
	.type	_ZN2at6native25elementwise_kernel_helperILb0EZZZNS0_12_GLOBAL__N_130modified_bessel_i1_kernel_cudaERNS_18TensorIteratorBaseEENKUlvE_clEvENKUlvE0_clEvEUlfE_NS0_6memory8policies10vectorizedILi4ESt5arrayIPcLm2EELi4EEEEEvT0_T1_,@function
_ZN2at6native25elementwise_kernel_helperILb0EZZZNS0_12_GLOBAL__N_130modified_bessel_i1_kernel_cudaERNS_18TensorIteratorBaseEENKUlvE_clEvENKUlvE0_clEvEUlfE_NS0_6memory8policies10vectorizedILi4ESt5arrayIPcLm2EELi4EEEEEvT0_T1_: ; @_ZN2at6native25elementwise_kernel_helperILb0EZZZNS0_12_GLOBAL__N_130modified_bessel_i1_kernel_cudaERNS_18TensorIteratorBaseEENKUlvE_clEvENKUlvE0_clEvEUlfE_NS0_6memory8policies10vectorizedILi4ESt5arrayIPcLm2EELi4EEEEEvT0_T1_
; %bb.0:
	s_waitcnt vmcnt(0) expcnt(0) lgkmcnt(0)
	s_lshl_b32 s0, s12, 10
	v_and_b32_e32 v4, 0x3ff, v31
	s_ashr_i32 s1, s0, 31
                                        ; implicit-def: $vgpr6
	s_delay_alu instid0(SALU_CYCLE_1) | instskip(NEXT) | instid1(VALU_DEP_1)
	s_lshl_b64 s[2:3], s[0:1], 2
	v_lshlrev_b32_e32 v10, 4, v4
	v_add_co_u32 v2, vcc_lo, v2, s2
	v_add_co_ci_u32_e32 v3, vcc_lo, s3, v3, vcc_lo
	s_delay_alu instid0(VALU_DEP_2) | instskip(NEXT) | instid1(VALU_DEP_2)
	v_add_co_u32 v2, vcc_lo, v2, v10
	v_add_co_ci_u32_e32 v3, vcc_lo, 0, v3, vcc_lo
	flat_load_b128 v[2:5], v[2:3]
	s_waitcnt vmcnt(0) lgkmcnt(0)
	v_cmp_ge_f32_e64 s0, 0x41000000, |v2|
	s_delay_alu instid0(VALU_DEP_1) | instskip(NEXT) | instid1(SALU_CYCLE_1)
	s_and_saveexec_b32 s1, s0
	s_xor_b32 s0, exec_lo, s1
	s_cbranch_execz .LBB11_6
; %bb.1:
	v_fma_f32 v6, |v2|, 0.5, -2.0
	s_mov_b32 s1, 0x224cf950
	s_delay_alu instid0(VALU_DEP_1) | instid1(SALU_CYCLE_1)
	v_fmaak_f32 v7, s1, v6, 0xa3c2be86
	s_mov_b32 s1, exec_lo
	s_delay_alu instid0(VALU_DEP_1) | instskip(NEXT) | instid1(VALU_DEP_1)
	v_fmaak_f32 v8, v6, v7, 0xa24cf950
	v_add_f32_e32 v8, 0x25331f1f, v8
	s_delay_alu instid0(VALU_DEP_1) | instskip(NEXT) | instid1(VALU_DEP_1)
	v_fma_f32 v7, v6, v8, -v7
	v_add_f32_e32 v7, 0xa69f5554, v7
	s_delay_alu instid0(VALU_DEP_1) | instskip(NEXT) | instid1(VALU_DEP_1)
	v_fma_f32 v8, v6, v7, -v8
	;; [unrolled: 3-line block ×26, first 2 shown]
	v_add_f32_e32 v6, 0x3e81531c, v6
	s_delay_alu instid0(VALU_DEP_1)
	v_sub_f32_e32 v7, v6, v8
                                        ; implicit-def: $vgpr6
	v_cmpx_ngt_f32_e32 0, v2
	s_xor_b32 s1, exec_lo, s1
	s_cbranch_execz .LBB11_3
; %bb.2:
	v_mul_f32_e64 v6, 0x3fb8aa3b, |v2|
	v_cmp_ngt_f32_e64 vcc_lo, 0xc2ce8ed0, |v2|
	v_mul_f32_e32 v7, 0.5, v7
	s_delay_alu instid0(VALU_DEP_3) | instskip(SKIP_1) | instid1(VALU_DEP_3)
	v_rndne_f32_e32 v8, v6
	v_fma_f32 v9, 0x3fb8aa3b, |v2|, -v6
	v_mul_f32_e64 v7, |v2|, v7
	s_delay_alu instid0(VALU_DEP_3) | instskip(NEXT) | instid1(VALU_DEP_3)
	v_sub_f32_e32 v6, v6, v8
	v_fma_f32 v9, 0x32a5705f, |v2|, v9
	v_cvt_i32_f32_e32 v8, v8
	s_delay_alu instid0(VALU_DEP_2) | instskip(NEXT) | instid1(VALU_DEP_1)
	v_add_f32_e32 v6, v6, v9
	v_exp_f32_e32 v6, v6
	s_waitcnt_depctr 0xfff
	v_ldexp_f32 v6, v6, v8
	s_delay_alu instid0(VALU_DEP_1) | instskip(SKIP_1) | instid1(VALU_DEP_2)
	v_cndmask_b32_e32 v6, 0, v6, vcc_lo
	v_cmp_nlt_f32_e64 vcc_lo, 0x42b17218, |v2|
	v_cndmask_b32_e32 v6, 0x7f800000, v6, vcc_lo
	s_delay_alu instid0(VALU_DEP_1)
	v_mul_f32_e32 v6, v6, v7
                                        ; implicit-def: $vgpr7
.LBB11_3:
	s_and_not1_saveexec_b32 s1, s1
	s_cbranch_execz .LBB11_5
; %bb.4:
	v_mul_f32_e64 v6, 0x3fb8aa3b, |v2|
	v_cmp_ngt_f32_e64 vcc_lo, 0xc2ce8ed0, |v2|
	v_mul_f32_e32 v7, -0.5, v7
	s_delay_alu instid0(VALU_DEP_3) | instskip(SKIP_1) | instid1(VALU_DEP_3)
	v_rndne_f32_e32 v8, v6
	v_fma_f32 v9, 0x3fb8aa3b, |v2|, -v6
	v_mul_f32_e64 v7, |v2|, v7
	s_delay_alu instid0(VALU_DEP_3) | instskip(NEXT) | instid1(VALU_DEP_3)
	v_sub_f32_e32 v6, v6, v8
	v_fma_f32 v9, 0x32a5705f, |v2|, v9
	v_cvt_i32_f32_e32 v8, v8
	s_delay_alu instid0(VALU_DEP_2) | instskip(NEXT) | instid1(VALU_DEP_1)
	v_add_f32_e32 v6, v6, v9
	v_exp_f32_e32 v6, v6
	s_waitcnt_depctr 0xfff
	v_ldexp_f32 v6, v6, v8
	s_delay_alu instid0(VALU_DEP_1) | instskip(SKIP_1) | instid1(VALU_DEP_2)
	v_cndmask_b32_e32 v6, 0, v6, vcc_lo
	v_cmp_nlt_f32_e64 vcc_lo, 0x42b17218, |v2|
	v_cndmask_b32_e32 v6, 0x7f800000, v6, vcc_lo
	s_delay_alu instid0(VALU_DEP_1)
	v_mul_f32_e32 v6, v6, v7
.LBB11_5:
	s_or_b32 exec_lo, exec_lo, s1
.LBB11_6:
	s_and_not1_saveexec_b32 s1, s0
	s_cbranch_execz .LBB11_12
; %bb.7:
	v_and_b32_e32 v6, 0x7fffffff, v2
	s_mov_b32 s0, 0x230aab6e
	s_delay_alu instid0(VALU_DEP_1) | instskip(SKIP_1) | instid1(VALU_DEP_2)
	v_div_scale_f32 v7, null, v6, v6, 0x42000000
	v_div_scale_f32 v6, vcc_lo, 0x42000000, v6, 0x42000000
	v_rcp_f32_e32 v8, v7
	s_waitcnt_depctr 0xfff
	v_fma_f32 v9, -v7, v8, 1.0
	s_delay_alu instid0(VALU_DEP_1) | instskip(NEXT) | instid1(VALU_DEP_1)
	v_fmac_f32_e32 v8, v9, v8
	v_mul_f32_e32 v9, v6, v8
	s_delay_alu instid0(VALU_DEP_1) | instskip(NEXT) | instid1(VALU_DEP_1)
	v_fma_f32 v11, -v7, v9, v6
	v_fmac_f32_e32 v9, v11, v8
	s_delay_alu instid0(VALU_DEP_1) | instskip(NEXT) | instid1(VALU_DEP_1)
	v_fma_f32 v6, -v7, v9, v6
	v_div_fmas_f32 v6, v6, v8, v9
	v_mul_f32_e64 v9, 0x3fb8aa3b, |v2|
	v_cmp_ngt_f32_e64 vcc_lo, 0xc2ce8ed0, |v2|
	s_delay_alu instid0(VALU_DEP_3) | instskip(NEXT) | instid1(VALU_DEP_3)
	v_div_fixup_f32 v6, v6, |v2|, 0x42000000
	v_rndne_f32_e32 v11, v9
	v_fma_f32 v12, 0x3fb8aa3b, |v2|, -v9
	s_delay_alu instid0(VALU_DEP_2) | instskip(NEXT) | instid1(VALU_DEP_2)
	v_dual_add_f32 v6, -2.0, v6 :: v_dual_sub_f32 v9, v9, v11
	v_fma_f32 v12, 0x32a5705f, |v2|, v12
	v_cvt_i32_f32_e32 v11, v11
	s_delay_alu instid0(VALU_DEP_3) | instskip(SKIP_1) | instid1(VALU_DEP_2)
	v_fmaak_f32 v7, s0, v6, 0x22a2dc57
	v_cmp_nlt_f32_e64 s0, 0x42b17218, |v2|
	v_dual_add_f32 v9, v9, v12 :: v_dual_fmaak_f32 v8, v6, v7, 0xa30aab6e
	s_delay_alu instid0(VALU_DEP_1) | instskip(NEXT) | instid1(VALU_DEP_1)
	v_exp_f32_e32 v9, v9
	v_add_f32_e32 v8, 0xa456751e, v8
	s_delay_alu instid0(VALU_DEP_1) | instskip(NEXT) | instid1(VALU_DEP_1)
	v_fma_f32 v7, v6, v8, -v7
	v_add_f32_e32 v7, 0xa4140365, v7
	s_delay_alu instid0(VALU_DEP_1) | instskip(NEXT) | instid1(VALU_DEP_1)
	v_fma_f32 v8, v6, v7, -v8
	;; [unrolled: 3-line block ×21, first 2 shown]
	v_add_f32_e32 v7, 0xbc1fed03, v7
	s_delay_alu instid0(VALU_DEP_1) | instskip(SKIP_2) | instid1(VALU_DEP_2)
	v_fma_f32 v6, v6, v7, -v8
	v_ldexp_f32 v7, v9, v11
	v_mul_f32_e64 v9, 0x4f800000, |v2|
	v_dual_add_f32 v6, 0x3f4750c6, v6 :: v_dual_cndmask_b32 v7, 0, v7
	s_delay_alu instid0(VALU_DEP_1) | instskip(NEXT) | instid1(VALU_DEP_2)
	v_sub_f32_e32 v6, v6, v8
	v_cndmask_b32_e64 v7, 0x7f800000, v7, s0
	s_mov_b32 s0, exec_lo
	s_delay_alu instid0(VALU_DEP_2)
	v_mul_f32_e32 v8, 0.5, v6
                                        ; implicit-def: $vgpr6
	v_cmpx_ngt_f32_e32 0, v2
	s_xor_b32 s4, exec_lo, s0
	s_cbranch_execz .LBB11_9
; %bb.8:
	v_cmp_gt_f32_e64 vcc_lo, 0xf800000, |v2|
	v_mul_f32_e32 v7, v7, v8
	s_delay_alu instid0(VALU_DEP_2) | instskip(NEXT) | instid1(VALU_DEP_1)
	v_cndmask_b32_e64 v6, |v2|, v9, vcc_lo
	v_sqrt_f32_e32 v9, v6
	s_waitcnt_depctr 0xfff
	v_add_nc_u32_e32 v11, -1, v9
	v_add_nc_u32_e32 v12, 1, v9
	s_delay_alu instid0(VALU_DEP_2) | instskip(NEXT) | instid1(VALU_DEP_2)
	v_fma_f32 v13, -v11, v9, v6
	v_fma_f32 v14, -v12, v9, v6
	s_delay_alu instid0(VALU_DEP_2) | instskip(NEXT) | instid1(VALU_DEP_1)
	v_cmp_ge_f32_e64 s0, 0, v13
	v_cndmask_b32_e64 v9, v9, v11, s0
	s_delay_alu instid0(VALU_DEP_3) | instskip(NEXT) | instid1(VALU_DEP_1)
	v_cmp_lt_f32_e64 s0, 0, v14
	v_cndmask_b32_e64 v9, v9, v12, s0
	s_delay_alu instid0(VALU_DEP_1) | instskip(NEXT) | instid1(VALU_DEP_1)
	v_mul_f32_e32 v11, 0x37800000, v9
	v_cndmask_b32_e32 v9, v9, v11, vcc_lo
	v_cmp_class_f32_e64 vcc_lo, v6, 0x260
	s_delay_alu instid0(VALU_DEP_2) | instskip(NEXT) | instid1(VALU_DEP_1)
	v_cndmask_b32_e32 v6, v9, v6, vcc_lo
	v_div_scale_f32 v8, null, v6, v6, v7
	s_delay_alu instid0(VALU_DEP_1) | instskip(SKIP_2) | instid1(VALU_DEP_1)
	v_rcp_f32_e32 v9, v8
	s_waitcnt_depctr 0xfff
	v_fma_f32 v11, -v8, v9, 1.0
	v_fmac_f32_e32 v9, v11, v9
	v_div_scale_f32 v11, vcc_lo, v7, v6, v7
	s_delay_alu instid0(VALU_DEP_1) | instskip(NEXT) | instid1(VALU_DEP_1)
	v_mul_f32_e32 v12, v11, v9
	v_fma_f32 v13, -v8, v12, v11
	s_delay_alu instid0(VALU_DEP_1) | instskip(NEXT) | instid1(VALU_DEP_1)
	v_fmac_f32_e32 v12, v13, v9
	v_fma_f32 v8, -v8, v12, v11
	s_delay_alu instid0(VALU_DEP_1) | instskip(NEXT) | instid1(VALU_DEP_1)
	v_div_fmas_f32 v8, v8, v9, v12
                                        ; implicit-def: $vgpr9
	v_div_fixup_f32 v6, v8, v6, v7
                                        ; implicit-def: $vgpr7
                                        ; implicit-def: $vgpr8
.LBB11_9:
	s_and_not1_saveexec_b32 s4, s4
	s_cbranch_execz .LBB11_11
; %bb.10:
	v_cmp_gt_f32_e64 vcc_lo, 0xf800000, |v2|
	v_mul_f32_e64 v7, v8, -v7
	s_delay_alu instid0(VALU_DEP_2) | instskip(NEXT) | instid1(VALU_DEP_1)
	v_cndmask_b32_e64 v2, |v2|, v9, vcc_lo
	v_sqrt_f32_e32 v6, v2
	s_waitcnt_depctr 0xfff
	v_add_nc_u32_e32 v9, -1, v6
	v_add_nc_u32_e32 v11, 1, v6
	s_delay_alu instid0(VALU_DEP_2) | instskip(NEXT) | instid1(VALU_DEP_2)
	v_fma_f32 v12, -v9, v6, v2
	v_fma_f32 v13, -v11, v6, v2
	s_delay_alu instid0(VALU_DEP_2) | instskip(NEXT) | instid1(VALU_DEP_1)
	v_cmp_ge_f32_e64 s0, 0, v12
	v_cndmask_b32_e64 v6, v6, v9, s0
	s_delay_alu instid0(VALU_DEP_3) | instskip(NEXT) | instid1(VALU_DEP_1)
	v_cmp_lt_f32_e64 s0, 0, v13
	v_cndmask_b32_e64 v6, v6, v11, s0
	s_delay_alu instid0(VALU_DEP_1) | instskip(NEXT) | instid1(VALU_DEP_1)
	v_mul_f32_e32 v9, 0x37800000, v6
	v_cndmask_b32_e32 v6, v6, v9, vcc_lo
	v_cmp_class_f32_e64 vcc_lo, v2, 0x260
	s_delay_alu instid0(VALU_DEP_2) | instskip(NEXT) | instid1(VALU_DEP_1)
	v_cndmask_b32_e32 v2, v6, v2, vcc_lo
	v_div_scale_f32 v6, null, v2, v2, v7
	s_delay_alu instid0(VALU_DEP_1) | instskip(SKIP_2) | instid1(VALU_DEP_1)
	v_rcp_f32_e32 v8, v6
	s_waitcnt_depctr 0xfff
	v_fma_f32 v9, -v6, v8, 1.0
	v_fmac_f32_e32 v8, v9, v8
	v_div_scale_f32 v9, vcc_lo, v7, v2, v7
	s_delay_alu instid0(VALU_DEP_1) | instskip(NEXT) | instid1(VALU_DEP_1)
	v_mul_f32_e32 v11, v9, v8
	v_fma_f32 v12, -v6, v11, v9
	s_delay_alu instid0(VALU_DEP_1) | instskip(NEXT) | instid1(VALU_DEP_1)
	v_fmac_f32_e32 v11, v12, v8
	v_fma_f32 v6, -v6, v11, v9
	s_delay_alu instid0(VALU_DEP_1) | instskip(NEXT) | instid1(VALU_DEP_1)
	v_div_fmas_f32 v6, v6, v8, v11
	v_div_fixup_f32 v6, v6, v2, v7
.LBB11_11:
	s_or_b32 exec_lo, exec_lo, s4
.LBB11_12:
	s_delay_alu instid0(SALU_CYCLE_1) | instskip(SKIP_1) | instid1(VALU_DEP_1)
	s_or_b32 exec_lo, exec_lo, s1
	v_cmp_ge_f32_e64 s0, 0x41000000, |v3|
	s_and_saveexec_b32 s1, s0
	s_delay_alu instid0(SALU_CYCLE_1)
	s_xor_b32 s0, exec_lo, s1
	s_cbranch_execz .LBB11_18
; %bb.13:
	v_fma_f32 v2, |v3|, 0.5, -2.0
	s_mov_b32 s1, 0x224cf950
	s_delay_alu instid0(VALU_DEP_1) | instid1(SALU_CYCLE_1)
	v_fmaak_f32 v7, s1, v2, 0xa3c2be86
	s_mov_b32 s1, exec_lo
	s_delay_alu instid0(VALU_DEP_1) | instskip(NEXT) | instid1(VALU_DEP_1)
	v_fmaak_f32 v8, v2, v7, 0xa24cf950
	v_add_f32_e32 v8, 0x25331f1f, v8
	s_delay_alu instid0(VALU_DEP_1) | instskip(NEXT) | instid1(VALU_DEP_1)
	v_fma_f32 v7, v2, v8, -v7
	v_add_f32_e32 v7, 0xa69f5554, v7
	s_delay_alu instid0(VALU_DEP_1) | instskip(NEXT) | instid1(VALU_DEP_1)
	v_fma_f32 v8, v2, v7, -v8
	;; [unrolled: 3-line block ×26, first 2 shown]
	v_add_f32_e32 v2, 0x3e81531c, v2
	s_delay_alu instid0(VALU_DEP_1)
	v_sub_f32_e32 v2, v2, v8
	v_cmpx_ngt_f32_e32 0, v3
	s_xor_b32 s1, exec_lo, s1
	s_cbranch_execz .LBB11_15
; %bb.14:
	v_mul_f32_e64 v7, 0x3fb8aa3b, |v3|
	v_cmp_ngt_f32_e64 vcc_lo, 0xc2ce8ed0, |v3|
	v_mul_f32_e32 v2, 0.5, v2
	s_delay_alu instid0(VALU_DEP_3) | instskip(SKIP_1) | instid1(VALU_DEP_3)
	v_rndne_f32_e32 v8, v7
	v_fma_f32 v9, 0x3fb8aa3b, |v3|, -v7
	v_mul_f32_e64 v2, |v3|, v2
	s_delay_alu instid0(VALU_DEP_3) | instskip(NEXT) | instid1(VALU_DEP_3)
	v_sub_f32_e32 v7, v7, v8
	v_fma_f32 v9, 0x32a5705f, |v3|, v9
	v_cvt_i32_f32_e32 v8, v8
	s_delay_alu instid0(VALU_DEP_2) | instskip(NEXT) | instid1(VALU_DEP_1)
	v_add_f32_e32 v7, v7, v9
	v_exp_f32_e32 v7, v7
	s_waitcnt_depctr 0xfff
	v_ldexp_f32 v7, v7, v8
	s_delay_alu instid0(VALU_DEP_1) | instskip(SKIP_1) | instid1(VALU_DEP_2)
	v_cndmask_b32_e32 v7, 0, v7, vcc_lo
	v_cmp_nlt_f32_e64 vcc_lo, 0x42b17218, |v3|
	v_cndmask_b32_e32 v7, 0x7f800000, v7, vcc_lo
	s_delay_alu instid0(VALU_DEP_1)
	v_mul_f32_e32 v7, v7, v2
                                        ; implicit-def: $vgpr2
.LBB11_15:
	s_and_not1_saveexec_b32 s1, s1
	s_cbranch_execz .LBB11_17
; %bb.16:
	v_mul_f32_e64 v7, 0x3fb8aa3b, |v3|
	v_cmp_ngt_f32_e64 vcc_lo, 0xc2ce8ed0, |v3|
	v_mul_f32_e32 v2, -0.5, v2
	s_delay_alu instid0(VALU_DEP_3) | instskip(SKIP_1) | instid1(VALU_DEP_3)
	v_rndne_f32_e32 v8, v7
	v_fma_f32 v9, 0x3fb8aa3b, |v3|, -v7
	v_mul_f32_e64 v2, |v3|, v2
	s_delay_alu instid0(VALU_DEP_3) | instskip(NEXT) | instid1(VALU_DEP_3)
	v_sub_f32_e32 v7, v7, v8
	v_fma_f32 v9, 0x32a5705f, |v3|, v9
	v_cvt_i32_f32_e32 v8, v8
	s_delay_alu instid0(VALU_DEP_2) | instskip(NEXT) | instid1(VALU_DEP_1)
	v_add_f32_e32 v7, v7, v9
	v_exp_f32_e32 v7, v7
	s_waitcnt_depctr 0xfff
	v_ldexp_f32 v7, v7, v8
	s_delay_alu instid0(VALU_DEP_1) | instskip(SKIP_1) | instid1(VALU_DEP_2)
	v_cndmask_b32_e32 v7, 0, v7, vcc_lo
	v_cmp_nlt_f32_e64 vcc_lo, 0x42b17218, |v3|
	v_cndmask_b32_e32 v7, 0x7f800000, v7, vcc_lo
	s_delay_alu instid0(VALU_DEP_1)
	v_mul_f32_e32 v7, v7, v2
.LBB11_17:
	s_or_b32 exec_lo, exec_lo, s1
.LBB11_18:
	s_and_not1_saveexec_b32 s1, s0
	s_cbranch_execz .LBB11_24
; %bb.19:
	v_and_b32_e32 v2, 0x7fffffff, v3
	s_mov_b32 s0, 0x230aab6e
	s_delay_alu instid0(VALU_DEP_1) | instskip(SKIP_1) | instid1(VALU_DEP_2)
	v_div_scale_f32 v7, null, v2, v2, 0x42000000
	v_div_scale_f32 v2, vcc_lo, 0x42000000, v2, 0x42000000
	v_rcp_f32_e32 v8, v7
	s_waitcnt_depctr 0xfff
	v_fma_f32 v9, -v7, v8, 1.0
	s_delay_alu instid0(VALU_DEP_1) | instskip(NEXT) | instid1(VALU_DEP_1)
	v_fmac_f32_e32 v8, v9, v8
	v_mul_f32_e32 v9, v2, v8
	s_delay_alu instid0(VALU_DEP_1) | instskip(NEXT) | instid1(VALU_DEP_1)
	v_fma_f32 v11, -v7, v9, v2
	v_fmac_f32_e32 v9, v11, v8
	s_delay_alu instid0(VALU_DEP_1) | instskip(NEXT) | instid1(VALU_DEP_1)
	v_fma_f32 v2, -v7, v9, v2
	v_div_fmas_f32 v2, v2, v8, v9
	v_mul_f32_e64 v9, 0x3fb8aa3b, |v3|
	v_cmp_ngt_f32_e64 vcc_lo, 0xc2ce8ed0, |v3|
	s_delay_alu instid0(VALU_DEP_3) | instskip(NEXT) | instid1(VALU_DEP_3)
	v_div_fixup_f32 v2, v2, |v3|, 0x42000000
	v_rndne_f32_e32 v11, v9
	v_fma_f32 v12, 0x3fb8aa3b, |v3|, -v9
	s_delay_alu instid0(VALU_DEP_2) | instskip(NEXT) | instid1(VALU_DEP_2)
	v_dual_add_f32 v2, -2.0, v2 :: v_dual_sub_f32 v9, v9, v11
	v_fma_f32 v12, 0x32a5705f, |v3|, v12
	v_cvt_i32_f32_e32 v11, v11
	s_delay_alu instid0(VALU_DEP_3) | instskip(SKIP_1) | instid1(VALU_DEP_2)
	v_fmaak_f32 v7, s0, v2, 0x22a2dc57
	v_cmp_nlt_f32_e64 s0, 0x42b17218, |v3|
	v_dual_add_f32 v9, v9, v12 :: v_dual_fmaak_f32 v8, v2, v7, 0xa30aab6e
	s_delay_alu instid0(VALU_DEP_1) | instskip(NEXT) | instid1(VALU_DEP_1)
	v_exp_f32_e32 v9, v9
	v_add_f32_e32 v8, 0xa456751e, v8
	s_delay_alu instid0(VALU_DEP_1) | instskip(NEXT) | instid1(VALU_DEP_1)
	v_fma_f32 v7, v2, v8, -v7
	v_add_f32_e32 v7, 0xa4140365, v7
	s_delay_alu instid0(VALU_DEP_1) | instskip(NEXT) | instid1(VALU_DEP_1)
	v_fma_f32 v8, v2, v7, -v8
	;; [unrolled: 3-line block ×21, first 2 shown]
	v_add_f32_e32 v7, 0xbc1fed03, v7
	s_delay_alu instid0(VALU_DEP_1) | instskip(SKIP_2) | instid1(VALU_DEP_2)
	v_fma_f32 v2, v2, v7, -v8
	v_ldexp_f32 v7, v9, v11
	v_mul_f32_e64 v9, 0x4f800000, |v3|
	v_dual_add_f32 v2, 0x3f4750c6, v2 :: v_dual_cndmask_b32 v7, 0, v7
	s_delay_alu instid0(VALU_DEP_1) | instskip(NEXT) | instid1(VALU_DEP_2)
	v_sub_f32_e32 v8, v2, v8
	v_cndmask_b32_e64 v2, 0x7f800000, v7, s0
	s_mov_b32 s0, exec_lo
	s_delay_alu instid0(VALU_DEP_2)
	v_mul_f32_e32 v8, 0.5, v8
	v_cmpx_ngt_f32_e32 0, v3
	s_xor_b32 s4, exec_lo, s0
	s_cbranch_execz .LBB11_21
; %bb.20:
	v_cmp_gt_f32_e64 vcc_lo, 0xf800000, |v3|
	v_mul_f32_e32 v2, v2, v8
	s_delay_alu instid0(VALU_DEP_2) | instskip(NEXT) | instid1(VALU_DEP_1)
	v_cndmask_b32_e64 v7, |v3|, v9, vcc_lo
	v_sqrt_f32_e32 v9, v7
	s_waitcnt_depctr 0xfff
	v_add_nc_u32_e32 v11, -1, v9
	v_add_nc_u32_e32 v12, 1, v9
	s_delay_alu instid0(VALU_DEP_2) | instskip(NEXT) | instid1(VALU_DEP_2)
	v_fma_f32 v13, -v11, v9, v7
	v_fma_f32 v14, -v12, v9, v7
	s_delay_alu instid0(VALU_DEP_2) | instskip(NEXT) | instid1(VALU_DEP_1)
	v_cmp_ge_f32_e64 s0, 0, v13
	v_cndmask_b32_e64 v9, v9, v11, s0
	s_delay_alu instid0(VALU_DEP_3) | instskip(NEXT) | instid1(VALU_DEP_1)
	v_cmp_lt_f32_e64 s0, 0, v14
	v_cndmask_b32_e64 v9, v9, v12, s0
	s_delay_alu instid0(VALU_DEP_1) | instskip(NEXT) | instid1(VALU_DEP_1)
	v_mul_f32_e32 v11, 0x37800000, v9
	v_cndmask_b32_e32 v9, v9, v11, vcc_lo
	v_cmp_class_f32_e64 vcc_lo, v7, 0x260
	s_delay_alu instid0(VALU_DEP_2) | instskip(NEXT) | instid1(VALU_DEP_1)
	v_cndmask_b32_e32 v7, v9, v7, vcc_lo
	v_div_scale_f32 v8, null, v7, v7, v2
	s_delay_alu instid0(VALU_DEP_1) | instskip(SKIP_2) | instid1(VALU_DEP_1)
	v_rcp_f32_e32 v9, v8
	s_waitcnt_depctr 0xfff
	v_fma_f32 v11, -v8, v9, 1.0
	v_fmac_f32_e32 v9, v11, v9
	v_div_scale_f32 v11, vcc_lo, v2, v7, v2
	s_delay_alu instid0(VALU_DEP_1) | instskip(NEXT) | instid1(VALU_DEP_1)
	v_mul_f32_e32 v12, v11, v9
	v_fma_f32 v13, -v8, v12, v11
	s_delay_alu instid0(VALU_DEP_1) | instskip(NEXT) | instid1(VALU_DEP_1)
	v_fmac_f32_e32 v12, v13, v9
	v_fma_f32 v8, -v8, v12, v11
	s_delay_alu instid0(VALU_DEP_1) | instskip(NEXT) | instid1(VALU_DEP_1)
	v_div_fmas_f32 v8, v8, v9, v12
                                        ; implicit-def: $vgpr9
	v_div_fixup_f32 v7, v8, v7, v2
                                        ; implicit-def: $vgpr2
                                        ; implicit-def: $vgpr8
.LBB11_21:
	s_and_not1_saveexec_b32 s4, s4
	s_cbranch_execz .LBB11_23
; %bb.22:
	v_cmp_gt_f32_e64 vcc_lo, 0xf800000, |v3|
	v_mul_f32_e64 v2, v8, -v2
	s_delay_alu instid0(VALU_DEP_2) | instskip(NEXT) | instid1(VALU_DEP_1)
	v_cndmask_b32_e64 v3, |v3|, v9, vcc_lo
	v_sqrt_f32_e32 v7, v3
	s_waitcnt_depctr 0xfff
	v_add_nc_u32_e32 v9, -1, v7
	v_add_nc_u32_e32 v11, 1, v7
	s_delay_alu instid0(VALU_DEP_2) | instskip(NEXT) | instid1(VALU_DEP_2)
	v_fma_f32 v12, -v9, v7, v3
	v_fma_f32 v13, -v11, v7, v3
	s_delay_alu instid0(VALU_DEP_2) | instskip(NEXT) | instid1(VALU_DEP_1)
	v_cmp_ge_f32_e64 s0, 0, v12
	v_cndmask_b32_e64 v7, v7, v9, s0
	s_delay_alu instid0(VALU_DEP_3) | instskip(NEXT) | instid1(VALU_DEP_1)
	v_cmp_lt_f32_e64 s0, 0, v13
	v_cndmask_b32_e64 v7, v7, v11, s0
	s_delay_alu instid0(VALU_DEP_1) | instskip(NEXT) | instid1(VALU_DEP_1)
	v_mul_f32_e32 v9, 0x37800000, v7
	v_cndmask_b32_e32 v7, v7, v9, vcc_lo
	v_cmp_class_f32_e64 vcc_lo, v3, 0x260
	s_delay_alu instid0(VALU_DEP_2) | instskip(NEXT) | instid1(VALU_DEP_1)
	v_cndmask_b32_e32 v3, v7, v3, vcc_lo
	v_div_scale_f32 v7, null, v3, v3, v2
	s_delay_alu instid0(VALU_DEP_1) | instskip(SKIP_2) | instid1(VALU_DEP_1)
	v_rcp_f32_e32 v8, v7
	s_waitcnt_depctr 0xfff
	v_fma_f32 v9, -v7, v8, 1.0
	v_fmac_f32_e32 v8, v9, v8
	v_div_scale_f32 v9, vcc_lo, v2, v3, v2
	s_delay_alu instid0(VALU_DEP_1) | instskip(NEXT) | instid1(VALU_DEP_1)
	v_mul_f32_e32 v11, v9, v8
	v_fma_f32 v12, -v7, v11, v9
	s_delay_alu instid0(VALU_DEP_1) | instskip(NEXT) | instid1(VALU_DEP_1)
	v_fmac_f32_e32 v11, v12, v8
	v_fma_f32 v7, -v7, v11, v9
	s_delay_alu instid0(VALU_DEP_1) | instskip(NEXT) | instid1(VALU_DEP_1)
	v_div_fmas_f32 v7, v7, v8, v11
	v_div_fixup_f32 v7, v7, v3, v2
.LBB11_23:
	s_or_b32 exec_lo, exec_lo, s4
.LBB11_24:
	s_delay_alu instid0(SALU_CYCLE_1) | instskip(SKIP_1) | instid1(VALU_DEP_1)
	s_or_b32 exec_lo, exec_lo, s1
	v_cmp_ge_f32_e64 s0, 0x41000000, |v4|
	s_and_saveexec_b32 s1, s0
	s_delay_alu instid0(SALU_CYCLE_1)
	s_xor_b32 s0, exec_lo, s1
	s_cbranch_execz .LBB11_30
; %bb.25:
	v_fma_f32 v2, |v4|, 0.5, -2.0
	s_mov_b32 s1, 0x224cf950
	s_delay_alu instid0(VALU_DEP_1) | instid1(SALU_CYCLE_1)
	v_fmaak_f32 v3, s1, v2, 0xa3c2be86
	s_mov_b32 s1, exec_lo
	s_delay_alu instid0(VALU_DEP_1) | instskip(NEXT) | instid1(VALU_DEP_1)
	v_fmaak_f32 v8, v2, v3, 0xa24cf950
	v_add_f32_e32 v8, 0x25331f1f, v8
	s_delay_alu instid0(VALU_DEP_1) | instskip(NEXT) | instid1(VALU_DEP_1)
	v_fma_f32 v3, v2, v8, -v3
	v_add_f32_e32 v3, 0xa69f5554, v3
	s_delay_alu instid0(VALU_DEP_1) | instskip(NEXT) | instid1(VALU_DEP_1)
	v_fma_f32 v8, v2, v3, -v8
	;; [unrolled: 3-line block ×26, first 2 shown]
	v_add_f32_e32 v2, 0x3e81531c, v2
	s_delay_alu instid0(VALU_DEP_1)
	v_sub_f32_e32 v2, v2, v8
	v_cmpx_ngt_f32_e32 0, v4
	s_xor_b32 s1, exec_lo, s1
	s_cbranch_execz .LBB11_27
; %bb.26:
	v_mul_f32_e64 v3, 0x3fb8aa3b, |v4|
	v_cmp_ngt_f32_e64 vcc_lo, 0xc2ce8ed0, |v4|
	v_mul_f32_e32 v2, 0.5, v2
	s_delay_alu instid0(VALU_DEP_3) | instskip(SKIP_1) | instid1(VALU_DEP_3)
	v_rndne_f32_e32 v8, v3
	v_fma_f32 v9, 0x3fb8aa3b, |v4|, -v3
	v_mul_f32_e64 v2, |v4|, v2
	s_delay_alu instid0(VALU_DEP_3) | instskip(NEXT) | instid1(VALU_DEP_3)
	v_sub_f32_e32 v3, v3, v8
	v_fma_f32 v9, 0x32a5705f, |v4|, v9
	v_cvt_i32_f32_e32 v8, v8
	s_delay_alu instid0(VALU_DEP_2) | instskip(NEXT) | instid1(VALU_DEP_1)
	v_add_f32_e32 v3, v3, v9
	v_exp_f32_e32 v3, v3
	s_waitcnt_depctr 0xfff
	v_ldexp_f32 v3, v3, v8
	s_delay_alu instid0(VALU_DEP_1) | instskip(SKIP_1) | instid1(VALU_DEP_2)
	v_cndmask_b32_e32 v3, 0, v3, vcc_lo
	v_cmp_nlt_f32_e64 vcc_lo, 0x42b17218, |v4|
	v_cndmask_b32_e32 v3, 0x7f800000, v3, vcc_lo
	s_delay_alu instid0(VALU_DEP_1)
	v_mul_f32_e32 v8, v3, v2
                                        ; implicit-def: $vgpr2
.LBB11_27:
	s_and_not1_saveexec_b32 s1, s1
	s_cbranch_execz .LBB11_29
; %bb.28:
	v_mul_f32_e64 v3, 0x3fb8aa3b, |v4|
	v_cmp_ngt_f32_e64 vcc_lo, 0xc2ce8ed0, |v4|
	v_mul_f32_e32 v2, -0.5, v2
	s_delay_alu instid0(VALU_DEP_3) | instskip(SKIP_1) | instid1(VALU_DEP_3)
	v_rndne_f32_e32 v8, v3
	v_fma_f32 v9, 0x3fb8aa3b, |v4|, -v3
	v_mul_f32_e64 v2, |v4|, v2
	s_delay_alu instid0(VALU_DEP_3) | instskip(NEXT) | instid1(VALU_DEP_3)
	v_sub_f32_e32 v3, v3, v8
	v_fma_f32 v9, 0x32a5705f, |v4|, v9
	v_cvt_i32_f32_e32 v8, v8
	s_delay_alu instid0(VALU_DEP_2) | instskip(NEXT) | instid1(VALU_DEP_1)
	v_add_f32_e32 v3, v3, v9
	v_exp_f32_e32 v3, v3
	s_waitcnt_depctr 0xfff
	v_ldexp_f32 v3, v3, v8
	s_delay_alu instid0(VALU_DEP_1) | instskip(SKIP_1) | instid1(VALU_DEP_2)
	v_cndmask_b32_e32 v3, 0, v3, vcc_lo
	v_cmp_nlt_f32_e64 vcc_lo, 0x42b17218, |v4|
	v_cndmask_b32_e32 v3, 0x7f800000, v3, vcc_lo
	s_delay_alu instid0(VALU_DEP_1)
	v_mul_f32_e32 v8, v3, v2
.LBB11_29:
	s_or_b32 exec_lo, exec_lo, s1
.LBB11_30:
	s_and_not1_saveexec_b32 s1, s0
	s_cbranch_execz .LBB11_36
; %bb.31:
	v_and_b32_e32 v2, 0x7fffffff, v4
	s_mov_b32 s0, 0x230aab6e
	s_delay_alu instid0(VALU_DEP_1) | instskip(SKIP_1) | instid1(VALU_DEP_2)
	v_div_scale_f32 v3, null, v2, v2, 0x42000000
	v_div_scale_f32 v2, vcc_lo, 0x42000000, v2, 0x42000000
	v_rcp_f32_e32 v8, v3
	s_waitcnt_depctr 0xfff
	v_fma_f32 v9, -v3, v8, 1.0
	s_delay_alu instid0(VALU_DEP_1) | instskip(NEXT) | instid1(VALU_DEP_1)
	v_fmac_f32_e32 v8, v9, v8
	v_mul_f32_e32 v9, v2, v8
	s_delay_alu instid0(VALU_DEP_1) | instskip(NEXT) | instid1(VALU_DEP_1)
	v_fma_f32 v11, -v3, v9, v2
	v_fmac_f32_e32 v9, v11, v8
	s_delay_alu instid0(VALU_DEP_1) | instskip(NEXT) | instid1(VALU_DEP_1)
	v_fma_f32 v2, -v3, v9, v2
	v_div_fmas_f32 v2, v2, v8, v9
	v_cmp_ngt_f32_e64 vcc_lo, 0xc2ce8ed0, |v4|
	v_mul_f32_e64 v9, 0x3fb8aa3b, |v4|
	s_delay_alu instid0(VALU_DEP_3) | instskip(NEXT) | instid1(VALU_DEP_2)
	v_div_fixup_f32 v2, v2, |v4|, 0x42000000
	v_rndne_f32_e32 v11, v9
	v_fma_f32 v12, 0x3fb8aa3b, |v4|, -v9
	s_delay_alu instid0(VALU_DEP_2) | instskip(NEXT) | instid1(VALU_DEP_2)
	v_dual_add_f32 v2, -2.0, v2 :: v_dual_sub_f32 v9, v9, v11
	v_fma_f32 v12, 0x32a5705f, |v4|, v12
	v_cvt_i32_f32_e32 v11, v11
	s_delay_alu instid0(VALU_DEP_3) | instskip(SKIP_1) | instid1(VALU_DEP_2)
	v_fmaak_f32 v3, s0, v2, 0x22a2dc57
	v_cmp_nlt_f32_e64 s0, 0x42b17218, |v4|
	v_fmaak_f32 v8, v2, v3, 0xa30aab6e
	s_delay_alu instid0(VALU_DEP_1) | instskip(NEXT) | instid1(VALU_DEP_1)
	v_add_f32_e32 v8, 0xa456751e, v8
	v_fma_f32 v3, v2, v8, -v3
	s_delay_alu instid0(VALU_DEP_1) | instskip(NEXT) | instid1(VALU_DEP_1)
	v_add_f32_e32 v3, 0xa4140365, v3
	v_fma_f32 v8, v2, v3, -v8
	;; [unrolled: 3-line block ×22, first 2 shown]
	s_delay_alu instid0(VALU_DEP_1) | instskip(NEXT) | instid1(VALU_DEP_1)
	v_dual_add_f32 v9, v9, v12 :: v_dual_add_f32 v2, 0x3f4750c6, v2
	v_exp_f32_e32 v9, v9
	s_delay_alu instid0(VALU_DEP_1) | instskip(SKIP_3) | instid1(VALU_DEP_2)
	v_sub_f32_e32 v8, v2, v8
	s_waitcnt_depctr 0xfff
	v_ldexp_f32 v3, v9, v11
	v_mul_f32_e64 v9, 0x4f800000, |v4|
	v_cndmask_b32_e32 v3, 0, v3, vcc_lo
	s_delay_alu instid0(VALU_DEP_1)
	v_cndmask_b32_e64 v2, 0x7f800000, v3, s0
	v_mul_f32_e32 v3, 0.5, v8
	s_mov_b32 s0, exec_lo
	v_cmpx_ngt_f32_e32 0, v4
	s_xor_b32 s4, exec_lo, s0
	s_cbranch_execz .LBB11_33
; %bb.32:
	v_cmp_gt_f32_e64 vcc_lo, 0xf800000, |v4|
	v_mul_f32_e32 v2, v2, v3
	s_delay_alu instid0(VALU_DEP_2) | instskip(NEXT) | instid1(VALU_DEP_1)
	v_cndmask_b32_e64 v8, |v4|, v9, vcc_lo
	v_sqrt_f32_e32 v9, v8
	s_waitcnt_depctr 0xfff
	v_add_nc_u32_e32 v11, -1, v9
	v_add_nc_u32_e32 v12, 1, v9
	s_delay_alu instid0(VALU_DEP_2) | instskip(NEXT) | instid1(VALU_DEP_2)
	v_fma_f32 v13, -v11, v9, v8
	v_fma_f32 v14, -v12, v9, v8
	s_delay_alu instid0(VALU_DEP_2) | instskip(NEXT) | instid1(VALU_DEP_1)
	v_cmp_ge_f32_e64 s0, 0, v13
	v_cndmask_b32_e64 v9, v9, v11, s0
	s_delay_alu instid0(VALU_DEP_3) | instskip(NEXT) | instid1(VALU_DEP_1)
	v_cmp_lt_f32_e64 s0, 0, v14
	v_cndmask_b32_e64 v9, v9, v12, s0
	s_delay_alu instid0(VALU_DEP_1) | instskip(NEXT) | instid1(VALU_DEP_1)
	v_mul_f32_e32 v11, 0x37800000, v9
	v_cndmask_b32_e32 v9, v9, v11, vcc_lo
	v_cmp_class_f32_e64 vcc_lo, v8, 0x260
	s_delay_alu instid0(VALU_DEP_2) | instskip(NEXT) | instid1(VALU_DEP_1)
	v_cndmask_b32_e32 v3, v9, v8, vcc_lo
	v_div_scale_f32 v8, null, v3, v3, v2
	s_delay_alu instid0(VALU_DEP_1) | instskip(SKIP_2) | instid1(VALU_DEP_1)
	v_rcp_f32_e32 v9, v8
	s_waitcnt_depctr 0xfff
	v_fma_f32 v11, -v8, v9, 1.0
	v_fmac_f32_e32 v9, v11, v9
	v_div_scale_f32 v11, vcc_lo, v2, v3, v2
	s_delay_alu instid0(VALU_DEP_1) | instskip(NEXT) | instid1(VALU_DEP_1)
	v_mul_f32_e32 v12, v11, v9
	v_fma_f32 v13, -v8, v12, v11
	s_delay_alu instid0(VALU_DEP_1) | instskip(NEXT) | instid1(VALU_DEP_1)
	v_fmac_f32_e32 v12, v13, v9
	v_fma_f32 v8, -v8, v12, v11
	s_delay_alu instid0(VALU_DEP_1) | instskip(NEXT) | instid1(VALU_DEP_1)
	v_div_fmas_f32 v8, v8, v9, v12
                                        ; implicit-def: $vgpr9
	v_div_fixup_f32 v8, v8, v3, v2
                                        ; implicit-def: $vgpr2
                                        ; implicit-def: $vgpr3
.LBB11_33:
	s_and_not1_saveexec_b32 s4, s4
	s_cbranch_execz .LBB11_35
; %bb.34:
	v_cmp_gt_f32_e64 vcc_lo, 0xf800000, |v4|
	v_mul_f32_e64 v2, v3, -v2
	s_delay_alu instid0(VALU_DEP_2) | instskip(NEXT) | instid1(VALU_DEP_1)
	v_cndmask_b32_e64 v4, |v4|, v9, vcc_lo
	v_sqrt_f32_e32 v8, v4
	s_waitcnt_depctr 0xfff
	v_add_nc_u32_e32 v9, -1, v8
	v_add_nc_u32_e32 v11, 1, v8
	s_delay_alu instid0(VALU_DEP_2) | instskip(NEXT) | instid1(VALU_DEP_2)
	v_fma_f32 v12, -v9, v8, v4
	v_fma_f32 v13, -v11, v8, v4
	s_delay_alu instid0(VALU_DEP_2) | instskip(NEXT) | instid1(VALU_DEP_1)
	v_cmp_ge_f32_e64 s0, 0, v12
	v_cndmask_b32_e64 v8, v8, v9, s0
	s_delay_alu instid0(VALU_DEP_3) | instskip(NEXT) | instid1(VALU_DEP_1)
	v_cmp_lt_f32_e64 s0, 0, v13
	v_cndmask_b32_e64 v8, v8, v11, s0
	s_delay_alu instid0(VALU_DEP_1) | instskip(NEXT) | instid1(VALU_DEP_1)
	v_mul_f32_e32 v9, 0x37800000, v8
	v_cndmask_b32_e32 v8, v8, v9, vcc_lo
	v_cmp_class_f32_e64 vcc_lo, v4, 0x260
	s_delay_alu instid0(VALU_DEP_2) | instskip(NEXT) | instid1(VALU_DEP_1)
	v_cndmask_b32_e32 v3, v8, v4, vcc_lo
	v_div_scale_f32 v4, null, v3, v3, v2
	s_delay_alu instid0(VALU_DEP_1) | instskip(SKIP_2) | instid1(VALU_DEP_1)
	v_rcp_f32_e32 v8, v4
	s_waitcnt_depctr 0xfff
	v_fma_f32 v9, -v4, v8, 1.0
	v_fmac_f32_e32 v8, v9, v8
	v_div_scale_f32 v9, vcc_lo, v2, v3, v2
	s_delay_alu instid0(VALU_DEP_1) | instskip(NEXT) | instid1(VALU_DEP_1)
	v_mul_f32_e32 v11, v9, v8
	v_fma_f32 v12, -v4, v11, v9
	s_delay_alu instid0(VALU_DEP_1) | instskip(NEXT) | instid1(VALU_DEP_1)
	v_fmac_f32_e32 v11, v12, v8
	v_fma_f32 v4, -v4, v11, v9
	s_delay_alu instid0(VALU_DEP_1) | instskip(NEXT) | instid1(VALU_DEP_1)
	v_div_fmas_f32 v4, v4, v8, v11
	v_div_fixup_f32 v8, v4, v3, v2
.LBB11_35:
	s_or_b32 exec_lo, exec_lo, s4
.LBB11_36:
	s_delay_alu instid0(SALU_CYCLE_1) | instskip(SKIP_1) | instid1(VALU_DEP_1)
	s_or_b32 exec_lo, exec_lo, s1
	v_cmp_ge_f32_e64 s0, 0x41000000, |v5|
	s_and_saveexec_b32 s1, s0
	s_delay_alu instid0(SALU_CYCLE_1)
	s_xor_b32 s0, exec_lo, s1
	s_cbranch_execz .LBB11_42
; %bb.37:
	v_fma_f32 v2, |v5|, 0.5, -2.0
	s_mov_b32 s1, 0x224cf950
	s_delay_alu instid0(VALU_DEP_1) | instid1(SALU_CYCLE_1)
	v_fmaak_f32 v3, s1, v2, 0xa3c2be86
	s_mov_b32 s1, exec_lo
	s_delay_alu instid0(VALU_DEP_1) | instskip(NEXT) | instid1(VALU_DEP_1)
	v_fmaak_f32 v4, v2, v3, 0xa24cf950
	v_add_f32_e32 v4, 0x25331f1f, v4
	s_delay_alu instid0(VALU_DEP_1) | instskip(NEXT) | instid1(VALU_DEP_1)
	v_fma_f32 v3, v2, v4, -v3
	v_add_f32_e32 v3, 0xa69f5554, v3
	s_delay_alu instid0(VALU_DEP_1) | instskip(NEXT) | instid1(VALU_DEP_1)
	v_fma_f32 v4, v2, v3, -v4
	;; [unrolled: 3-line block ×26, first 2 shown]
	v_add_f32_e32 v2, 0x3e81531c, v2
	s_delay_alu instid0(VALU_DEP_1)
	v_sub_f32_e32 v2, v2, v4
	v_cmpx_ngt_f32_e32 0, v5
	s_xor_b32 s1, exec_lo, s1
	s_cbranch_execz .LBB11_39
; %bb.38:
	v_mul_f32_e64 v3, 0x3fb8aa3b, |v5|
	v_cmp_ngt_f32_e64 vcc_lo, 0xc2ce8ed0, |v5|
	v_mul_f32_e32 v2, 0.5, v2
	s_delay_alu instid0(VALU_DEP_3) | instskip(SKIP_1) | instid1(VALU_DEP_3)
	v_rndne_f32_e32 v4, v3
	v_fma_f32 v9, 0x3fb8aa3b, |v5|, -v3
	v_mul_f32_e64 v2, |v5|, v2
	s_delay_alu instid0(VALU_DEP_3) | instskip(NEXT) | instid1(VALU_DEP_3)
	v_sub_f32_e32 v3, v3, v4
	v_fma_f32 v9, 0x32a5705f, |v5|, v9
	v_cvt_i32_f32_e32 v4, v4
	s_delay_alu instid0(VALU_DEP_2) | instskip(NEXT) | instid1(VALU_DEP_1)
	v_add_f32_e32 v3, v3, v9
	v_exp_f32_e32 v3, v3
	s_waitcnt_depctr 0xfff
	v_ldexp_f32 v3, v3, v4
	s_delay_alu instid0(VALU_DEP_1) | instskip(SKIP_1) | instid1(VALU_DEP_2)
	v_cndmask_b32_e32 v3, 0, v3, vcc_lo
	v_cmp_nlt_f32_e64 vcc_lo, 0x42b17218, |v5|
	v_cndmask_b32_e32 v3, 0x7f800000, v3, vcc_lo
	s_delay_alu instid0(VALU_DEP_1)
	v_mul_f32_e32 v9, v3, v2
                                        ; implicit-def: $vgpr2_vgpr3_vgpr4_vgpr5
                                        ; implicit-def: $vgpr2
.LBB11_39:
	s_and_not1_saveexec_b32 s1, s1
	s_cbranch_execz .LBB11_41
; %bb.40:
	v_mul_f32_e64 v3, 0x3fb8aa3b, |v5|
	v_cmp_ngt_f32_e64 vcc_lo, 0xc2ce8ed0, |v5|
	v_mul_f32_e32 v2, -0.5, v2
	s_delay_alu instid0(VALU_DEP_3) | instskip(SKIP_1) | instid1(VALU_DEP_3)
	v_rndne_f32_e32 v4, v3
	v_fma_f32 v9, 0x3fb8aa3b, |v5|, -v3
	v_mul_f32_e64 v2, |v5|, v2
	s_delay_alu instid0(VALU_DEP_3) | instskip(NEXT) | instid1(VALU_DEP_3)
	v_sub_f32_e32 v3, v3, v4
	v_fma_f32 v9, 0x32a5705f, |v5|, v9
	v_cvt_i32_f32_e32 v4, v4
	s_delay_alu instid0(VALU_DEP_2) | instskip(NEXT) | instid1(VALU_DEP_1)
	v_add_f32_e32 v3, v3, v9
	v_exp_f32_e32 v3, v3
	s_waitcnt_depctr 0xfff
	v_ldexp_f32 v3, v3, v4
	s_delay_alu instid0(VALU_DEP_1) | instskip(SKIP_1) | instid1(VALU_DEP_2)
	v_cndmask_b32_e32 v3, 0, v3, vcc_lo
	v_cmp_nlt_f32_e64 vcc_lo, 0x42b17218, |v5|
	v_cndmask_b32_e32 v3, 0x7f800000, v3, vcc_lo
	s_delay_alu instid0(VALU_DEP_1)
	v_mul_f32_e32 v9, v3, v2
.LBB11_41:
	s_or_b32 exec_lo, exec_lo, s1
                                        ; implicit-def: $vgpr2_vgpr3_vgpr4_vgpr5
.LBB11_42:
	s_and_not1_saveexec_b32 s1, s0
	s_cbranch_execz .LBB11_48
; %bb.43:
	v_and_b32_e32 v2, 0x7fffffff, v5
	s_mov_b32 s0, 0x230aab6e
	s_delay_alu instid0(VALU_DEP_1) | instskip(SKIP_1) | instid1(VALU_DEP_2)
	v_div_scale_f32 v3, null, v2, v2, 0x42000000
	v_div_scale_f32 v2, vcc_lo, 0x42000000, v2, 0x42000000
	v_rcp_f32_e32 v4, v3
	s_waitcnt_depctr 0xfff
	v_fma_f32 v9, -v3, v4, 1.0
	s_delay_alu instid0(VALU_DEP_1) | instskip(NEXT) | instid1(VALU_DEP_1)
	v_fmac_f32_e32 v4, v9, v4
	v_mul_f32_e32 v9, v2, v4
	s_delay_alu instid0(VALU_DEP_1) | instskip(NEXT) | instid1(VALU_DEP_1)
	v_fma_f32 v11, -v3, v9, v2
	v_fmac_f32_e32 v9, v11, v4
	s_delay_alu instid0(VALU_DEP_1) | instskip(NEXT) | instid1(VALU_DEP_1)
	v_fma_f32 v2, -v3, v9, v2
	v_div_fmas_f32 v2, v2, v4, v9
	v_mul_f32_e64 v9, 0x3fb8aa3b, |v5|
	v_cmp_ngt_f32_e64 vcc_lo, 0xc2ce8ed0, |v5|
	s_delay_alu instid0(VALU_DEP_3) | instskip(NEXT) | instid1(VALU_DEP_3)
	v_div_fixup_f32 v2, v2, |v5|, 0x42000000
	v_rndne_f32_e32 v11, v9
	v_fma_f32 v12, 0x3fb8aa3b, |v5|, -v9
	s_delay_alu instid0(VALU_DEP_2) | instskip(NEXT) | instid1(VALU_DEP_2)
	v_dual_add_f32 v2, -2.0, v2 :: v_dual_sub_f32 v9, v9, v11
	v_fma_f32 v12, 0x32a5705f, |v5|, v12
	v_cvt_i32_f32_e32 v11, v11
	s_delay_alu instid0(VALU_DEP_3) | instskip(SKIP_1) | instid1(VALU_DEP_2)
	v_fmaak_f32 v3, s0, v2, 0x22a2dc57
	v_cmp_nlt_f32_e64 s0, 0x42b17218, |v5|
	v_dual_add_f32 v9, v9, v12 :: v_dual_fmaak_f32 v4, v2, v3, 0xa30aab6e
	s_delay_alu instid0(VALU_DEP_1) | instskip(NEXT) | instid1(VALU_DEP_1)
	v_exp_f32_e32 v9, v9
	v_add_f32_e32 v4, 0xa456751e, v4
	s_delay_alu instid0(VALU_DEP_1) | instskip(NEXT) | instid1(VALU_DEP_1)
	v_fma_f32 v3, v2, v4, -v3
	v_add_f32_e32 v3, 0xa4140365, v3
	s_delay_alu instid0(VALU_DEP_1) | instskip(NEXT) | instid1(VALU_DEP_1)
	v_fma_f32 v4, v2, v3, -v4
	;; [unrolled: 3-line block ×21, first 2 shown]
	v_add_f32_e32 v3, 0xbc1fed03, v3
	s_delay_alu instid0(VALU_DEP_1) | instskip(SKIP_1) | instid1(VALU_DEP_1)
	v_fma_f32 v2, v2, v3, -v4
	v_ldexp_f32 v3, v9, v11
	v_dual_add_f32 v2, 0x3f4750c6, v2 :: v_dual_cndmask_b32 v3, 0, v3
	s_delay_alu instid0(VALU_DEP_1) | instskip(NEXT) | instid1(VALU_DEP_2)
	v_sub_f32_e32 v4, v2, v4
	v_cndmask_b32_e64 v2, 0x7f800000, v3, s0
	s_mov_b32 s0, exec_lo
	s_delay_alu instid0(VALU_DEP_2)
	v_mul_f32_e32 v3, 0.5, v4
	v_mul_f32_e64 v4, 0x4f800000, |v5|
	v_cmpx_ngt_f32_e32 0, v5
	s_xor_b32 s4, exec_lo, s0
	s_cbranch_execz .LBB11_45
; %bb.44:
	v_cmp_gt_f32_e64 vcc_lo, 0xf800000, |v5|
	v_mul_f32_e32 v2, v2, v3
	s_delay_alu instid0(VALU_DEP_2) | instskip(NEXT) | instid1(VALU_DEP_1)
	v_cndmask_b32_e64 v4, |v5|, v4, vcc_lo
	v_sqrt_f32_e32 v5, v4
	s_waitcnt_depctr 0xfff
	v_add_nc_u32_e32 v9, -1, v5
	v_add_nc_u32_e32 v11, 1, v5
	s_delay_alu instid0(VALU_DEP_2) | instskip(NEXT) | instid1(VALU_DEP_2)
	v_fma_f32 v12, -v9, v5, v4
	v_fma_f32 v13, -v11, v5, v4
	s_delay_alu instid0(VALU_DEP_2) | instskip(NEXT) | instid1(VALU_DEP_1)
	v_cmp_ge_f32_e64 s0, 0, v12
	v_cndmask_b32_e64 v5, v5, v9, s0
	s_delay_alu instid0(VALU_DEP_3) | instskip(NEXT) | instid1(VALU_DEP_1)
	v_cmp_lt_f32_e64 s0, 0, v13
	v_cndmask_b32_e64 v5, v5, v11, s0
	s_delay_alu instid0(VALU_DEP_1) | instskip(NEXT) | instid1(VALU_DEP_1)
	v_mul_f32_e32 v9, 0x37800000, v5
	v_cndmask_b32_e32 v5, v5, v9, vcc_lo
	v_cmp_class_f32_e64 vcc_lo, v4, 0x260
	s_delay_alu instid0(VALU_DEP_2) | instskip(NEXT) | instid1(VALU_DEP_1)
	v_cndmask_b32_e32 v3, v5, v4, vcc_lo
	v_div_scale_f32 v4, null, v3, v3, v2
	s_delay_alu instid0(VALU_DEP_1) | instskip(SKIP_2) | instid1(VALU_DEP_1)
	v_rcp_f32_e32 v5, v4
	s_waitcnt_depctr 0xfff
	v_fma_f32 v9, -v4, v5, 1.0
	v_fmac_f32_e32 v5, v9, v5
	v_div_scale_f32 v9, vcc_lo, v2, v3, v2
	s_delay_alu instid0(VALU_DEP_1) | instskip(NEXT) | instid1(VALU_DEP_1)
	v_mul_f32_e32 v11, v9, v5
	v_fma_f32 v12, -v4, v11, v9
	s_delay_alu instid0(VALU_DEP_1) | instskip(NEXT) | instid1(VALU_DEP_1)
	v_fmac_f32_e32 v11, v12, v5
	v_fma_f32 v4, -v4, v11, v9
	s_delay_alu instid0(VALU_DEP_1) | instskip(NEXT) | instid1(VALU_DEP_1)
	v_div_fmas_f32 v4, v4, v5, v11
	v_div_fixup_f32 v9, v4, v3, v2
                                        ; implicit-def: $vgpr2_vgpr3_vgpr4_vgpr5
                                        ; implicit-def: $vgpr4
                                        ; implicit-def: $vgpr2
                                        ; implicit-def: $vgpr3
.LBB11_45:
	s_and_not1_saveexec_b32 s4, s4
	s_cbranch_execz .LBB11_47
; %bb.46:
	v_cmp_gt_f32_e64 vcc_lo, 0xf800000, |v5|
	v_mul_f32_e64 v2, v3, -v2
	s_delay_alu instid0(VALU_DEP_2) | instskip(NEXT) | instid1(VALU_DEP_1)
	v_cndmask_b32_e64 v4, |v5|, v4, vcc_lo
	v_sqrt_f32_e32 v5, v4
	s_waitcnt_depctr 0xfff
	v_add_nc_u32_e32 v9, -1, v5
	v_add_nc_u32_e32 v11, 1, v5
	s_delay_alu instid0(VALU_DEP_2) | instskip(NEXT) | instid1(VALU_DEP_2)
	v_fma_f32 v12, -v9, v5, v4
	v_fma_f32 v13, -v11, v5, v4
	s_delay_alu instid0(VALU_DEP_2) | instskip(NEXT) | instid1(VALU_DEP_1)
	v_cmp_ge_f32_e64 s0, 0, v12
	v_cndmask_b32_e64 v5, v5, v9, s0
	s_delay_alu instid0(VALU_DEP_3) | instskip(NEXT) | instid1(VALU_DEP_1)
	v_cmp_lt_f32_e64 s0, 0, v13
	v_cndmask_b32_e64 v5, v5, v11, s0
	s_delay_alu instid0(VALU_DEP_1) | instskip(NEXT) | instid1(VALU_DEP_1)
	v_mul_f32_e32 v9, 0x37800000, v5
	v_cndmask_b32_e32 v5, v5, v9, vcc_lo
	v_cmp_class_f32_e64 vcc_lo, v4, 0x260
	s_delay_alu instid0(VALU_DEP_2) | instskip(NEXT) | instid1(VALU_DEP_1)
	v_cndmask_b32_e32 v3, v5, v4, vcc_lo
	v_div_scale_f32 v4, null, v3, v3, v2
	s_delay_alu instid0(VALU_DEP_1) | instskip(SKIP_2) | instid1(VALU_DEP_1)
	v_rcp_f32_e32 v5, v4
	s_waitcnt_depctr 0xfff
	v_fma_f32 v9, -v4, v5, 1.0
	v_fmac_f32_e32 v5, v9, v5
	v_div_scale_f32 v9, vcc_lo, v2, v3, v2
	s_delay_alu instid0(VALU_DEP_1) | instskip(NEXT) | instid1(VALU_DEP_1)
	v_mul_f32_e32 v11, v9, v5
	v_fma_f32 v12, -v4, v11, v9
	s_delay_alu instid0(VALU_DEP_1) | instskip(NEXT) | instid1(VALU_DEP_1)
	v_fmac_f32_e32 v11, v12, v5
	v_fma_f32 v4, -v4, v11, v9
	s_delay_alu instid0(VALU_DEP_1) | instskip(NEXT) | instid1(VALU_DEP_1)
	v_div_fmas_f32 v4, v4, v5, v11
	v_div_fixup_f32 v9, v4, v3, v2
.LBB11_47:
	s_or_b32 exec_lo, exec_lo, s4
.LBB11_48:
	s_delay_alu instid0(SALU_CYCLE_1) | instskip(SKIP_2) | instid1(VALU_DEP_2)
	s_or_b32 exec_lo, exec_lo, s1
	v_add_co_u32 v0, vcc_lo, v0, s2
	v_add_co_ci_u32_e32 v1, vcc_lo, s3, v1, vcc_lo
	v_add_co_u32 v0, vcc_lo, v0, v10
	s_delay_alu instid0(VALU_DEP_2)
	v_add_co_ci_u32_e32 v1, vcc_lo, 0, v1, vcc_lo
	flat_store_b128 v[0:1], v[6:9]
	s_waitcnt lgkmcnt(0)
	s_setpc_b64 s[30:31]
.Lfunc_end11:
	.size	_ZN2at6native25elementwise_kernel_helperILb0EZZZNS0_12_GLOBAL__N_130modified_bessel_i1_kernel_cudaERNS_18TensorIteratorBaseEENKUlvE_clEvENKUlvE0_clEvEUlfE_NS0_6memory8policies10vectorizedILi4ESt5arrayIPcLm2EELi4EEEEEvT0_T1_, .Lfunc_end11-_ZN2at6native25elementwise_kernel_helperILb0EZZZNS0_12_GLOBAL__N_130modified_bessel_i1_kernel_cudaERNS_18TensorIteratorBaseEENKUlvE_clEvENKUlvE0_clEvEUlfE_NS0_6memory8policies10vectorizedILi4ESt5arrayIPcLm2EELi4EEEEEvT0_T1_
                                        ; -- End function
	.section	.AMDGPU.csdata,"",@progbits
; Function info:
; codeLenInByte = 8760
; NumSgprs: 34
; NumVgprs: 32
; ScratchSize: 0
; MemoryBound: 0
	.section	.text._ZN2at6native29vectorized_elementwise_kernelILi16EZZZNS0_12_GLOBAL__N_130modified_bessel_i1_kernel_cudaERNS_18TensorIteratorBaseEENKUlvE_clEvENKUlvE0_clEvEUlfE_St5arrayIPcLm2EEEEviT0_T1_,"axG",@progbits,_ZN2at6native29vectorized_elementwise_kernelILi16EZZZNS0_12_GLOBAL__N_130modified_bessel_i1_kernel_cudaERNS_18TensorIteratorBaseEENKUlvE_clEvENKUlvE0_clEvEUlfE_St5arrayIPcLm2EEEEviT0_T1_,comdat
	.globl	_ZN2at6native29vectorized_elementwise_kernelILi16EZZZNS0_12_GLOBAL__N_130modified_bessel_i1_kernel_cudaERNS_18TensorIteratorBaseEENKUlvE_clEvENKUlvE0_clEvEUlfE_St5arrayIPcLm2EEEEviT0_T1_ ; -- Begin function _ZN2at6native29vectorized_elementwise_kernelILi16EZZZNS0_12_GLOBAL__N_130modified_bessel_i1_kernel_cudaERNS_18TensorIteratorBaseEENKUlvE_clEvENKUlvE0_clEvEUlfE_St5arrayIPcLm2EEEEviT0_T1_
	.p2align	8
	.type	_ZN2at6native29vectorized_elementwise_kernelILi16EZZZNS0_12_GLOBAL__N_130modified_bessel_i1_kernel_cudaERNS_18TensorIteratorBaseEENKUlvE_clEvENKUlvE0_clEvEUlfE_St5arrayIPcLm2EEEEviT0_T1_,@function
_ZN2at6native29vectorized_elementwise_kernelILi16EZZZNS0_12_GLOBAL__N_130modified_bessel_i1_kernel_cudaERNS_18TensorIteratorBaseEENKUlvE_clEvENKUlvE0_clEvEUlfE_St5arrayIPcLm2EEEEviT0_T1_: ; @_ZN2at6native29vectorized_elementwise_kernelILi16EZZZNS0_12_GLOBAL__N_130modified_bessel_i1_kernel_cudaERNS_18TensorIteratorBaseEENKUlvE_clEvENKUlvE0_clEvEUlfE_St5arrayIPcLm2EEEEviT0_T1_
; %bb.0:
	s_clause 0x1
	s_load_b32 s2, s[0:1], 0x0
	s_load_b128 s[8:11], s[0:1], 0x8
	s_lshl_b32 s0, s15, 10
	v_mov_b32_e32 v31, v0
	s_mov_b32 s12, s15
	s_mov_b32 s32, 0
	s_waitcnt lgkmcnt(0)
	s_sub_i32 s5, s2, s0
	s_mov_b32 s0, -1
	s_cmpk_gt_i32 s5, 0x3ff
	s_cbranch_scc1 .LBB12_3
; %bb.1:
	s_and_not1_b32 vcc_lo, exec_lo, s0
	s_cbranch_vccz .LBB12_4
.LBB12_2:
	s_endpgm
.LBB12_3:
	v_dual_mov_b32 v0, s8 :: v_dual_mov_b32 v1, s9
	v_dual_mov_b32 v2, s10 :: v_dual_mov_b32 v3, s11
	s_getpc_b64 s[0:1]
	s_add_u32 s0, s0, _ZN2at6native25elementwise_kernel_helperILb0EZZZNS0_12_GLOBAL__N_130modified_bessel_i1_kernel_cudaERNS_18TensorIteratorBaseEENKUlvE_clEvENKUlvE0_clEvEUlfE_NS0_6memory8policies10vectorizedILi4ESt5arrayIPcLm2EELi4EEEEEvT0_T1_@rel32@lo+4
	s_addc_u32 s1, s1, _ZN2at6native25elementwise_kernel_helperILb0EZZZNS0_12_GLOBAL__N_130modified_bessel_i1_kernel_cudaERNS_18TensorIteratorBaseEENKUlvE_clEvENKUlvE0_clEvEUlfE_NS0_6memory8policies10vectorizedILi4ESt5arrayIPcLm2EELi4EEEEEvT0_T1_@rel32@hi+12
	s_delay_alu instid0(SALU_CYCLE_1)
	s_swappc_b64 s[30:31], s[0:1]
	s_cbranch_execnz .LBB12_2
.LBB12_4:
	v_dual_mov_b32 v0, s8 :: v_dual_mov_b32 v1, s9
	v_dual_mov_b32 v2, s10 :: v_dual_mov_b32 v3, s11
	v_mov_b32_e32 v4, s5
	s_getpc_b64 s[0:1]
	s_add_u32 s0, s0, _ZN2at6native25elementwise_kernel_helperILb0EZZZNS0_12_GLOBAL__N_130modified_bessel_i1_kernel_cudaERNS_18TensorIteratorBaseEENKUlvE_clEvENKUlvE0_clEvEUlfE_NS0_6memory8policies11unroll_baseILi256ESt5arrayIPcLm2EE23TrivialOffsetCalculatorILi1EjESF_NS8_15LoadWithoutCastENS8_16StoreWithoutCastELi4ELi1EEEEEvT0_T1_@rel32@lo+4
	s_addc_u32 s1, s1, _ZN2at6native25elementwise_kernel_helperILb0EZZZNS0_12_GLOBAL__N_130modified_bessel_i1_kernel_cudaERNS_18TensorIteratorBaseEENKUlvE_clEvENKUlvE0_clEvEUlfE_NS0_6memory8policies11unroll_baseILi256ESt5arrayIPcLm2EE23TrivialOffsetCalculatorILi1EjESF_NS8_15LoadWithoutCastENS8_16StoreWithoutCastELi4ELi1EEEEEvT0_T1_@rel32@hi+12
	s_delay_alu instid0(SALU_CYCLE_1)
	s_swappc_b64 s[30:31], s[0:1]
	s_endpgm
	.section	.rodata,"a",@progbits
	.p2align	6, 0x0
	.amdhsa_kernel _ZN2at6native29vectorized_elementwise_kernelILi16EZZZNS0_12_GLOBAL__N_130modified_bessel_i1_kernel_cudaERNS_18TensorIteratorBaseEENKUlvE_clEvENKUlvE0_clEvEUlfE_St5arrayIPcLm2EEEEviT0_T1_
		.amdhsa_group_segment_fixed_size 0
		.amdhsa_private_segment_fixed_size 0
		.amdhsa_kernarg_size 24
		.amdhsa_user_sgpr_count 15
		.amdhsa_user_sgpr_dispatch_ptr 0
		.amdhsa_user_sgpr_queue_ptr 0
		.amdhsa_user_sgpr_kernarg_segment_ptr 1
		.amdhsa_user_sgpr_dispatch_id 0
		.amdhsa_user_sgpr_private_segment_size 0
		.amdhsa_wavefront_size32 1
		.amdhsa_uses_dynamic_stack 0
		.amdhsa_enable_private_segment 0
		.amdhsa_system_sgpr_workgroup_id_x 1
		.amdhsa_system_sgpr_workgroup_id_y 0
		.amdhsa_system_sgpr_workgroup_id_z 0
		.amdhsa_system_sgpr_workgroup_info 0
		.amdhsa_system_vgpr_workitem_id 0
		.amdhsa_next_free_vgpr 32
		.amdhsa_next_free_sgpr 33
		.amdhsa_reserve_vcc 1
		.amdhsa_float_round_mode_32 0
		.amdhsa_float_round_mode_16_64 0
		.amdhsa_float_denorm_mode_32 3
		.amdhsa_float_denorm_mode_16_64 3
		.amdhsa_dx10_clamp 1
		.amdhsa_ieee_mode 1
		.amdhsa_fp16_overflow 0
		.amdhsa_workgroup_processor_mode 1
		.amdhsa_memory_ordered 1
		.amdhsa_forward_progress 0
		.amdhsa_shared_vgpr_count 0
		.amdhsa_exception_fp_ieee_invalid_op 0
		.amdhsa_exception_fp_denorm_src 0
		.amdhsa_exception_fp_ieee_div_zero 0
		.amdhsa_exception_fp_ieee_overflow 0
		.amdhsa_exception_fp_ieee_underflow 0
		.amdhsa_exception_fp_ieee_inexact 0
		.amdhsa_exception_int_div_zero 0
	.end_amdhsa_kernel
	.section	.text._ZN2at6native29vectorized_elementwise_kernelILi16EZZZNS0_12_GLOBAL__N_130modified_bessel_i1_kernel_cudaERNS_18TensorIteratorBaseEENKUlvE_clEvENKUlvE0_clEvEUlfE_St5arrayIPcLm2EEEEviT0_T1_,"axG",@progbits,_ZN2at6native29vectorized_elementwise_kernelILi16EZZZNS0_12_GLOBAL__N_130modified_bessel_i1_kernel_cudaERNS_18TensorIteratorBaseEENKUlvE_clEvENKUlvE0_clEvEUlfE_St5arrayIPcLm2EEEEviT0_T1_,comdat
.Lfunc_end12:
	.size	_ZN2at6native29vectorized_elementwise_kernelILi16EZZZNS0_12_GLOBAL__N_130modified_bessel_i1_kernel_cudaERNS_18TensorIteratorBaseEENKUlvE_clEvENKUlvE0_clEvEUlfE_St5arrayIPcLm2EEEEviT0_T1_, .Lfunc_end12-_ZN2at6native29vectorized_elementwise_kernelILi16EZZZNS0_12_GLOBAL__N_130modified_bessel_i1_kernel_cudaERNS_18TensorIteratorBaseEENKUlvE_clEvENKUlvE0_clEvEUlfE_St5arrayIPcLm2EEEEviT0_T1_
                                        ; -- End function
	.section	.AMDGPU.csdata,"",@progbits
; Kernel info:
; codeLenInByte = 168
; NumSgprs: 35
; NumVgprs: 32
; ScratchSize: 0
; MemoryBound: 0
; FloatMode: 240
; IeeeMode: 1
; LDSByteSize: 0 bytes/workgroup (compile time only)
; SGPRBlocks: 4
; VGPRBlocks: 3
; NumSGPRsForWavesPerEU: 35
; NumVGPRsForWavesPerEU: 32
; Occupancy: 16
; WaveLimiterHint : 0
; COMPUTE_PGM_RSRC2:SCRATCH_EN: 0
; COMPUTE_PGM_RSRC2:USER_SGPR: 15
; COMPUTE_PGM_RSRC2:TRAP_HANDLER: 0
; COMPUTE_PGM_RSRC2:TGID_X_EN: 1
; COMPUTE_PGM_RSRC2:TGID_Y_EN: 0
; COMPUTE_PGM_RSRC2:TGID_Z_EN: 0
; COMPUTE_PGM_RSRC2:TIDIG_COMP_CNT: 0
	.section	.text._ZN2at6native29vectorized_elementwise_kernelILi8EZZZNS0_12_GLOBAL__N_130modified_bessel_i1_kernel_cudaERNS_18TensorIteratorBaseEENKUlvE_clEvENKUlvE0_clEvEUlfE_St5arrayIPcLm2EEEEviT0_T1_,"axG",@progbits,_ZN2at6native29vectorized_elementwise_kernelILi8EZZZNS0_12_GLOBAL__N_130modified_bessel_i1_kernel_cudaERNS_18TensorIteratorBaseEENKUlvE_clEvENKUlvE0_clEvEUlfE_St5arrayIPcLm2EEEEviT0_T1_,comdat
	.globl	_ZN2at6native29vectorized_elementwise_kernelILi8EZZZNS0_12_GLOBAL__N_130modified_bessel_i1_kernel_cudaERNS_18TensorIteratorBaseEENKUlvE_clEvENKUlvE0_clEvEUlfE_St5arrayIPcLm2EEEEviT0_T1_ ; -- Begin function _ZN2at6native29vectorized_elementwise_kernelILi8EZZZNS0_12_GLOBAL__N_130modified_bessel_i1_kernel_cudaERNS_18TensorIteratorBaseEENKUlvE_clEvENKUlvE0_clEvEUlfE_St5arrayIPcLm2EEEEviT0_T1_
	.p2align	8
	.type	_ZN2at6native29vectorized_elementwise_kernelILi8EZZZNS0_12_GLOBAL__N_130modified_bessel_i1_kernel_cudaERNS_18TensorIteratorBaseEENKUlvE_clEvENKUlvE0_clEvEUlfE_St5arrayIPcLm2EEEEviT0_T1_,@function
_ZN2at6native29vectorized_elementwise_kernelILi8EZZZNS0_12_GLOBAL__N_130modified_bessel_i1_kernel_cudaERNS_18TensorIteratorBaseEENKUlvE_clEvENKUlvE0_clEvEUlfE_St5arrayIPcLm2EEEEviT0_T1_: ; @_ZN2at6native29vectorized_elementwise_kernelILi8EZZZNS0_12_GLOBAL__N_130modified_bessel_i1_kernel_cudaERNS_18TensorIteratorBaseEENKUlvE_clEvENKUlvE0_clEvEUlfE_St5arrayIPcLm2EEEEviT0_T1_
; %bb.0:
	s_clause 0x1
	s_load_b32 s2, s[0:1], 0x0
	s_load_b128 s[8:11], s[0:1], 0x8
	s_lshl_b32 s0, s15, 10
	v_mov_b32_e32 v31, v0
	s_mov_b32 s12, s15
	s_mov_b32 s32, 0
	s_waitcnt lgkmcnt(0)
	s_sub_i32 s5, s2, s0
	s_mov_b32 s0, -1
	s_cmpk_gt_i32 s5, 0x3ff
	s_cbranch_scc1 .LBB13_3
; %bb.1:
	s_and_not1_b32 vcc_lo, exec_lo, s0
	s_cbranch_vccz .LBB13_4
.LBB13_2:
	s_endpgm
.LBB13_3:
	v_dual_mov_b32 v0, s8 :: v_dual_mov_b32 v1, s9
	v_dual_mov_b32 v2, s10 :: v_dual_mov_b32 v3, s11
	s_getpc_b64 s[0:1]
	s_add_u32 s0, s0, _ZN2at6native25elementwise_kernel_helperILb0EZZZNS0_12_GLOBAL__N_130modified_bessel_i1_kernel_cudaERNS_18TensorIteratorBaseEENKUlvE_clEvENKUlvE0_clEvEUlfE_NS0_6memory8policies10vectorizedILi4ESt5arrayIPcLm2EELi4EEEEEvT0_T1_@rel32@lo+4
	s_addc_u32 s1, s1, _ZN2at6native25elementwise_kernel_helperILb0EZZZNS0_12_GLOBAL__N_130modified_bessel_i1_kernel_cudaERNS_18TensorIteratorBaseEENKUlvE_clEvENKUlvE0_clEvEUlfE_NS0_6memory8policies10vectorizedILi4ESt5arrayIPcLm2EELi4EEEEEvT0_T1_@rel32@hi+12
	s_delay_alu instid0(SALU_CYCLE_1)
	s_swappc_b64 s[30:31], s[0:1]
	s_cbranch_execnz .LBB13_2
.LBB13_4:
	v_dual_mov_b32 v0, s8 :: v_dual_mov_b32 v1, s9
	v_dual_mov_b32 v2, s10 :: v_dual_mov_b32 v3, s11
	v_mov_b32_e32 v4, s5
	s_getpc_b64 s[0:1]
	s_add_u32 s0, s0, _ZN2at6native25elementwise_kernel_helperILb0EZZZNS0_12_GLOBAL__N_130modified_bessel_i1_kernel_cudaERNS_18TensorIteratorBaseEENKUlvE_clEvENKUlvE0_clEvEUlfE_NS0_6memory8policies11unroll_baseILi256ESt5arrayIPcLm2EE23TrivialOffsetCalculatorILi1EjESF_NS8_15LoadWithoutCastENS8_16StoreWithoutCastELi4ELi1EEEEEvT0_T1_@rel32@lo+4
	s_addc_u32 s1, s1, _ZN2at6native25elementwise_kernel_helperILb0EZZZNS0_12_GLOBAL__N_130modified_bessel_i1_kernel_cudaERNS_18TensorIteratorBaseEENKUlvE_clEvENKUlvE0_clEvEUlfE_NS0_6memory8policies11unroll_baseILi256ESt5arrayIPcLm2EE23TrivialOffsetCalculatorILi1EjESF_NS8_15LoadWithoutCastENS8_16StoreWithoutCastELi4ELi1EEEEEvT0_T1_@rel32@hi+12
	s_delay_alu instid0(SALU_CYCLE_1)
	s_swappc_b64 s[30:31], s[0:1]
	s_endpgm
	.section	.rodata,"a",@progbits
	.p2align	6, 0x0
	.amdhsa_kernel _ZN2at6native29vectorized_elementwise_kernelILi8EZZZNS0_12_GLOBAL__N_130modified_bessel_i1_kernel_cudaERNS_18TensorIteratorBaseEENKUlvE_clEvENKUlvE0_clEvEUlfE_St5arrayIPcLm2EEEEviT0_T1_
		.amdhsa_group_segment_fixed_size 0
		.amdhsa_private_segment_fixed_size 0
		.amdhsa_kernarg_size 24
		.amdhsa_user_sgpr_count 15
		.amdhsa_user_sgpr_dispatch_ptr 0
		.amdhsa_user_sgpr_queue_ptr 0
		.amdhsa_user_sgpr_kernarg_segment_ptr 1
		.amdhsa_user_sgpr_dispatch_id 0
		.amdhsa_user_sgpr_private_segment_size 0
		.amdhsa_wavefront_size32 1
		.amdhsa_uses_dynamic_stack 0
		.amdhsa_enable_private_segment 0
		.amdhsa_system_sgpr_workgroup_id_x 1
		.amdhsa_system_sgpr_workgroup_id_y 0
		.amdhsa_system_sgpr_workgroup_id_z 0
		.amdhsa_system_sgpr_workgroup_info 0
		.amdhsa_system_vgpr_workitem_id 0
		.amdhsa_next_free_vgpr 32
		.amdhsa_next_free_sgpr 33
		.amdhsa_reserve_vcc 1
		.amdhsa_float_round_mode_32 0
		.amdhsa_float_round_mode_16_64 0
		.amdhsa_float_denorm_mode_32 3
		.amdhsa_float_denorm_mode_16_64 3
		.amdhsa_dx10_clamp 1
		.amdhsa_ieee_mode 1
		.amdhsa_fp16_overflow 0
		.amdhsa_workgroup_processor_mode 1
		.amdhsa_memory_ordered 1
		.amdhsa_forward_progress 0
		.amdhsa_shared_vgpr_count 0
		.amdhsa_exception_fp_ieee_invalid_op 0
		.amdhsa_exception_fp_denorm_src 0
		.amdhsa_exception_fp_ieee_div_zero 0
		.amdhsa_exception_fp_ieee_overflow 0
		.amdhsa_exception_fp_ieee_underflow 0
		.amdhsa_exception_fp_ieee_inexact 0
		.amdhsa_exception_int_div_zero 0
	.end_amdhsa_kernel
	.section	.text._ZN2at6native29vectorized_elementwise_kernelILi8EZZZNS0_12_GLOBAL__N_130modified_bessel_i1_kernel_cudaERNS_18TensorIteratorBaseEENKUlvE_clEvENKUlvE0_clEvEUlfE_St5arrayIPcLm2EEEEviT0_T1_,"axG",@progbits,_ZN2at6native29vectorized_elementwise_kernelILi8EZZZNS0_12_GLOBAL__N_130modified_bessel_i1_kernel_cudaERNS_18TensorIteratorBaseEENKUlvE_clEvENKUlvE0_clEvEUlfE_St5arrayIPcLm2EEEEviT0_T1_,comdat
.Lfunc_end13:
	.size	_ZN2at6native29vectorized_elementwise_kernelILi8EZZZNS0_12_GLOBAL__N_130modified_bessel_i1_kernel_cudaERNS_18TensorIteratorBaseEENKUlvE_clEvENKUlvE0_clEvEUlfE_St5arrayIPcLm2EEEEviT0_T1_, .Lfunc_end13-_ZN2at6native29vectorized_elementwise_kernelILi8EZZZNS0_12_GLOBAL__N_130modified_bessel_i1_kernel_cudaERNS_18TensorIteratorBaseEENKUlvE_clEvENKUlvE0_clEvEUlfE_St5arrayIPcLm2EEEEviT0_T1_
                                        ; -- End function
	.section	.AMDGPU.csdata,"",@progbits
; Kernel info:
; codeLenInByte = 168
; NumSgprs: 35
; NumVgprs: 32
; ScratchSize: 0
; MemoryBound: 0
; FloatMode: 240
; IeeeMode: 1
; LDSByteSize: 0 bytes/workgroup (compile time only)
; SGPRBlocks: 4
; VGPRBlocks: 3
; NumSGPRsForWavesPerEU: 35
; NumVGPRsForWavesPerEU: 32
; Occupancy: 16
; WaveLimiterHint : 0
; COMPUTE_PGM_RSRC2:SCRATCH_EN: 0
; COMPUTE_PGM_RSRC2:USER_SGPR: 15
; COMPUTE_PGM_RSRC2:TRAP_HANDLER: 0
; COMPUTE_PGM_RSRC2:TGID_X_EN: 1
; COMPUTE_PGM_RSRC2:TGID_Y_EN: 0
; COMPUTE_PGM_RSRC2:TGID_Z_EN: 0
; COMPUTE_PGM_RSRC2:TIDIG_COMP_CNT: 0
	.section	.text._ZN2at6native29vectorized_elementwise_kernelILi4EZZZNS0_12_GLOBAL__N_130modified_bessel_i1_kernel_cudaERNS_18TensorIteratorBaseEENKUlvE_clEvENKUlvE0_clEvEUlfE_St5arrayIPcLm2EEEEviT0_T1_,"axG",@progbits,_ZN2at6native29vectorized_elementwise_kernelILi4EZZZNS0_12_GLOBAL__N_130modified_bessel_i1_kernel_cudaERNS_18TensorIteratorBaseEENKUlvE_clEvENKUlvE0_clEvEUlfE_St5arrayIPcLm2EEEEviT0_T1_,comdat
	.globl	_ZN2at6native29vectorized_elementwise_kernelILi4EZZZNS0_12_GLOBAL__N_130modified_bessel_i1_kernel_cudaERNS_18TensorIteratorBaseEENKUlvE_clEvENKUlvE0_clEvEUlfE_St5arrayIPcLm2EEEEviT0_T1_ ; -- Begin function _ZN2at6native29vectorized_elementwise_kernelILi4EZZZNS0_12_GLOBAL__N_130modified_bessel_i1_kernel_cudaERNS_18TensorIteratorBaseEENKUlvE_clEvENKUlvE0_clEvEUlfE_St5arrayIPcLm2EEEEviT0_T1_
	.p2align	8
	.type	_ZN2at6native29vectorized_elementwise_kernelILi4EZZZNS0_12_GLOBAL__N_130modified_bessel_i1_kernel_cudaERNS_18TensorIteratorBaseEENKUlvE_clEvENKUlvE0_clEvEUlfE_St5arrayIPcLm2EEEEviT0_T1_,@function
_ZN2at6native29vectorized_elementwise_kernelILi4EZZZNS0_12_GLOBAL__N_130modified_bessel_i1_kernel_cudaERNS_18TensorIteratorBaseEENKUlvE_clEvENKUlvE0_clEvEUlfE_St5arrayIPcLm2EEEEviT0_T1_: ; @_ZN2at6native29vectorized_elementwise_kernelILi4EZZZNS0_12_GLOBAL__N_130modified_bessel_i1_kernel_cudaERNS_18TensorIteratorBaseEENKUlvE_clEvENKUlvE0_clEvEUlfE_St5arrayIPcLm2EEEEviT0_T1_
; %bb.0:
	s_clause 0x1
	s_load_b32 s2, s[0:1], 0x0
	s_load_b128 s[8:11], s[0:1], 0x8
	s_lshl_b32 s0, s15, 10
	v_mov_b32_e32 v31, v0
	s_mov_b32 s12, s15
	s_mov_b32 s32, 0
	s_waitcnt lgkmcnt(0)
	s_sub_i32 s5, s2, s0
	s_mov_b32 s0, -1
	s_cmpk_gt_i32 s5, 0x3ff
	s_cbranch_scc1 .LBB14_3
; %bb.1:
	s_and_not1_b32 vcc_lo, exec_lo, s0
	s_cbranch_vccz .LBB14_4
.LBB14_2:
	s_endpgm
.LBB14_3:
	v_dual_mov_b32 v0, s8 :: v_dual_mov_b32 v1, s9
	v_dual_mov_b32 v2, s10 :: v_dual_mov_b32 v3, s11
	s_getpc_b64 s[0:1]
	s_add_u32 s0, s0, _ZN2at6native25elementwise_kernel_helperILb0EZZZNS0_12_GLOBAL__N_130modified_bessel_i1_kernel_cudaERNS_18TensorIteratorBaseEENKUlvE_clEvENKUlvE0_clEvEUlfE_NS0_6memory8policies10vectorizedILi4ESt5arrayIPcLm2EELi4EEEEEvT0_T1_@rel32@lo+4
	s_addc_u32 s1, s1, _ZN2at6native25elementwise_kernel_helperILb0EZZZNS0_12_GLOBAL__N_130modified_bessel_i1_kernel_cudaERNS_18TensorIteratorBaseEENKUlvE_clEvENKUlvE0_clEvEUlfE_NS0_6memory8policies10vectorizedILi4ESt5arrayIPcLm2EELi4EEEEEvT0_T1_@rel32@hi+12
	s_delay_alu instid0(SALU_CYCLE_1)
	s_swappc_b64 s[30:31], s[0:1]
	s_cbranch_execnz .LBB14_2
.LBB14_4:
	v_dual_mov_b32 v0, s8 :: v_dual_mov_b32 v1, s9
	v_dual_mov_b32 v2, s10 :: v_dual_mov_b32 v3, s11
	v_mov_b32_e32 v4, s5
	s_getpc_b64 s[0:1]
	s_add_u32 s0, s0, _ZN2at6native25elementwise_kernel_helperILb0EZZZNS0_12_GLOBAL__N_130modified_bessel_i1_kernel_cudaERNS_18TensorIteratorBaseEENKUlvE_clEvENKUlvE0_clEvEUlfE_NS0_6memory8policies11unroll_baseILi256ESt5arrayIPcLm2EE23TrivialOffsetCalculatorILi1EjESF_NS8_15LoadWithoutCastENS8_16StoreWithoutCastELi4ELi1EEEEEvT0_T1_@rel32@lo+4
	s_addc_u32 s1, s1, _ZN2at6native25elementwise_kernel_helperILb0EZZZNS0_12_GLOBAL__N_130modified_bessel_i1_kernel_cudaERNS_18TensorIteratorBaseEENKUlvE_clEvENKUlvE0_clEvEUlfE_NS0_6memory8policies11unroll_baseILi256ESt5arrayIPcLm2EE23TrivialOffsetCalculatorILi1EjESF_NS8_15LoadWithoutCastENS8_16StoreWithoutCastELi4ELi1EEEEEvT0_T1_@rel32@hi+12
	s_delay_alu instid0(SALU_CYCLE_1)
	s_swappc_b64 s[30:31], s[0:1]
	s_endpgm
	.section	.rodata,"a",@progbits
	.p2align	6, 0x0
	.amdhsa_kernel _ZN2at6native29vectorized_elementwise_kernelILi4EZZZNS0_12_GLOBAL__N_130modified_bessel_i1_kernel_cudaERNS_18TensorIteratorBaseEENKUlvE_clEvENKUlvE0_clEvEUlfE_St5arrayIPcLm2EEEEviT0_T1_
		.amdhsa_group_segment_fixed_size 0
		.amdhsa_private_segment_fixed_size 0
		.amdhsa_kernarg_size 24
		.amdhsa_user_sgpr_count 15
		.amdhsa_user_sgpr_dispatch_ptr 0
		.amdhsa_user_sgpr_queue_ptr 0
		.amdhsa_user_sgpr_kernarg_segment_ptr 1
		.amdhsa_user_sgpr_dispatch_id 0
		.amdhsa_user_sgpr_private_segment_size 0
		.amdhsa_wavefront_size32 1
		.amdhsa_uses_dynamic_stack 0
		.amdhsa_enable_private_segment 0
		.amdhsa_system_sgpr_workgroup_id_x 1
		.amdhsa_system_sgpr_workgroup_id_y 0
		.amdhsa_system_sgpr_workgroup_id_z 0
		.amdhsa_system_sgpr_workgroup_info 0
		.amdhsa_system_vgpr_workitem_id 0
		.amdhsa_next_free_vgpr 32
		.amdhsa_next_free_sgpr 33
		.amdhsa_reserve_vcc 1
		.amdhsa_float_round_mode_32 0
		.amdhsa_float_round_mode_16_64 0
		.amdhsa_float_denorm_mode_32 3
		.amdhsa_float_denorm_mode_16_64 3
		.amdhsa_dx10_clamp 1
		.amdhsa_ieee_mode 1
		.amdhsa_fp16_overflow 0
		.amdhsa_workgroup_processor_mode 1
		.amdhsa_memory_ordered 1
		.amdhsa_forward_progress 0
		.amdhsa_shared_vgpr_count 0
		.amdhsa_exception_fp_ieee_invalid_op 0
		.amdhsa_exception_fp_denorm_src 0
		.amdhsa_exception_fp_ieee_div_zero 0
		.amdhsa_exception_fp_ieee_overflow 0
		.amdhsa_exception_fp_ieee_underflow 0
		.amdhsa_exception_fp_ieee_inexact 0
		.amdhsa_exception_int_div_zero 0
	.end_amdhsa_kernel
	.section	.text._ZN2at6native29vectorized_elementwise_kernelILi4EZZZNS0_12_GLOBAL__N_130modified_bessel_i1_kernel_cudaERNS_18TensorIteratorBaseEENKUlvE_clEvENKUlvE0_clEvEUlfE_St5arrayIPcLm2EEEEviT0_T1_,"axG",@progbits,_ZN2at6native29vectorized_elementwise_kernelILi4EZZZNS0_12_GLOBAL__N_130modified_bessel_i1_kernel_cudaERNS_18TensorIteratorBaseEENKUlvE_clEvENKUlvE0_clEvEUlfE_St5arrayIPcLm2EEEEviT0_T1_,comdat
.Lfunc_end14:
	.size	_ZN2at6native29vectorized_elementwise_kernelILi4EZZZNS0_12_GLOBAL__N_130modified_bessel_i1_kernel_cudaERNS_18TensorIteratorBaseEENKUlvE_clEvENKUlvE0_clEvEUlfE_St5arrayIPcLm2EEEEviT0_T1_, .Lfunc_end14-_ZN2at6native29vectorized_elementwise_kernelILi4EZZZNS0_12_GLOBAL__N_130modified_bessel_i1_kernel_cudaERNS_18TensorIteratorBaseEENKUlvE_clEvENKUlvE0_clEvEUlfE_St5arrayIPcLm2EEEEviT0_T1_
                                        ; -- End function
	.section	.AMDGPU.csdata,"",@progbits
; Kernel info:
; codeLenInByte = 168
; NumSgprs: 35
; NumVgprs: 32
; ScratchSize: 0
; MemoryBound: 0
; FloatMode: 240
; IeeeMode: 1
; LDSByteSize: 0 bytes/workgroup (compile time only)
; SGPRBlocks: 4
; VGPRBlocks: 3
; NumSGPRsForWavesPerEU: 35
; NumVGPRsForWavesPerEU: 32
; Occupancy: 16
; WaveLimiterHint : 0
; COMPUTE_PGM_RSRC2:SCRATCH_EN: 0
; COMPUTE_PGM_RSRC2:USER_SGPR: 15
; COMPUTE_PGM_RSRC2:TRAP_HANDLER: 0
; COMPUTE_PGM_RSRC2:TGID_X_EN: 1
; COMPUTE_PGM_RSRC2:TGID_Y_EN: 0
; COMPUTE_PGM_RSRC2:TGID_Z_EN: 0
; COMPUTE_PGM_RSRC2:TIDIG_COMP_CNT: 0
	.section	.text._ZN2at6native29vectorized_elementwise_kernelILi2EZZZNS0_12_GLOBAL__N_130modified_bessel_i1_kernel_cudaERNS_18TensorIteratorBaseEENKUlvE_clEvENKUlvE0_clEvEUlfE_St5arrayIPcLm2EEEEviT0_T1_,"axG",@progbits,_ZN2at6native29vectorized_elementwise_kernelILi2EZZZNS0_12_GLOBAL__N_130modified_bessel_i1_kernel_cudaERNS_18TensorIteratorBaseEENKUlvE_clEvENKUlvE0_clEvEUlfE_St5arrayIPcLm2EEEEviT0_T1_,comdat
	.globl	_ZN2at6native29vectorized_elementwise_kernelILi2EZZZNS0_12_GLOBAL__N_130modified_bessel_i1_kernel_cudaERNS_18TensorIteratorBaseEENKUlvE_clEvENKUlvE0_clEvEUlfE_St5arrayIPcLm2EEEEviT0_T1_ ; -- Begin function _ZN2at6native29vectorized_elementwise_kernelILi2EZZZNS0_12_GLOBAL__N_130modified_bessel_i1_kernel_cudaERNS_18TensorIteratorBaseEENKUlvE_clEvENKUlvE0_clEvEUlfE_St5arrayIPcLm2EEEEviT0_T1_
	.p2align	8
	.type	_ZN2at6native29vectorized_elementwise_kernelILi2EZZZNS0_12_GLOBAL__N_130modified_bessel_i1_kernel_cudaERNS_18TensorIteratorBaseEENKUlvE_clEvENKUlvE0_clEvEUlfE_St5arrayIPcLm2EEEEviT0_T1_,@function
_ZN2at6native29vectorized_elementwise_kernelILi2EZZZNS0_12_GLOBAL__N_130modified_bessel_i1_kernel_cudaERNS_18TensorIteratorBaseEENKUlvE_clEvENKUlvE0_clEvEUlfE_St5arrayIPcLm2EEEEviT0_T1_: ; @_ZN2at6native29vectorized_elementwise_kernelILi2EZZZNS0_12_GLOBAL__N_130modified_bessel_i1_kernel_cudaERNS_18TensorIteratorBaseEENKUlvE_clEvENKUlvE0_clEvEUlfE_St5arrayIPcLm2EEEEviT0_T1_
; %bb.0:
	s_clause 0x1
	s_load_b32 s2, s[0:1], 0x0
	s_load_b128 s[4:7], s[0:1], 0x8
	s_lshl_b32 s0, s15, 10
	s_mov_b32 s1, -1
	s_mov_b32 s32, 0
	s_waitcnt lgkmcnt(0)
	s_sub_i32 s8, s2, s0
	s_delay_alu instid0(SALU_CYCLE_1)
	s_cmpk_gt_i32 s8, 0x3ff
	s_cbranch_scc1 .LBB15_3
; %bb.1:
	s_and_b32 vcc_lo, exec_lo, s1
	s_cbranch_vccnz .LBB15_52
.LBB15_2:
	s_nop 0
	s_sendmsg sendmsg(MSG_DEALLOC_VGPRS)
	s_endpgm
.LBB15_3:
	s_ashr_i32 s1, s0, 31
	v_lshlrev_b32_e32 v7, 3, v0
	s_lshl_b64 s[2:3], s[0:1], 2
                                        ; implicit-def: $vgpr3
	s_delay_alu instid0(SALU_CYCLE_1)
	s_add_u32 s0, s6, s2
	s_addc_u32 s1, s7, s3
	s_clause 0x1
	global_load_b64 v[5:6], v7, s[0:1]
	global_load_b64 v[1:2], v7, s[0:1] offset:2048
	s_waitcnt vmcnt(1)
	v_cmp_ge_f32_e64 s0, 0x41000000, |v5|
	s_delay_alu instid0(VALU_DEP_1) | instskip(NEXT) | instid1(SALU_CYCLE_1)
	s_and_saveexec_b32 s1, s0
	s_xor_b32 s0, exec_lo, s1
	s_cbranch_execz .LBB15_9
; %bb.4:
	v_fma_f32 v3, |v5|, 0.5, -2.0
	s_mov_b32 s1, 0x224cf950
	s_delay_alu instid0(VALU_DEP_1) | instid1(SALU_CYCLE_1)
	v_fmaak_f32 v4, s1, v3, 0xa3c2be86
	s_mov_b32 s1, exec_lo
	s_delay_alu instid0(VALU_DEP_1) | instskip(NEXT) | instid1(VALU_DEP_1)
	v_fmaak_f32 v8, v3, v4, 0xa24cf950
	v_add_f32_e32 v8, 0x25331f1f, v8
	s_delay_alu instid0(VALU_DEP_1) | instskip(NEXT) | instid1(VALU_DEP_1)
	v_fma_f32 v4, v3, v8, -v4
	v_add_f32_e32 v4, 0xa69f5554, v4
	s_delay_alu instid0(VALU_DEP_1) | instskip(NEXT) | instid1(VALU_DEP_1)
	v_fma_f32 v8, v3, v4, -v8
	;; [unrolled: 3-line block ×26, first 2 shown]
	v_add_f32_e32 v3, 0x3e81531c, v3
	s_delay_alu instid0(VALU_DEP_1)
	v_sub_f32_e32 v4, v3, v8
                                        ; implicit-def: $vgpr3
	v_cmpx_ngt_f32_e32 0, v5
	s_xor_b32 s1, exec_lo, s1
	s_cbranch_execz .LBB15_6
; %bb.5:
	v_mul_f32_e64 v3, 0x3fb8aa3b, |v5|
	v_cmp_ngt_f32_e64 vcc_lo, 0xc2ce8ed0, |v5|
	v_mul_f32_e32 v4, 0.5, v4
	s_delay_alu instid0(VALU_DEP_3) | instskip(SKIP_1) | instid1(VALU_DEP_3)
	v_rndne_f32_e32 v8, v3
	v_fma_f32 v9, 0x3fb8aa3b, |v5|, -v3
	v_mul_f32_e64 v4, |v5|, v4
	s_delay_alu instid0(VALU_DEP_3) | instskip(NEXT) | instid1(VALU_DEP_3)
	v_sub_f32_e32 v3, v3, v8
	v_fma_f32 v9, 0x32a5705f, |v5|, v9
	v_cvt_i32_f32_e32 v8, v8
	s_delay_alu instid0(VALU_DEP_2) | instskip(NEXT) | instid1(VALU_DEP_1)
	v_add_f32_e32 v3, v3, v9
	v_exp_f32_e32 v3, v3
	s_waitcnt_depctr 0xfff
	v_ldexp_f32 v3, v3, v8
	s_delay_alu instid0(VALU_DEP_1) | instskip(SKIP_1) | instid1(VALU_DEP_2)
	v_cndmask_b32_e32 v3, 0, v3, vcc_lo
	v_cmp_nlt_f32_e64 vcc_lo, 0x42b17218, |v5|
	v_cndmask_b32_e32 v3, 0x7f800000, v3, vcc_lo
	s_delay_alu instid0(VALU_DEP_1)
	v_mul_f32_e32 v3, v3, v4
                                        ; implicit-def: $vgpr4
.LBB15_6:
	s_and_not1_saveexec_b32 s1, s1
	s_cbranch_execz .LBB15_8
; %bb.7:
	v_mul_f32_e64 v3, 0x3fb8aa3b, |v5|
	v_cmp_ngt_f32_e64 vcc_lo, 0xc2ce8ed0, |v5|
	v_mul_f32_e32 v4, -0.5, v4
	s_delay_alu instid0(VALU_DEP_3) | instskip(SKIP_1) | instid1(VALU_DEP_3)
	v_rndne_f32_e32 v8, v3
	v_fma_f32 v9, 0x3fb8aa3b, |v5|, -v3
	v_mul_f32_e64 v4, |v5|, v4
	s_delay_alu instid0(VALU_DEP_3) | instskip(NEXT) | instid1(VALU_DEP_3)
	v_sub_f32_e32 v3, v3, v8
	v_fma_f32 v9, 0x32a5705f, |v5|, v9
	v_cvt_i32_f32_e32 v8, v8
	s_delay_alu instid0(VALU_DEP_2) | instskip(NEXT) | instid1(VALU_DEP_1)
	v_add_f32_e32 v3, v3, v9
	v_exp_f32_e32 v3, v3
	s_waitcnt_depctr 0xfff
	v_ldexp_f32 v3, v3, v8
	s_delay_alu instid0(VALU_DEP_1) | instskip(SKIP_1) | instid1(VALU_DEP_2)
	v_cndmask_b32_e32 v3, 0, v3, vcc_lo
	v_cmp_nlt_f32_e64 vcc_lo, 0x42b17218, |v5|
	v_cndmask_b32_e32 v3, 0x7f800000, v3, vcc_lo
	s_delay_alu instid0(VALU_DEP_1)
	v_mul_f32_e32 v3, v3, v4
.LBB15_8:
	s_or_b32 exec_lo, exec_lo, s1
.LBB15_9:
	s_and_not1_saveexec_b32 s1, s0
	s_cbranch_execz .LBB15_15
; %bb.10:
	v_and_b32_e32 v3, 0x7fffffff, v5
	s_mov_b32 s0, 0x230aab6e
	s_delay_alu instid0(VALU_DEP_1) | instskip(NEXT) | instid1(VALU_DEP_1)
	v_div_scale_f32 v4, null, v3, v3, 0x42000000
	v_rcp_f32_e32 v8, v4
	s_waitcnt_depctr 0xfff
	v_fma_f32 v9, -v4, v8, 1.0
	s_delay_alu instid0(VALU_DEP_1) | instskip(SKIP_1) | instid1(VALU_DEP_1)
	v_fmac_f32_e32 v8, v9, v8
	v_div_scale_f32 v3, vcc_lo, 0x42000000, v3, 0x42000000
	v_mul_f32_e32 v9, v3, v8
	s_delay_alu instid0(VALU_DEP_1) | instskip(NEXT) | instid1(VALU_DEP_1)
	v_fma_f32 v10, -v4, v9, v3
	v_fmac_f32_e32 v9, v10, v8
	s_delay_alu instid0(VALU_DEP_1) | instskip(NEXT) | instid1(VALU_DEP_1)
	v_fma_f32 v3, -v4, v9, v3
	v_div_fmas_f32 v3, v3, v8, v9
	v_mul_f32_e64 v9, 0x3fb8aa3b, |v5|
	v_cmp_ngt_f32_e64 vcc_lo, 0xc2ce8ed0, |v5|
	s_delay_alu instid0(VALU_DEP_3) | instskip(NEXT) | instid1(VALU_DEP_3)
	v_div_fixup_f32 v3, v3, |v5|, 0x42000000
	v_rndne_f32_e32 v10, v9
	v_fma_f32 v11, 0x3fb8aa3b, |v5|, -v9
	s_delay_alu instid0(VALU_DEP_3) | instskip(NEXT) | instid1(VALU_DEP_3)
	v_add_f32_e32 v3, -2.0, v3
	v_sub_f32_e32 v9, v9, v10
	s_delay_alu instid0(VALU_DEP_3) | instskip(SKIP_1) | instid1(VALU_DEP_4)
	v_fma_f32 v11, 0x32a5705f, |v5|, v11
	v_cvt_i32_f32_e32 v10, v10
	v_fmaak_f32 v4, s0, v3, 0x22a2dc57
	v_cmp_nlt_f32_e64 s0, 0x42b17218, |v5|
	s_delay_alu instid0(VALU_DEP_2) | instskip(NEXT) | instid1(VALU_DEP_1)
	v_dual_add_f32 v9, v9, v11 :: v_dual_fmaak_f32 v8, v3, v4, 0xa30aab6e
	v_exp_f32_e32 v9, v9
	s_delay_alu instid0(VALU_DEP_1) | instskip(NEXT) | instid1(VALU_DEP_1)
	v_add_f32_e32 v8, 0xa456751e, v8
	v_fma_f32 v4, v3, v8, -v4
	s_delay_alu instid0(VALU_DEP_1) | instskip(NEXT) | instid1(VALU_DEP_1)
	v_add_f32_e32 v4, 0xa4140365, v4
	v_fma_f32 v8, v3, v4, -v8
	;; [unrolled: 3-line block ×22, first 2 shown]
	v_ldexp_f32 v4, v9, v10
	v_mul_f32_e64 v9, 0x4f800000, |v5|
	s_delay_alu instid0(VALU_DEP_2) | instskip(NEXT) | instid1(VALU_DEP_1)
	v_dual_add_f32 v3, 0x3f4750c6, v3 :: v_dual_cndmask_b32 v4, 0, v4
	v_sub_f32_e32 v3, v3, v8
	s_delay_alu instid0(VALU_DEP_2) | instskip(SKIP_1) | instid1(VALU_DEP_2)
	v_cndmask_b32_e64 v4, 0x7f800000, v4, s0
	s_mov_b32 s0, exec_lo
	v_mul_f32_e32 v8, 0.5, v3
                                        ; implicit-def: $vgpr3
	v_cmpx_ngt_f32_e32 0, v5
	s_xor_b32 s9, exec_lo, s0
	s_cbranch_execz .LBB15_12
; %bb.11:
	v_cmp_gt_f32_e64 vcc_lo, 0xf800000, |v5|
	v_mul_f32_e32 v4, v4, v8
	s_delay_alu instid0(VALU_DEP_2) | instskip(NEXT) | instid1(VALU_DEP_1)
	v_cndmask_b32_e64 v3, |v5|, v9, vcc_lo
	v_sqrt_f32_e32 v9, v3
	s_waitcnt_depctr 0xfff
	v_add_nc_u32_e32 v10, -1, v9
	v_add_nc_u32_e32 v11, 1, v9
	s_delay_alu instid0(VALU_DEP_2) | instskip(NEXT) | instid1(VALU_DEP_2)
	v_fma_f32 v12, -v10, v9, v3
	v_fma_f32 v13, -v11, v9, v3
	s_delay_alu instid0(VALU_DEP_2) | instskip(NEXT) | instid1(VALU_DEP_1)
	v_cmp_ge_f32_e64 s0, 0, v12
	v_cndmask_b32_e64 v9, v9, v10, s0
	s_delay_alu instid0(VALU_DEP_3) | instskip(NEXT) | instid1(VALU_DEP_1)
	v_cmp_lt_f32_e64 s0, 0, v13
	v_cndmask_b32_e64 v9, v9, v11, s0
	s_delay_alu instid0(VALU_DEP_1) | instskip(NEXT) | instid1(VALU_DEP_1)
	v_mul_f32_e32 v10, 0x37800000, v9
	v_cndmask_b32_e32 v9, v9, v10, vcc_lo
	v_cmp_class_f32_e64 vcc_lo, v3, 0x260
	s_delay_alu instid0(VALU_DEP_2) | instskip(NEXT) | instid1(VALU_DEP_1)
	v_cndmask_b32_e32 v3, v9, v3, vcc_lo
	v_div_scale_f32 v8, null, v3, v3, v4
	s_delay_alu instid0(VALU_DEP_1) | instskip(SKIP_2) | instid1(VALU_DEP_1)
	v_rcp_f32_e32 v9, v8
	s_waitcnt_depctr 0xfff
	v_fma_f32 v10, -v8, v9, 1.0
	v_fmac_f32_e32 v9, v10, v9
	v_div_scale_f32 v10, vcc_lo, v4, v3, v4
	s_delay_alu instid0(VALU_DEP_1) | instskip(NEXT) | instid1(VALU_DEP_1)
	v_mul_f32_e32 v11, v10, v9
	v_fma_f32 v12, -v8, v11, v10
	s_delay_alu instid0(VALU_DEP_1) | instskip(NEXT) | instid1(VALU_DEP_1)
	v_fmac_f32_e32 v11, v12, v9
	v_fma_f32 v8, -v8, v11, v10
	s_delay_alu instid0(VALU_DEP_1) | instskip(NEXT) | instid1(VALU_DEP_1)
	v_div_fmas_f32 v8, v8, v9, v11
                                        ; implicit-def: $vgpr9
	v_div_fixup_f32 v3, v8, v3, v4
                                        ; implicit-def: $vgpr4
                                        ; implicit-def: $vgpr8
.LBB15_12:
	s_and_not1_saveexec_b32 s9, s9
	s_cbranch_execz .LBB15_14
; %bb.13:
	v_cmp_gt_f32_e64 vcc_lo, 0xf800000, |v5|
	v_mul_f32_e64 v4, v8, -v4
	s_delay_alu instid0(VALU_DEP_2) | instskip(NEXT) | instid1(VALU_DEP_1)
	v_cndmask_b32_e64 v3, |v5|, v9, vcc_lo
	v_sqrt_f32_e32 v5, v3
	s_waitcnt_depctr 0xfff
	v_add_nc_u32_e32 v9, -1, v5
	v_add_nc_u32_e32 v10, 1, v5
	s_delay_alu instid0(VALU_DEP_2) | instskip(NEXT) | instid1(VALU_DEP_2)
	v_fma_f32 v11, -v9, v5, v3
	v_fma_f32 v12, -v10, v5, v3
	s_delay_alu instid0(VALU_DEP_2) | instskip(NEXT) | instid1(VALU_DEP_1)
	v_cmp_ge_f32_e64 s0, 0, v11
	v_cndmask_b32_e64 v5, v5, v9, s0
	s_delay_alu instid0(VALU_DEP_3) | instskip(NEXT) | instid1(VALU_DEP_1)
	v_cmp_lt_f32_e64 s0, 0, v12
	v_cndmask_b32_e64 v5, v5, v10, s0
	s_delay_alu instid0(VALU_DEP_1) | instskip(NEXT) | instid1(VALU_DEP_1)
	v_mul_f32_e32 v9, 0x37800000, v5
	v_cndmask_b32_e32 v5, v5, v9, vcc_lo
	v_cmp_class_f32_e64 vcc_lo, v3, 0x260
	s_delay_alu instid0(VALU_DEP_2) | instskip(NEXT) | instid1(VALU_DEP_1)
	v_cndmask_b32_e32 v3, v5, v3, vcc_lo
	v_div_scale_f32 v5, null, v3, v3, v4
	s_delay_alu instid0(VALU_DEP_1) | instskip(SKIP_2) | instid1(VALU_DEP_1)
	v_rcp_f32_e32 v8, v5
	s_waitcnt_depctr 0xfff
	v_fma_f32 v9, -v5, v8, 1.0
	v_fmac_f32_e32 v8, v9, v8
	v_div_scale_f32 v9, vcc_lo, v4, v3, v4
	s_delay_alu instid0(VALU_DEP_1) | instskip(NEXT) | instid1(VALU_DEP_1)
	v_mul_f32_e32 v10, v9, v8
	v_fma_f32 v11, -v5, v10, v9
	s_delay_alu instid0(VALU_DEP_1) | instskip(NEXT) | instid1(VALU_DEP_1)
	v_fmac_f32_e32 v10, v11, v8
	v_fma_f32 v5, -v5, v10, v9
	s_delay_alu instid0(VALU_DEP_1) | instskip(NEXT) | instid1(VALU_DEP_1)
	v_div_fmas_f32 v5, v5, v8, v10
	v_div_fixup_f32 v3, v5, v3, v4
.LBB15_14:
	s_or_b32 exec_lo, exec_lo, s9
.LBB15_15:
	s_delay_alu instid0(SALU_CYCLE_1) | instskip(SKIP_1) | instid1(VALU_DEP_1)
	s_or_b32 exec_lo, exec_lo, s1
	v_cmp_ge_f32_e64 s0, 0x41000000, |v6|
	s_and_saveexec_b32 s1, s0
	s_delay_alu instid0(SALU_CYCLE_1)
	s_xor_b32 s0, exec_lo, s1
	s_cbranch_execz .LBB15_21
; %bb.16:
	v_fma_f32 v4, |v6|, 0.5, -2.0
	s_mov_b32 s1, 0x224cf950
	s_delay_alu instid0(VALU_DEP_1) | instid1(SALU_CYCLE_1)
	v_fmaak_f32 v5, s1, v4, 0xa3c2be86
	s_mov_b32 s1, exec_lo
	s_delay_alu instid0(VALU_DEP_1) | instskip(NEXT) | instid1(VALU_DEP_1)
	v_fmaak_f32 v8, v4, v5, 0xa24cf950
	v_add_f32_e32 v8, 0x25331f1f, v8
	s_delay_alu instid0(VALU_DEP_1) | instskip(NEXT) | instid1(VALU_DEP_1)
	v_fma_f32 v5, v4, v8, -v5
	v_add_f32_e32 v5, 0xa69f5554, v5
	s_delay_alu instid0(VALU_DEP_1) | instskip(NEXT) | instid1(VALU_DEP_1)
	v_fma_f32 v8, v4, v5, -v8
	;; [unrolled: 3-line block ×26, first 2 shown]
	v_add_f32_e32 v4, 0x3e81531c, v4
	s_delay_alu instid0(VALU_DEP_1)
	v_sub_f32_e32 v5, v4, v8
	v_cmpx_ngt_f32_e32 0, v6
	s_xor_b32 s1, exec_lo, s1
	s_cbranch_execz .LBB15_18
; %bb.17:
	v_mul_f32_e64 v4, 0x3fb8aa3b, |v6|
	v_cmp_ngt_f32_e64 vcc_lo, 0xc2ce8ed0, |v6|
	v_mul_f32_e32 v5, 0.5, v5
	s_delay_alu instid0(VALU_DEP_3) | instskip(SKIP_1) | instid1(VALU_DEP_3)
	v_rndne_f32_e32 v8, v4
	v_fma_f32 v9, 0x3fb8aa3b, |v6|, -v4
	v_mul_f32_e64 v5, |v6|, v5
	s_delay_alu instid0(VALU_DEP_3) | instskip(NEXT) | instid1(VALU_DEP_3)
	v_sub_f32_e32 v4, v4, v8
	v_fma_f32 v9, 0x32a5705f, |v6|, v9
	v_cvt_i32_f32_e32 v8, v8
	s_delay_alu instid0(VALU_DEP_2) | instskip(NEXT) | instid1(VALU_DEP_1)
	v_add_f32_e32 v4, v4, v9
	v_exp_f32_e32 v4, v4
	s_waitcnt_depctr 0xfff
	v_ldexp_f32 v4, v4, v8
	s_delay_alu instid0(VALU_DEP_1) | instskip(SKIP_1) | instid1(VALU_DEP_2)
	v_cndmask_b32_e32 v4, 0, v4, vcc_lo
	v_cmp_nlt_f32_e64 vcc_lo, 0x42b17218, |v6|
	v_cndmask_b32_e32 v4, 0x7f800000, v4, vcc_lo
	s_delay_alu instid0(VALU_DEP_1)
	v_mul_f32_e32 v4, v4, v5
                                        ; implicit-def: $vgpr5_vgpr6
                                        ; implicit-def: $vgpr5
.LBB15_18:
	s_and_not1_saveexec_b32 s1, s1
	s_cbranch_execz .LBB15_20
; %bb.19:
	v_mul_f32_e64 v4, 0x3fb8aa3b, |v6|
	v_cmp_ngt_f32_e64 vcc_lo, 0xc2ce8ed0, |v6|
	v_mul_f32_e32 v5, -0.5, v5
	s_delay_alu instid0(VALU_DEP_3) | instskip(SKIP_1) | instid1(VALU_DEP_3)
	v_rndne_f32_e32 v8, v4
	v_fma_f32 v9, 0x3fb8aa3b, |v6|, -v4
	v_mul_f32_e64 v5, |v6|, v5
	s_delay_alu instid0(VALU_DEP_3) | instskip(NEXT) | instid1(VALU_DEP_3)
	v_sub_f32_e32 v4, v4, v8
	v_fma_f32 v9, 0x32a5705f, |v6|, v9
	v_cvt_i32_f32_e32 v8, v8
	s_delay_alu instid0(VALU_DEP_2) | instskip(NEXT) | instid1(VALU_DEP_1)
	v_add_f32_e32 v4, v4, v9
	v_exp_f32_e32 v4, v4
	s_waitcnt_depctr 0xfff
	v_ldexp_f32 v4, v4, v8
	s_delay_alu instid0(VALU_DEP_1) | instskip(SKIP_1) | instid1(VALU_DEP_2)
	v_cndmask_b32_e32 v4, 0, v4, vcc_lo
	v_cmp_nlt_f32_e64 vcc_lo, 0x42b17218, |v6|
	v_cndmask_b32_e32 v4, 0x7f800000, v4, vcc_lo
	s_delay_alu instid0(VALU_DEP_1)
	v_mul_f32_e32 v4, v4, v5
.LBB15_20:
	s_or_b32 exec_lo, exec_lo, s1
                                        ; implicit-def: $vgpr5_vgpr6
.LBB15_21:
	s_and_not1_saveexec_b32 s1, s0
	s_cbranch_execz .LBB15_27
; %bb.22:
	v_and_b32_e32 v4, 0x7fffffff, v6
	s_mov_b32 s0, 0x230aab6e
	s_delay_alu instid0(VALU_DEP_1) | instskip(SKIP_1) | instid1(VALU_DEP_2)
	v_div_scale_f32 v5, null, v4, v4, 0x42000000
	v_div_scale_f32 v4, vcc_lo, 0x42000000, v4, 0x42000000
	v_rcp_f32_e32 v8, v5
	s_waitcnt_depctr 0xfff
	v_fma_f32 v9, -v5, v8, 1.0
	s_delay_alu instid0(VALU_DEP_1) | instskip(NEXT) | instid1(VALU_DEP_1)
	v_fmac_f32_e32 v8, v9, v8
	v_mul_f32_e32 v9, v4, v8
	s_delay_alu instid0(VALU_DEP_1) | instskip(NEXT) | instid1(VALU_DEP_1)
	v_fma_f32 v10, -v5, v9, v4
	v_fmac_f32_e32 v9, v10, v8
	s_delay_alu instid0(VALU_DEP_1) | instskip(NEXT) | instid1(VALU_DEP_1)
	v_fma_f32 v4, -v5, v9, v4
	v_div_fmas_f32 v4, v4, v8, v9
	v_mul_f32_e64 v9, 0x3fb8aa3b, |v6|
	v_cmp_ngt_f32_e64 vcc_lo, 0xc2ce8ed0, |v6|
	s_delay_alu instid0(VALU_DEP_3) | instskip(NEXT) | instid1(VALU_DEP_3)
	v_div_fixup_f32 v4, v4, |v6|, 0x42000000
	v_rndne_f32_e32 v10, v9
	v_fma_f32 v11, 0x3fb8aa3b, |v6|, -v9
	s_delay_alu instid0(VALU_DEP_2) | instskip(NEXT) | instid1(VALU_DEP_2)
	v_dual_add_f32 v4, -2.0, v4 :: v_dual_sub_f32 v9, v9, v10
	v_fma_f32 v11, 0x32a5705f, |v6|, v11
	v_cvt_i32_f32_e32 v10, v10
	s_delay_alu instid0(VALU_DEP_3) | instskip(SKIP_1) | instid1(VALU_DEP_2)
	v_fmaak_f32 v5, s0, v4, 0x22a2dc57
	v_cmp_nlt_f32_e64 s0, 0x42b17218, |v6|
	v_dual_add_f32 v9, v9, v11 :: v_dual_fmaak_f32 v8, v4, v5, 0xa30aab6e
	s_delay_alu instid0(VALU_DEP_1) | instskip(NEXT) | instid1(VALU_DEP_1)
	v_exp_f32_e32 v9, v9
	v_add_f32_e32 v8, 0xa456751e, v8
	s_delay_alu instid0(VALU_DEP_1) | instskip(NEXT) | instid1(VALU_DEP_1)
	v_fma_f32 v5, v4, v8, -v5
	v_add_f32_e32 v5, 0xa4140365, v5
	s_delay_alu instid0(VALU_DEP_1) | instskip(NEXT) | instid1(VALU_DEP_1)
	v_fma_f32 v8, v4, v5, -v8
	;; [unrolled: 3-line block ×21, first 2 shown]
	v_add_f32_e32 v5, 0xbc1fed03, v5
	s_delay_alu instid0(VALU_DEP_1) | instskip(SKIP_2) | instid1(VALU_DEP_2)
	v_fma_f32 v4, v4, v5, -v8
	v_ldexp_f32 v5, v9, v10
	v_mul_f32_e64 v9, 0x4f800000, |v6|
	v_dual_add_f32 v4, 0x3f4750c6, v4 :: v_dual_cndmask_b32 v5, 0, v5
	s_delay_alu instid0(VALU_DEP_1) | instskip(NEXT) | instid1(VALU_DEP_2)
	v_sub_f32_e32 v4, v4, v8
	v_cndmask_b32_e64 v5, 0x7f800000, v5, s0
	s_mov_b32 s0, exec_lo
	s_delay_alu instid0(VALU_DEP_2)
	v_mul_f32_e32 v8, 0.5, v4
	v_cmpx_ngt_f32_e32 0, v6
	s_xor_b32 s9, exec_lo, s0
	s_cbranch_execz .LBB15_24
; %bb.23:
	v_cmp_gt_f32_e64 vcc_lo, 0xf800000, |v6|
	v_mul_f32_e32 v5, v5, v8
	s_delay_alu instid0(VALU_DEP_2) | instskip(NEXT) | instid1(VALU_DEP_1)
	v_cndmask_b32_e64 v4, |v6|, v9, vcc_lo
	v_sqrt_f32_e32 v6, v4
	s_waitcnt_depctr 0xfff
	v_add_nc_u32_e32 v9, -1, v6
	v_add_nc_u32_e32 v10, 1, v6
	s_delay_alu instid0(VALU_DEP_2) | instskip(NEXT) | instid1(VALU_DEP_2)
	v_fma_f32 v11, -v9, v6, v4
	v_fma_f32 v12, -v10, v6, v4
	s_delay_alu instid0(VALU_DEP_2) | instskip(NEXT) | instid1(VALU_DEP_1)
	v_cmp_ge_f32_e64 s0, 0, v11
	v_cndmask_b32_e64 v6, v6, v9, s0
	s_delay_alu instid0(VALU_DEP_3) | instskip(NEXT) | instid1(VALU_DEP_1)
	v_cmp_lt_f32_e64 s0, 0, v12
	v_cndmask_b32_e64 v6, v6, v10, s0
	s_delay_alu instid0(VALU_DEP_1) | instskip(NEXT) | instid1(VALU_DEP_1)
	v_mul_f32_e32 v9, 0x37800000, v6
	v_cndmask_b32_e32 v6, v6, v9, vcc_lo
	v_cmp_class_f32_e64 vcc_lo, v4, 0x260
	s_delay_alu instid0(VALU_DEP_2) | instskip(NEXT) | instid1(VALU_DEP_1)
	v_cndmask_b32_e32 v4, v6, v4, vcc_lo
	v_div_scale_f32 v6, null, v4, v4, v5
	s_delay_alu instid0(VALU_DEP_1) | instskip(SKIP_2) | instid1(VALU_DEP_1)
	v_rcp_f32_e32 v8, v6
	s_waitcnt_depctr 0xfff
	v_fma_f32 v9, -v6, v8, 1.0
	v_fmac_f32_e32 v8, v9, v8
	v_div_scale_f32 v9, vcc_lo, v5, v4, v5
	s_delay_alu instid0(VALU_DEP_1) | instskip(NEXT) | instid1(VALU_DEP_1)
	v_mul_f32_e32 v10, v9, v8
	v_fma_f32 v11, -v6, v10, v9
	s_delay_alu instid0(VALU_DEP_1) | instskip(NEXT) | instid1(VALU_DEP_1)
	v_fmac_f32_e32 v10, v11, v8
	v_fma_f32 v6, -v6, v10, v9
                                        ; implicit-def: $vgpr9
	s_delay_alu instid0(VALU_DEP_1) | instskip(NEXT) | instid1(VALU_DEP_1)
	v_div_fmas_f32 v6, v6, v8, v10
                                        ; implicit-def: $vgpr8
	v_div_fixup_f32 v4, v6, v4, v5
                                        ; implicit-def: $vgpr5_vgpr6
                                        ; implicit-def: $vgpr5
.LBB15_24:
	s_and_not1_saveexec_b32 s9, s9
	s_cbranch_execz .LBB15_26
; %bb.25:
	v_cmp_gt_f32_e64 vcc_lo, 0xf800000, |v6|
	v_mul_f32_e64 v5, v8, -v5
	s_delay_alu instid0(VALU_DEP_2) | instskip(NEXT) | instid1(VALU_DEP_1)
	v_cndmask_b32_e64 v4, |v6|, v9, vcc_lo
	v_sqrt_f32_e32 v6, v4
	s_waitcnt_depctr 0xfff
	v_add_nc_u32_e32 v9, -1, v6
	v_add_nc_u32_e32 v10, 1, v6
	s_delay_alu instid0(VALU_DEP_2) | instskip(NEXT) | instid1(VALU_DEP_2)
	v_fma_f32 v11, -v9, v6, v4
	v_fma_f32 v12, -v10, v6, v4
	s_delay_alu instid0(VALU_DEP_2) | instskip(NEXT) | instid1(VALU_DEP_1)
	v_cmp_ge_f32_e64 s0, 0, v11
	v_cndmask_b32_e64 v6, v6, v9, s0
	s_delay_alu instid0(VALU_DEP_3) | instskip(NEXT) | instid1(VALU_DEP_1)
	v_cmp_lt_f32_e64 s0, 0, v12
	v_cndmask_b32_e64 v6, v6, v10, s0
	s_delay_alu instid0(VALU_DEP_1) | instskip(NEXT) | instid1(VALU_DEP_1)
	v_mul_f32_e32 v9, 0x37800000, v6
	v_cndmask_b32_e32 v6, v6, v9, vcc_lo
	v_cmp_class_f32_e64 vcc_lo, v4, 0x260
	s_delay_alu instid0(VALU_DEP_2) | instskip(NEXT) | instid1(VALU_DEP_1)
	v_cndmask_b32_e32 v4, v6, v4, vcc_lo
	v_div_scale_f32 v6, null, v4, v4, v5
	s_delay_alu instid0(VALU_DEP_1) | instskip(SKIP_2) | instid1(VALU_DEP_1)
	v_rcp_f32_e32 v8, v6
	s_waitcnt_depctr 0xfff
	v_fma_f32 v9, -v6, v8, 1.0
	v_fmac_f32_e32 v8, v9, v8
	v_div_scale_f32 v9, vcc_lo, v5, v4, v5
	s_delay_alu instid0(VALU_DEP_1) | instskip(NEXT) | instid1(VALU_DEP_1)
	v_mul_f32_e32 v10, v9, v8
	v_fma_f32 v11, -v6, v10, v9
	s_delay_alu instid0(VALU_DEP_1) | instskip(NEXT) | instid1(VALU_DEP_1)
	v_fmac_f32_e32 v10, v11, v8
	v_fma_f32 v6, -v6, v10, v9
	s_delay_alu instid0(VALU_DEP_1) | instskip(NEXT) | instid1(VALU_DEP_1)
	v_div_fmas_f32 v6, v6, v8, v10
	v_div_fixup_f32 v4, v6, v4, v5
.LBB15_26:
	s_or_b32 exec_lo, exec_lo, s9
.LBB15_27:
	s_delay_alu instid0(SALU_CYCLE_1) | instskip(SKIP_2) | instid1(VALU_DEP_1)
	s_or_b32 exec_lo, exec_lo, s1
	s_waitcnt vmcnt(0)
	v_cmp_ge_f32_e64 s0, 0x41000000, |v1|
                                        ; implicit-def: $vgpr5
	s_and_saveexec_b32 s1, s0
	s_delay_alu instid0(SALU_CYCLE_1)
	s_xor_b32 s0, exec_lo, s1
	s_cbranch_execz .LBB15_33
; %bb.28:
	v_fma_f32 v5, |v1|, 0.5, -2.0
	s_mov_b32 s1, 0x224cf950
	s_delay_alu instid0(VALU_DEP_1) | instid1(SALU_CYCLE_1)
	v_fmaak_f32 v6, s1, v5, 0xa3c2be86
	s_mov_b32 s1, exec_lo
	s_delay_alu instid0(VALU_DEP_1) | instskip(NEXT) | instid1(VALU_DEP_1)
	v_fmaak_f32 v8, v5, v6, 0xa24cf950
	v_add_f32_e32 v8, 0x25331f1f, v8
	s_delay_alu instid0(VALU_DEP_1) | instskip(NEXT) | instid1(VALU_DEP_1)
	v_fma_f32 v6, v5, v8, -v6
	v_add_f32_e32 v6, 0xa69f5554, v6
	s_delay_alu instid0(VALU_DEP_1) | instskip(NEXT) | instid1(VALU_DEP_1)
	v_fma_f32 v8, v5, v6, -v8
	v_add_f32_e32 v8, 0x2808ebf8, v8
	s_delay_alu instid0(VALU_DEP_1) | instskip(NEXT) | instid1(VALU_DEP_1)
	v_fma_f32 v6, v5, v8, -v6
	v_add_f32_e32 v6, 0xa9631471, v6
	s_delay_alu instid0(VALU_DEP_1) | instskip(NEXT) | instid1(VALU_DEP_1)
	v_fma_f32 v8, v5, v6, -v8
	v_add_f32_e32 v8, 0x2ab57bc2, v8
	s_delay_alu instid0(VALU_DEP_1) | instskip(NEXT) | instid1(VALU_DEP_1)
	v_fma_f32 v6, v5, v8, -v6
	v_add_f32_e32 v6, 0xac0b9c1b, v6
	s_delay_alu instid0(VALU_DEP_1) | instskip(NEXT) | instid1(VALU_DEP_1)
	v_fma_f32 v8, v5, v6, -v8
	v_add_f32_e32 v8, 0x2d4e7716, v8
	s_delay_alu instid0(VALU_DEP_1) | instskip(NEXT) | instid1(VALU_DEP_1)
	v_fma_f32 v6, v5, v8, -v6
	v_add_f32_e32 v6, 0xae92881d, v6
	s_delay_alu instid0(VALU_DEP_1) | instskip(NEXT) | instid1(VALU_DEP_1)
	v_fma_f32 v8, v5, v6, -v8
	v_add_f32_e32 v8, 0x2fc751a6, v8
	s_delay_alu instid0(VALU_DEP_1) | instskip(NEXT) | instid1(VALU_DEP_1)
	v_fma_f32 v6, v5, v8, -v6
	v_add_f32_e32 v6, 0xb101b0d9, v6
	s_delay_alu instid0(VALU_DEP_1) | instskip(NEXT) | instid1(VALU_DEP_1)
	v_fma_f32 v8, v5, v6, -v8
	v_add_f32_e32 v8, 0x32212c70, v8
	s_delay_alu instid0(VALU_DEP_1) | instskip(NEXT) | instid1(VALU_DEP_1)
	v_fma_f32 v6, v5, v8, -v6
	v_add_f32_e32 v6, 0xb33ee9f1, v6
	s_delay_alu instid0(VALU_DEP_1) | instskip(NEXT) | instid1(VALU_DEP_1)
	v_fma_f32 v8, v5, v6, -v8
	v_add_f32_e32 v8, 0x34571a26, v8
	s_delay_alu instid0(VALU_DEP_1) | instskip(NEXT) | instid1(VALU_DEP_1)
	v_fma_f32 v6, v5, v8, -v6
	v_add_f32_e32 v6, 0xb56603cc, v6
	s_delay_alu instid0(VALU_DEP_1) | instskip(NEXT) | instid1(VALU_DEP_1)
	v_fma_f32 v8, v5, v6, -v8
	v_add_f32_e32 v8, 0x3668e277, v8
	s_delay_alu instid0(VALU_DEP_1) | instskip(NEXT) | instid1(VALU_DEP_1)
	v_fma_f32 v6, v5, v8, -v6
	v_add_f32_e32 v6, 0xb75eafce, v6
	s_delay_alu instid0(VALU_DEP_1) | instskip(NEXT) | instid1(VALU_DEP_1)
	v_fma_f32 v8, v5, v6, -v8
	v_add_f32_e32 v8, 0x38488daa, v8
	s_delay_alu instid0(VALU_DEP_1) | instskip(NEXT) | instid1(VALU_DEP_1)
	v_fma_f32 v6, v5, v8, -v6
	v_add_f32_e32 v6, 0xb9299e57, v6
	s_delay_alu instid0(VALU_DEP_1) | instskip(NEXT) | instid1(VALU_DEP_1)
	v_fma_f32 v8, v5, v6, -v8
	v_add_f32_e32 v8, 0x3a064aee, v8
	s_delay_alu instid0(VALU_DEP_1) | instskip(NEXT) | instid1(VALU_DEP_1)
	v_fma_f32 v6, v5, v8, -v6
	v_add_f32_e32 v6, 0xbac66310, v6
	s_delay_alu instid0(VALU_DEP_1) | instskip(NEXT) | instid1(VALU_DEP_1)
	v_fma_f32 v8, v5, v6, -v8
	v_add_f32_e32 v8, 0x3b88329a, v8
	s_delay_alu instid0(VALU_DEP_1) | instskip(NEXT) | instid1(VALU_DEP_1)
	v_fma_f32 v6, v5, v8, -v6
	v_add_f32_e32 v6, 0xbc2d14fc, v6
	s_delay_alu instid0(VALU_DEP_1) | instskip(NEXT) | instid1(VALU_DEP_1)
	v_fma_f32 v8, v5, v6, -v8
	v_add_f32_e32 v8, 0x3cca8f1f, v8
	s_delay_alu instid0(VALU_DEP_1) | instskip(NEXT) | instid1(VALU_DEP_1)
	v_fma_f32 v6, v5, v8, -v6
	v_add_f32_e32 v6, 0xbd58dde3, v6
	s_delay_alu instid0(VALU_DEP_1) | instskip(NEXT) | instid1(VALU_DEP_1)
	v_fma_f32 v8, v5, v6, -v8
	v_add_f32_e32 v8, 0x3dd236d7, v8
	s_delay_alu instid0(VALU_DEP_1) | instskip(NEXT) | instid1(VALU_DEP_1)
	v_fma_f32 v6, v5, v8, -v6
	v_add_f32_e32 v6, 0xbe34a688, v6
	s_delay_alu instid0(VALU_DEP_1) | instskip(NEXT) | instid1(VALU_DEP_1)
	v_fma_f32 v5, v5, v6, -v8
	v_add_f32_e32 v5, 0x3e81531c, v5
	s_delay_alu instid0(VALU_DEP_1)
	v_sub_f32_e32 v6, v5, v8
                                        ; implicit-def: $vgpr5
	v_cmpx_ngt_f32_e32 0, v1
	s_xor_b32 s1, exec_lo, s1
	s_cbranch_execz .LBB15_30
; %bb.29:
	v_mul_f32_e64 v5, 0x3fb8aa3b, |v1|
	v_cmp_ngt_f32_e64 vcc_lo, 0xc2ce8ed0, |v1|
	v_mul_f32_e32 v6, 0.5, v6
	s_delay_alu instid0(VALU_DEP_3) | instskip(SKIP_1) | instid1(VALU_DEP_3)
	v_rndne_f32_e32 v8, v5
	v_fma_f32 v9, 0x3fb8aa3b, |v1|, -v5
	v_mul_f32_e64 v6, |v1|, v6
	s_delay_alu instid0(VALU_DEP_3) | instskip(NEXT) | instid1(VALU_DEP_3)
	v_sub_f32_e32 v5, v5, v8
	v_fma_f32 v9, 0x32a5705f, |v1|, v9
	v_cvt_i32_f32_e32 v8, v8
	s_delay_alu instid0(VALU_DEP_2) | instskip(NEXT) | instid1(VALU_DEP_1)
	v_add_f32_e32 v5, v5, v9
	v_exp_f32_e32 v5, v5
	s_waitcnt_depctr 0xfff
	v_ldexp_f32 v5, v5, v8
	s_delay_alu instid0(VALU_DEP_1) | instskip(SKIP_1) | instid1(VALU_DEP_2)
	v_cndmask_b32_e32 v5, 0, v5, vcc_lo
	v_cmp_nlt_f32_e64 vcc_lo, 0x42b17218, |v1|
	v_cndmask_b32_e32 v5, 0x7f800000, v5, vcc_lo
	s_delay_alu instid0(VALU_DEP_1)
	v_mul_f32_e32 v5, v5, v6
                                        ; implicit-def: $vgpr6
.LBB15_30:
	s_and_not1_saveexec_b32 s1, s1
	s_cbranch_execz .LBB15_32
; %bb.31:
	v_mul_f32_e64 v5, 0x3fb8aa3b, |v1|
	v_cmp_ngt_f32_e64 vcc_lo, 0xc2ce8ed0, |v1|
	v_mul_f32_e32 v6, -0.5, v6
	s_delay_alu instid0(VALU_DEP_3) | instskip(SKIP_1) | instid1(VALU_DEP_3)
	v_rndne_f32_e32 v8, v5
	v_fma_f32 v9, 0x3fb8aa3b, |v1|, -v5
	v_mul_f32_e64 v6, |v1|, v6
	s_delay_alu instid0(VALU_DEP_3) | instskip(NEXT) | instid1(VALU_DEP_3)
	v_sub_f32_e32 v5, v5, v8
	v_fma_f32 v9, 0x32a5705f, |v1|, v9
	v_cvt_i32_f32_e32 v8, v8
	s_delay_alu instid0(VALU_DEP_2) | instskip(NEXT) | instid1(VALU_DEP_1)
	v_add_f32_e32 v5, v5, v9
	v_exp_f32_e32 v5, v5
	s_waitcnt_depctr 0xfff
	v_ldexp_f32 v5, v5, v8
	s_delay_alu instid0(VALU_DEP_1) | instskip(SKIP_1) | instid1(VALU_DEP_2)
	v_cndmask_b32_e32 v5, 0, v5, vcc_lo
	v_cmp_nlt_f32_e64 vcc_lo, 0x42b17218, |v1|
	v_cndmask_b32_e32 v5, 0x7f800000, v5, vcc_lo
	s_delay_alu instid0(VALU_DEP_1)
	v_mul_f32_e32 v5, v5, v6
.LBB15_32:
	s_or_b32 exec_lo, exec_lo, s1
.LBB15_33:
	s_and_not1_saveexec_b32 s1, s0
	s_cbranch_execz .LBB15_39
; %bb.34:
	v_and_b32_e32 v5, 0x7fffffff, v1
	s_mov_b32 s0, 0x230aab6e
	s_delay_alu instid0(VALU_DEP_1) | instskip(NEXT) | instid1(VALU_DEP_1)
	v_div_scale_f32 v6, null, v5, v5, 0x42000000
	v_rcp_f32_e32 v8, v6
	s_waitcnt_depctr 0xfff
	v_fma_f32 v9, -v6, v8, 1.0
	s_delay_alu instid0(VALU_DEP_1) | instskip(SKIP_1) | instid1(VALU_DEP_1)
	v_fmac_f32_e32 v8, v9, v8
	v_div_scale_f32 v5, vcc_lo, 0x42000000, v5, 0x42000000
	v_mul_f32_e32 v9, v5, v8
	s_delay_alu instid0(VALU_DEP_1) | instskip(NEXT) | instid1(VALU_DEP_1)
	v_fma_f32 v10, -v6, v9, v5
	v_fmac_f32_e32 v9, v10, v8
	s_delay_alu instid0(VALU_DEP_1) | instskip(NEXT) | instid1(VALU_DEP_1)
	v_fma_f32 v5, -v6, v9, v5
	v_div_fmas_f32 v5, v5, v8, v9
	v_mul_f32_e64 v9, 0x3fb8aa3b, |v1|
	v_cmp_ngt_f32_e64 vcc_lo, 0xc2ce8ed0, |v1|
	s_delay_alu instid0(VALU_DEP_3) | instskip(NEXT) | instid1(VALU_DEP_3)
	v_div_fixup_f32 v5, v5, |v1|, 0x42000000
	v_rndne_f32_e32 v10, v9
	v_fma_f32 v11, 0x3fb8aa3b, |v1|, -v9
	s_delay_alu instid0(VALU_DEP_3) | instskip(NEXT) | instid1(VALU_DEP_3)
	v_add_f32_e32 v5, -2.0, v5
	v_sub_f32_e32 v9, v9, v10
	s_delay_alu instid0(VALU_DEP_3) | instskip(SKIP_1) | instid1(VALU_DEP_4)
	v_fma_f32 v11, 0x32a5705f, |v1|, v11
	v_cvt_i32_f32_e32 v10, v10
	v_fmaak_f32 v6, s0, v5, 0x22a2dc57
	v_cmp_nlt_f32_e64 s0, 0x42b17218, |v1|
	s_delay_alu instid0(VALU_DEP_4) | instskip(NEXT) | instid1(VALU_DEP_3)
	v_add_f32_e32 v9, v9, v11
	v_fmaak_f32 v8, v5, v6, 0xa30aab6e
	s_delay_alu instid0(VALU_DEP_2) | instskip(NEXT) | instid1(VALU_DEP_1)
	v_exp_f32_e32 v9, v9
	v_add_f32_e32 v8, 0xa456751e, v8
	s_delay_alu instid0(VALU_DEP_1) | instskip(NEXT) | instid1(VALU_DEP_1)
	v_fma_f32 v6, v5, v8, -v6
	v_add_f32_e32 v6, 0xa4140365, v6
	s_delay_alu instid0(VALU_DEP_1) | instskip(NEXT) | instid1(VALU_DEP_1)
	v_fma_f32 v8, v5, v6, -v8
	;; [unrolled: 3-line block ×21, first 2 shown]
	v_add_f32_e32 v6, 0xbc1fed03, v6
	s_delay_alu instid0(VALU_DEP_1) | instskip(SKIP_2) | instid1(VALU_DEP_2)
	v_fma_f32 v5, v5, v6, -v8
	v_ldexp_f32 v6, v9, v10
	v_mul_f32_e64 v9, 0x4f800000, |v1|
	v_dual_add_f32 v5, 0x3f4750c6, v5 :: v_dual_cndmask_b32 v6, 0, v6
	s_delay_alu instid0(VALU_DEP_1) | instskip(NEXT) | instid1(VALU_DEP_2)
	v_sub_f32_e32 v5, v5, v8
	v_cndmask_b32_e64 v6, 0x7f800000, v6, s0
	s_mov_b32 s0, exec_lo
	s_delay_alu instid0(VALU_DEP_2)
	v_mul_f32_e32 v8, 0.5, v5
                                        ; implicit-def: $vgpr5
	v_cmpx_ngt_f32_e32 0, v1
	s_xor_b32 s9, exec_lo, s0
	s_cbranch_execz .LBB15_36
; %bb.35:
	v_cmp_gt_f32_e64 vcc_lo, 0xf800000, |v1|
	v_mul_f32_e32 v6, v6, v8
	s_delay_alu instid0(VALU_DEP_2) | instskip(NEXT) | instid1(VALU_DEP_1)
	v_cndmask_b32_e64 v5, |v1|, v9, vcc_lo
	v_sqrt_f32_e32 v9, v5
	s_waitcnt_depctr 0xfff
	v_add_nc_u32_e32 v10, -1, v9
	v_add_nc_u32_e32 v11, 1, v9
	s_delay_alu instid0(VALU_DEP_2) | instskip(NEXT) | instid1(VALU_DEP_2)
	v_fma_f32 v12, -v10, v9, v5
	v_fma_f32 v13, -v11, v9, v5
	s_delay_alu instid0(VALU_DEP_2) | instskip(NEXT) | instid1(VALU_DEP_1)
	v_cmp_ge_f32_e64 s0, 0, v12
	v_cndmask_b32_e64 v9, v9, v10, s0
	s_delay_alu instid0(VALU_DEP_3) | instskip(NEXT) | instid1(VALU_DEP_1)
	v_cmp_lt_f32_e64 s0, 0, v13
	v_cndmask_b32_e64 v9, v9, v11, s0
	s_delay_alu instid0(VALU_DEP_1) | instskip(NEXT) | instid1(VALU_DEP_1)
	v_mul_f32_e32 v10, 0x37800000, v9
	v_cndmask_b32_e32 v9, v9, v10, vcc_lo
	v_cmp_class_f32_e64 vcc_lo, v5, 0x260
	s_delay_alu instid0(VALU_DEP_2) | instskip(NEXT) | instid1(VALU_DEP_1)
	v_cndmask_b32_e32 v5, v9, v5, vcc_lo
	v_div_scale_f32 v8, null, v5, v5, v6
	s_delay_alu instid0(VALU_DEP_1) | instskip(SKIP_2) | instid1(VALU_DEP_1)
	v_rcp_f32_e32 v9, v8
	s_waitcnt_depctr 0xfff
	v_fma_f32 v10, -v8, v9, 1.0
	v_fmac_f32_e32 v9, v10, v9
	v_div_scale_f32 v10, vcc_lo, v6, v5, v6
	s_delay_alu instid0(VALU_DEP_1) | instskip(NEXT) | instid1(VALU_DEP_1)
	v_mul_f32_e32 v11, v10, v9
	v_fma_f32 v12, -v8, v11, v10
	s_delay_alu instid0(VALU_DEP_1) | instskip(NEXT) | instid1(VALU_DEP_1)
	v_fmac_f32_e32 v11, v12, v9
	v_fma_f32 v8, -v8, v11, v10
	s_delay_alu instid0(VALU_DEP_1) | instskip(NEXT) | instid1(VALU_DEP_1)
	v_div_fmas_f32 v8, v8, v9, v11
                                        ; implicit-def: $vgpr9
	v_div_fixup_f32 v5, v8, v5, v6
                                        ; implicit-def: $vgpr6
                                        ; implicit-def: $vgpr8
.LBB15_36:
	s_and_not1_saveexec_b32 s9, s9
	s_cbranch_execz .LBB15_38
; %bb.37:
	v_cmp_gt_f32_e64 vcc_lo, 0xf800000, |v1|
	v_mul_f32_e64 v6, v8, -v6
	s_delay_alu instid0(VALU_DEP_2) | instskip(NEXT) | instid1(VALU_DEP_1)
	v_cndmask_b32_e64 v1, |v1|, v9, vcc_lo
	v_sqrt_f32_e32 v5, v1
	s_waitcnt_depctr 0xfff
	v_add_nc_u32_e32 v9, -1, v5
	v_add_nc_u32_e32 v10, 1, v5
	s_delay_alu instid0(VALU_DEP_2) | instskip(NEXT) | instid1(VALU_DEP_2)
	v_fma_f32 v11, -v9, v5, v1
	v_fma_f32 v12, -v10, v5, v1
	s_delay_alu instid0(VALU_DEP_2) | instskip(NEXT) | instid1(VALU_DEP_1)
	v_cmp_ge_f32_e64 s0, 0, v11
	v_cndmask_b32_e64 v5, v5, v9, s0
	s_delay_alu instid0(VALU_DEP_3) | instskip(NEXT) | instid1(VALU_DEP_1)
	v_cmp_lt_f32_e64 s0, 0, v12
	v_cndmask_b32_e64 v5, v5, v10, s0
	s_delay_alu instid0(VALU_DEP_1) | instskip(NEXT) | instid1(VALU_DEP_1)
	v_mul_f32_e32 v9, 0x37800000, v5
	v_cndmask_b32_e32 v5, v5, v9, vcc_lo
	v_cmp_class_f32_e64 vcc_lo, v1, 0x260
	s_delay_alu instid0(VALU_DEP_2) | instskip(NEXT) | instid1(VALU_DEP_1)
	v_cndmask_b32_e32 v1, v5, v1, vcc_lo
	v_div_scale_f32 v5, null, v1, v1, v6
	s_delay_alu instid0(VALU_DEP_1) | instskip(SKIP_2) | instid1(VALU_DEP_1)
	v_rcp_f32_e32 v8, v5
	s_waitcnt_depctr 0xfff
	v_fma_f32 v9, -v5, v8, 1.0
	v_fmac_f32_e32 v8, v9, v8
	v_div_scale_f32 v9, vcc_lo, v6, v1, v6
	s_delay_alu instid0(VALU_DEP_1) | instskip(NEXT) | instid1(VALU_DEP_1)
	v_mul_f32_e32 v10, v9, v8
	v_fma_f32 v11, -v5, v10, v9
	s_delay_alu instid0(VALU_DEP_1) | instskip(NEXT) | instid1(VALU_DEP_1)
	v_fmac_f32_e32 v10, v11, v8
	v_fma_f32 v5, -v5, v10, v9
	s_delay_alu instid0(VALU_DEP_1) | instskip(NEXT) | instid1(VALU_DEP_1)
	v_div_fmas_f32 v5, v5, v8, v10
	v_div_fixup_f32 v5, v5, v1, v6
.LBB15_38:
	s_or_b32 exec_lo, exec_lo, s9
.LBB15_39:
	s_delay_alu instid0(SALU_CYCLE_1) | instskip(SKIP_1) | instid1(VALU_DEP_1)
	s_or_b32 exec_lo, exec_lo, s1
	v_cmp_ge_f32_e64 s0, 0x41000000, |v2|
	s_and_saveexec_b32 s1, s0
	s_delay_alu instid0(SALU_CYCLE_1)
	s_xor_b32 s0, exec_lo, s1
	s_cbranch_execz .LBB15_45
; %bb.40:
	v_fma_f32 v1, |v2|, 0.5, -2.0
	s_mov_b32 s1, 0x224cf950
	s_delay_alu instid0(VALU_DEP_1) | instid1(SALU_CYCLE_1)
	v_fmaak_f32 v6, s1, v1, 0xa3c2be86
	s_mov_b32 s1, exec_lo
	s_delay_alu instid0(VALU_DEP_1) | instskip(NEXT) | instid1(VALU_DEP_1)
	v_fmaak_f32 v8, v1, v6, 0xa24cf950
	v_add_f32_e32 v8, 0x25331f1f, v8
	s_delay_alu instid0(VALU_DEP_1) | instskip(NEXT) | instid1(VALU_DEP_1)
	v_fma_f32 v6, v1, v8, -v6
	v_add_f32_e32 v6, 0xa69f5554, v6
	s_delay_alu instid0(VALU_DEP_1) | instskip(NEXT) | instid1(VALU_DEP_1)
	v_fma_f32 v8, v1, v6, -v8
	;; [unrolled: 3-line block ×26, first 2 shown]
	v_add_f32_e32 v1, 0x3e81531c, v1
	s_delay_alu instid0(VALU_DEP_1)
	v_sub_f32_e32 v1, v1, v8
	v_cmpx_ngt_f32_e32 0, v2
	s_xor_b32 s1, exec_lo, s1
	s_cbranch_execz .LBB15_42
; %bb.41:
	v_mul_f32_e64 v6, 0x3fb8aa3b, |v2|
	v_cmp_ngt_f32_e64 vcc_lo, 0xc2ce8ed0, |v2|
	v_mul_f32_e32 v1, 0.5, v1
	s_delay_alu instid0(VALU_DEP_3) | instskip(SKIP_1) | instid1(VALU_DEP_3)
	v_rndne_f32_e32 v8, v6
	v_fma_f32 v9, 0x3fb8aa3b, |v2|, -v6
	v_mul_f32_e64 v1, |v2|, v1
	s_delay_alu instid0(VALU_DEP_3) | instskip(NEXT) | instid1(VALU_DEP_3)
	v_sub_f32_e32 v6, v6, v8
	v_fma_f32 v9, 0x32a5705f, |v2|, v9
	v_cvt_i32_f32_e32 v8, v8
	s_delay_alu instid0(VALU_DEP_2) | instskip(NEXT) | instid1(VALU_DEP_1)
	v_add_f32_e32 v6, v6, v9
	v_exp_f32_e32 v6, v6
	s_waitcnt_depctr 0xfff
	v_ldexp_f32 v6, v6, v8
	s_delay_alu instid0(VALU_DEP_1) | instskip(SKIP_1) | instid1(VALU_DEP_2)
	v_cndmask_b32_e32 v6, 0, v6, vcc_lo
	v_cmp_nlt_f32_e64 vcc_lo, 0x42b17218, |v2|
	v_cndmask_b32_e32 v2, 0x7f800000, v6, vcc_lo
	s_delay_alu instid0(VALU_DEP_1)
	v_mul_f32_e32 v6, v2, v1
                                        ; implicit-def: $vgpr1_vgpr2
                                        ; implicit-def: $vgpr1
.LBB15_42:
	s_and_not1_saveexec_b32 s1, s1
	s_cbranch_execz .LBB15_44
; %bb.43:
	v_mul_f32_e64 v6, 0x3fb8aa3b, |v2|
	v_cmp_ngt_f32_e64 vcc_lo, 0xc2ce8ed0, |v2|
	v_mul_f32_e32 v1, -0.5, v1
	s_delay_alu instid0(VALU_DEP_3) | instskip(SKIP_1) | instid1(VALU_DEP_3)
	v_rndne_f32_e32 v8, v6
	v_fma_f32 v9, 0x3fb8aa3b, |v2|, -v6
	v_mul_f32_e64 v1, |v2|, v1
	s_delay_alu instid0(VALU_DEP_3) | instskip(NEXT) | instid1(VALU_DEP_3)
	v_sub_f32_e32 v6, v6, v8
	v_fma_f32 v9, 0x32a5705f, |v2|, v9
	v_cvt_i32_f32_e32 v8, v8
	s_delay_alu instid0(VALU_DEP_2) | instskip(NEXT) | instid1(VALU_DEP_1)
	v_add_f32_e32 v6, v6, v9
	v_exp_f32_e32 v6, v6
	s_waitcnt_depctr 0xfff
	v_ldexp_f32 v6, v6, v8
	s_delay_alu instid0(VALU_DEP_1) | instskip(SKIP_1) | instid1(VALU_DEP_2)
	v_cndmask_b32_e32 v6, 0, v6, vcc_lo
	v_cmp_nlt_f32_e64 vcc_lo, 0x42b17218, |v2|
	v_cndmask_b32_e32 v6, 0x7f800000, v6, vcc_lo
	s_delay_alu instid0(VALU_DEP_1)
	v_mul_f32_e32 v6, v6, v1
.LBB15_44:
	s_or_b32 exec_lo, exec_lo, s1
                                        ; implicit-def: $vgpr1_vgpr2
.LBB15_45:
	s_and_not1_saveexec_b32 s1, s0
	s_cbranch_execz .LBB15_51
; %bb.46:
	v_and_b32_e32 v1, 0x7fffffff, v2
	s_mov_b32 s0, 0x230aab6e
	s_delay_alu instid0(VALU_DEP_1) | instskip(NEXT) | instid1(VALU_DEP_1)
	v_div_scale_f32 v6, null, v1, v1, 0x42000000
	v_rcp_f32_e32 v8, v6
	s_waitcnt_depctr 0xfff
	v_fma_f32 v9, -v6, v8, 1.0
	s_delay_alu instid0(VALU_DEP_1) | instskip(SKIP_1) | instid1(VALU_DEP_1)
	v_fmac_f32_e32 v8, v9, v8
	v_div_scale_f32 v1, vcc_lo, 0x42000000, v1, 0x42000000
	v_mul_f32_e32 v9, v1, v8
	s_delay_alu instid0(VALU_DEP_1) | instskip(NEXT) | instid1(VALU_DEP_1)
	v_fma_f32 v10, -v6, v9, v1
	v_fmac_f32_e32 v9, v10, v8
	s_delay_alu instid0(VALU_DEP_1) | instskip(NEXT) | instid1(VALU_DEP_1)
	v_fma_f32 v1, -v6, v9, v1
	v_div_fmas_f32 v1, v1, v8, v9
	v_mul_f32_e64 v9, 0x3fb8aa3b, |v2|
	v_cmp_ngt_f32_e64 vcc_lo, 0xc2ce8ed0, |v2|
	s_delay_alu instid0(VALU_DEP_3) | instskip(NEXT) | instid1(VALU_DEP_3)
	v_div_fixup_f32 v1, v1, |v2|, 0x42000000
	v_rndne_f32_e32 v10, v9
	v_fma_f32 v11, 0x3fb8aa3b, |v2|, -v9
	s_delay_alu instid0(VALU_DEP_3) | instskip(NEXT) | instid1(VALU_DEP_3)
	v_add_f32_e32 v1, -2.0, v1
	v_sub_f32_e32 v9, v9, v10
	s_delay_alu instid0(VALU_DEP_3) | instskip(SKIP_1) | instid1(VALU_DEP_4)
	v_fma_f32 v11, 0x32a5705f, |v2|, v11
	v_cvt_i32_f32_e32 v10, v10
	v_fmaak_f32 v6, s0, v1, 0x22a2dc57
	v_cmp_nlt_f32_e64 s0, 0x42b17218, |v2|
	s_delay_alu instid0(VALU_DEP_4) | instskip(NEXT) | instid1(VALU_DEP_3)
	v_add_f32_e32 v9, v9, v11
	v_fmaak_f32 v8, v1, v6, 0xa30aab6e
	s_delay_alu instid0(VALU_DEP_2) | instskip(NEXT) | instid1(VALU_DEP_1)
	v_exp_f32_e32 v9, v9
	v_add_f32_e32 v8, 0xa456751e, v8
	s_delay_alu instid0(VALU_DEP_1) | instskip(NEXT) | instid1(VALU_DEP_1)
	v_fma_f32 v6, v1, v8, -v6
	v_add_f32_e32 v6, 0xa4140365, v6
	s_delay_alu instid0(VALU_DEP_1) | instskip(NEXT) | instid1(VALU_DEP_1)
	v_fma_f32 v8, v1, v6, -v8
	;; [unrolled: 3-line block ×21, first 2 shown]
	v_add_f32_e32 v6, 0xbc1fed03, v6
	s_delay_alu instid0(VALU_DEP_1) | instskip(SKIP_2) | instid1(VALU_DEP_2)
	v_fma_f32 v1, v1, v6, -v8
	v_ldexp_f32 v6, v9, v10
	v_mul_f32_e64 v9, 0x4f800000, |v2|
	v_dual_add_f32 v1, 0x3f4750c6, v1 :: v_dual_cndmask_b32 v6, 0, v6
	s_delay_alu instid0(VALU_DEP_1) | instskip(NEXT) | instid1(VALU_DEP_2)
	v_sub_f32_e32 v8, v1, v8
	v_cndmask_b32_e64 v1, 0x7f800000, v6, s0
	s_mov_b32 s0, exec_lo
	s_delay_alu instid0(VALU_DEP_2)
	v_mul_f32_e32 v8, 0.5, v8
	v_cmpx_ngt_f32_e32 0, v2
	s_xor_b32 s9, exec_lo, s0
	s_cbranch_execz .LBB15_48
; %bb.47:
	v_cmp_gt_f32_e64 vcc_lo, 0xf800000, |v2|
	v_mul_f32_e32 v1, v1, v8
	s_delay_alu instid0(VALU_DEP_2) | instskip(NEXT) | instid1(VALU_DEP_1)
	v_cndmask_b32_e64 v2, |v2|, v9, vcc_lo
	v_sqrt_f32_e32 v6, v2
	s_waitcnt_depctr 0xfff
	v_add_nc_u32_e32 v9, -1, v6
	v_add_nc_u32_e32 v10, 1, v6
	s_delay_alu instid0(VALU_DEP_2) | instskip(NEXT) | instid1(VALU_DEP_2)
	v_fma_f32 v11, -v9, v6, v2
	v_fma_f32 v12, -v10, v6, v2
	s_delay_alu instid0(VALU_DEP_2) | instskip(NEXT) | instid1(VALU_DEP_1)
	v_cmp_ge_f32_e64 s0, 0, v11
	v_cndmask_b32_e64 v6, v6, v9, s0
	s_delay_alu instid0(VALU_DEP_3) | instskip(NEXT) | instid1(VALU_DEP_1)
	v_cmp_lt_f32_e64 s0, 0, v12
	v_cndmask_b32_e64 v6, v6, v10, s0
	s_delay_alu instid0(VALU_DEP_1) | instskip(NEXT) | instid1(VALU_DEP_1)
	v_mul_f32_e32 v9, 0x37800000, v6
	v_cndmask_b32_e32 v6, v6, v9, vcc_lo
	v_cmp_class_f32_e64 vcc_lo, v2, 0x260
	s_delay_alu instid0(VALU_DEP_2) | instskip(NEXT) | instid1(VALU_DEP_1)
	v_cndmask_b32_e32 v2, v6, v2, vcc_lo
	v_div_scale_f32 v6, null, v2, v2, v1
	s_delay_alu instid0(VALU_DEP_1) | instskip(SKIP_2) | instid1(VALU_DEP_1)
	v_rcp_f32_e32 v8, v6
	s_waitcnt_depctr 0xfff
	v_fma_f32 v9, -v6, v8, 1.0
	v_fmac_f32_e32 v8, v9, v8
	v_div_scale_f32 v9, vcc_lo, v1, v2, v1
	s_delay_alu instid0(VALU_DEP_1) | instskip(NEXT) | instid1(VALU_DEP_1)
	v_mul_f32_e32 v10, v9, v8
	v_fma_f32 v11, -v6, v10, v9
	s_delay_alu instid0(VALU_DEP_1) | instskip(NEXT) | instid1(VALU_DEP_1)
	v_fmac_f32_e32 v10, v11, v8
	v_fma_f32 v6, -v6, v10, v9
                                        ; implicit-def: $vgpr9
	s_delay_alu instid0(VALU_DEP_1) | instskip(NEXT) | instid1(VALU_DEP_1)
	v_div_fmas_f32 v6, v6, v8, v10
                                        ; implicit-def: $vgpr8
	v_div_fixup_f32 v6, v6, v2, v1
                                        ; implicit-def: $vgpr1_vgpr2
                                        ; implicit-def: $vgpr1
.LBB15_48:
	s_and_not1_saveexec_b32 s9, s9
	s_cbranch_execz .LBB15_50
; %bb.49:
	v_cmp_gt_f32_e64 vcc_lo, 0xf800000, |v2|
	v_mul_f32_e64 v1, v8, -v1
	s_delay_alu instid0(VALU_DEP_2) | instskip(NEXT) | instid1(VALU_DEP_1)
	v_cndmask_b32_e64 v2, |v2|, v9, vcc_lo
	v_sqrt_f32_e32 v6, v2
	s_waitcnt_depctr 0xfff
	v_add_nc_u32_e32 v9, -1, v6
	v_add_nc_u32_e32 v10, 1, v6
	s_delay_alu instid0(VALU_DEP_2) | instskip(NEXT) | instid1(VALU_DEP_2)
	v_fma_f32 v11, -v9, v6, v2
	v_fma_f32 v12, -v10, v6, v2
	s_delay_alu instid0(VALU_DEP_2) | instskip(NEXT) | instid1(VALU_DEP_1)
	v_cmp_ge_f32_e64 s0, 0, v11
	v_cndmask_b32_e64 v6, v6, v9, s0
	s_delay_alu instid0(VALU_DEP_3) | instskip(NEXT) | instid1(VALU_DEP_1)
	v_cmp_lt_f32_e64 s0, 0, v12
	v_cndmask_b32_e64 v6, v6, v10, s0
	s_delay_alu instid0(VALU_DEP_1) | instskip(NEXT) | instid1(VALU_DEP_1)
	v_mul_f32_e32 v9, 0x37800000, v6
	v_cndmask_b32_e32 v6, v6, v9, vcc_lo
	v_cmp_class_f32_e64 vcc_lo, v2, 0x260
	s_delay_alu instid0(VALU_DEP_2) | instskip(NEXT) | instid1(VALU_DEP_1)
	v_cndmask_b32_e32 v2, v6, v2, vcc_lo
	v_div_scale_f32 v6, null, v2, v2, v1
	s_delay_alu instid0(VALU_DEP_1) | instskip(SKIP_2) | instid1(VALU_DEP_1)
	v_rcp_f32_e32 v8, v6
	s_waitcnt_depctr 0xfff
	v_fma_f32 v9, -v6, v8, 1.0
	v_fmac_f32_e32 v8, v9, v8
	v_div_scale_f32 v9, vcc_lo, v1, v2, v1
	s_delay_alu instid0(VALU_DEP_1) | instskip(NEXT) | instid1(VALU_DEP_1)
	v_mul_f32_e32 v10, v9, v8
	v_fma_f32 v11, -v6, v10, v9
	s_delay_alu instid0(VALU_DEP_1) | instskip(NEXT) | instid1(VALU_DEP_1)
	v_fmac_f32_e32 v10, v11, v8
	v_fma_f32 v6, -v6, v10, v9
	s_delay_alu instid0(VALU_DEP_1) | instskip(NEXT) | instid1(VALU_DEP_1)
	v_div_fmas_f32 v6, v6, v8, v10
	v_div_fixup_f32 v6, v6, v2, v1
.LBB15_50:
	s_or_b32 exec_lo, exec_lo, s9
.LBB15_51:
	s_delay_alu instid0(SALU_CYCLE_1)
	s_or_b32 exec_lo, exec_lo, s1
	s_add_u32 s2, s4, s2
	s_addc_u32 s3, s5, s3
	s_clause 0x1
	global_store_b64 v7, v[3:4], s[2:3]
	global_store_b64 v7, v[5:6], s[2:3] offset:2048
	s_branch .LBB15_2
.LBB15_52:
	v_dual_mov_b32 v31, v0 :: v_dual_mov_b32 v0, s4
	v_dual_mov_b32 v1, s5 :: v_dual_mov_b32 v2, s6
	;; [unrolled: 1-line block ×3, first 2 shown]
	s_mov_b32 s12, s15
	s_getpc_b64 s[0:1]
	s_add_u32 s0, s0, _ZN2at6native25elementwise_kernel_helperILb0EZZZNS0_12_GLOBAL__N_130modified_bessel_i1_kernel_cudaERNS_18TensorIteratorBaseEENKUlvE_clEvENKUlvE0_clEvEUlfE_NS0_6memory8policies11unroll_baseILi256ESt5arrayIPcLm2EE23TrivialOffsetCalculatorILi1EjESF_NS8_15LoadWithoutCastENS8_16StoreWithoutCastELi4ELi1EEEEEvT0_T1_@rel32@lo+4
	s_addc_u32 s1, s1, _ZN2at6native25elementwise_kernel_helperILb0EZZZNS0_12_GLOBAL__N_130modified_bessel_i1_kernel_cudaERNS_18TensorIteratorBaseEENKUlvE_clEvENKUlvE0_clEvEUlfE_NS0_6memory8policies11unroll_baseILi256ESt5arrayIPcLm2EE23TrivialOffsetCalculatorILi1EjESF_NS8_15LoadWithoutCastENS8_16StoreWithoutCastELi4ELi1EEEEEvT0_T1_@rel32@hi+12
	s_delay_alu instid0(SALU_CYCLE_1)
	s_swappc_b64 s[30:31], s[0:1]
	s_endpgm
	.section	.rodata,"a",@progbits
	.p2align	6, 0x0
	.amdhsa_kernel _ZN2at6native29vectorized_elementwise_kernelILi2EZZZNS0_12_GLOBAL__N_130modified_bessel_i1_kernel_cudaERNS_18TensorIteratorBaseEENKUlvE_clEvENKUlvE0_clEvEUlfE_St5arrayIPcLm2EEEEviT0_T1_
		.amdhsa_group_segment_fixed_size 0
		.amdhsa_private_segment_fixed_size 0
		.amdhsa_kernarg_size 24
		.amdhsa_user_sgpr_count 15
		.amdhsa_user_sgpr_dispatch_ptr 0
		.amdhsa_user_sgpr_queue_ptr 0
		.amdhsa_user_sgpr_kernarg_segment_ptr 1
		.amdhsa_user_sgpr_dispatch_id 0
		.amdhsa_user_sgpr_private_segment_size 0
		.amdhsa_wavefront_size32 1
		.amdhsa_uses_dynamic_stack 0
		.amdhsa_enable_private_segment 0
		.amdhsa_system_sgpr_workgroup_id_x 1
		.amdhsa_system_sgpr_workgroup_id_y 0
		.amdhsa_system_sgpr_workgroup_id_z 0
		.amdhsa_system_sgpr_workgroup_info 0
		.amdhsa_system_vgpr_workitem_id 0
		.amdhsa_next_free_vgpr 32
		.amdhsa_next_free_sgpr 33
		.amdhsa_reserve_vcc 1
		.amdhsa_float_round_mode_32 0
		.amdhsa_float_round_mode_16_64 0
		.amdhsa_float_denorm_mode_32 3
		.amdhsa_float_denorm_mode_16_64 3
		.amdhsa_dx10_clamp 1
		.amdhsa_ieee_mode 1
		.amdhsa_fp16_overflow 0
		.amdhsa_workgroup_processor_mode 1
		.amdhsa_memory_ordered 1
		.amdhsa_forward_progress 0
		.amdhsa_shared_vgpr_count 0
		.amdhsa_exception_fp_ieee_invalid_op 0
		.amdhsa_exception_fp_denorm_src 0
		.amdhsa_exception_fp_ieee_div_zero 0
		.amdhsa_exception_fp_ieee_overflow 0
		.amdhsa_exception_fp_ieee_underflow 0
		.amdhsa_exception_fp_ieee_inexact 0
		.amdhsa_exception_int_div_zero 0
	.end_amdhsa_kernel
	.section	.text._ZN2at6native29vectorized_elementwise_kernelILi2EZZZNS0_12_GLOBAL__N_130modified_bessel_i1_kernel_cudaERNS_18TensorIteratorBaseEENKUlvE_clEvENKUlvE0_clEvEUlfE_St5arrayIPcLm2EEEEviT0_T1_,"axG",@progbits,_ZN2at6native29vectorized_elementwise_kernelILi2EZZZNS0_12_GLOBAL__N_130modified_bessel_i1_kernel_cudaERNS_18TensorIteratorBaseEENKUlvE_clEvENKUlvE0_clEvEUlfE_St5arrayIPcLm2EEEEviT0_T1_,comdat
.Lfunc_end15:
	.size	_ZN2at6native29vectorized_elementwise_kernelILi2EZZZNS0_12_GLOBAL__N_130modified_bessel_i1_kernel_cudaERNS_18TensorIteratorBaseEENKUlvE_clEvENKUlvE0_clEvEUlfE_St5arrayIPcLm2EEEEviT0_T1_, .Lfunc_end15-_ZN2at6native29vectorized_elementwise_kernelILi2EZZZNS0_12_GLOBAL__N_130modified_bessel_i1_kernel_cudaERNS_18TensorIteratorBaseEENKUlvE_clEvENKUlvE0_clEvEUlfE_St5arrayIPcLm2EEEEviT0_T1_
                                        ; -- End function
	.section	.AMDGPU.csdata,"",@progbits
; Kernel info:
; codeLenInByte = 8864
; NumSgprs: 35
; NumVgprs: 32
; ScratchSize: 0
; MemoryBound: 0
; FloatMode: 240
; IeeeMode: 1
; LDSByteSize: 0 bytes/workgroup (compile time only)
; SGPRBlocks: 4
; VGPRBlocks: 3
; NumSGPRsForWavesPerEU: 35
; NumVGPRsForWavesPerEU: 32
; Occupancy: 16
; WaveLimiterHint : 1
; COMPUTE_PGM_RSRC2:SCRATCH_EN: 0
; COMPUTE_PGM_RSRC2:USER_SGPR: 15
; COMPUTE_PGM_RSRC2:TRAP_HANDLER: 0
; COMPUTE_PGM_RSRC2:TGID_X_EN: 1
; COMPUTE_PGM_RSRC2:TGID_Y_EN: 0
; COMPUTE_PGM_RSRC2:TGID_Z_EN: 0
; COMPUTE_PGM_RSRC2:TIDIG_COMP_CNT: 0
	.section	.text._ZN2at6native27unrolled_elementwise_kernelIZZZNS0_12_GLOBAL__N_130modified_bessel_i1_kernel_cudaERNS_18TensorIteratorBaseEENKUlvE_clEvENKUlvE0_clEvEUlfE_St5arrayIPcLm2EELi4E23TrivialOffsetCalculatorILi1EjESC_NS0_6memory15LoadWithoutCastENSD_16StoreWithoutCastEEEviT_T0_T2_T3_T4_T5_,"axG",@progbits,_ZN2at6native27unrolled_elementwise_kernelIZZZNS0_12_GLOBAL__N_130modified_bessel_i1_kernel_cudaERNS_18TensorIteratorBaseEENKUlvE_clEvENKUlvE0_clEvEUlfE_St5arrayIPcLm2EELi4E23TrivialOffsetCalculatorILi1EjESC_NS0_6memory15LoadWithoutCastENSD_16StoreWithoutCastEEEviT_T0_T2_T3_T4_T5_,comdat
	.globl	_ZN2at6native27unrolled_elementwise_kernelIZZZNS0_12_GLOBAL__N_130modified_bessel_i1_kernel_cudaERNS_18TensorIteratorBaseEENKUlvE_clEvENKUlvE0_clEvEUlfE_St5arrayIPcLm2EELi4E23TrivialOffsetCalculatorILi1EjESC_NS0_6memory15LoadWithoutCastENSD_16StoreWithoutCastEEEviT_T0_T2_T3_T4_T5_ ; -- Begin function _ZN2at6native27unrolled_elementwise_kernelIZZZNS0_12_GLOBAL__N_130modified_bessel_i1_kernel_cudaERNS_18TensorIteratorBaseEENKUlvE_clEvENKUlvE0_clEvEUlfE_St5arrayIPcLm2EELi4E23TrivialOffsetCalculatorILi1EjESC_NS0_6memory15LoadWithoutCastENSD_16StoreWithoutCastEEEviT_T0_T2_T3_T4_T5_
	.p2align	8
	.type	_ZN2at6native27unrolled_elementwise_kernelIZZZNS0_12_GLOBAL__N_130modified_bessel_i1_kernel_cudaERNS_18TensorIteratorBaseEENKUlvE_clEvENKUlvE0_clEvEUlfE_St5arrayIPcLm2EELi4E23TrivialOffsetCalculatorILi1EjESC_NS0_6memory15LoadWithoutCastENSD_16StoreWithoutCastEEEviT_T0_T2_T3_T4_T5_,@function
_ZN2at6native27unrolled_elementwise_kernelIZZZNS0_12_GLOBAL__N_130modified_bessel_i1_kernel_cudaERNS_18TensorIteratorBaseEENKUlvE_clEvENKUlvE0_clEvEUlfE_St5arrayIPcLm2EELi4E23TrivialOffsetCalculatorILi1EjESC_NS0_6memory15LoadWithoutCastENSD_16StoreWithoutCastEEEviT_T0_T2_T3_T4_T5_: ; @_ZN2at6native27unrolled_elementwise_kernelIZZZNS0_12_GLOBAL__N_130modified_bessel_i1_kernel_cudaERNS_18TensorIteratorBaseEENKUlvE_clEvENKUlvE0_clEvEUlfE_St5arrayIPcLm2EELi4E23TrivialOffsetCalculatorILi1EjESC_NS0_6memory15LoadWithoutCastENSD_16StoreWithoutCastEEEviT_T0_T2_T3_T4_T5_
; %bb.0:
	s_clause 0x1
	s_load_b32 s6, s[0:1], 0x0
	s_load_b128 s[0:3], s[0:1], 0x8
	s_lshl_b32 s7, s15, 10
	s_getpc_b64 s[4:5]
	s_add_u32 s4, s4, _ZN2at6native25elementwise_kernel_helperILb0EZZZNS0_12_GLOBAL__N_130modified_bessel_i1_kernel_cudaERNS_18TensorIteratorBaseEENKUlvE_clEvENKUlvE0_clEvEUlfE_NS0_6memory8policies11unroll_baseILi256ESt5arrayIPcLm2EE23TrivialOffsetCalculatorILi1EjESF_NS8_15LoadWithoutCastENS8_16StoreWithoutCastELi4ELi1EEEEEvT0_T1_@rel32@lo+4
	s_addc_u32 s5, s5, _ZN2at6native25elementwise_kernel_helperILb0EZZZNS0_12_GLOBAL__N_130modified_bessel_i1_kernel_cudaERNS_18TensorIteratorBaseEENKUlvE_clEvENKUlvE0_clEvEUlfE_NS0_6memory8policies11unroll_baseILi256ESt5arrayIPcLm2EE23TrivialOffsetCalculatorILi1EjESF_NS8_15LoadWithoutCastENS8_16StoreWithoutCastELi4ELi1EEEEEvT0_T1_@rel32@hi+12
	v_mov_b32_e32 v31, v0
	s_mov_b32 s12, s15
	s_mov_b32 s32, 0
	s_waitcnt lgkmcnt(0)
	s_sub_i32 s6, s6, s7
	v_dual_mov_b32 v0, s0 :: v_dual_mov_b32 v1, s1
	v_dual_mov_b32 v2, s2 :: v_dual_mov_b32 v3, s3
	v_mov_b32_e32 v4, s6
	s_swappc_b64 s[30:31], s[4:5]
	s_endpgm
	.section	.rodata,"a",@progbits
	.p2align	6, 0x0
	.amdhsa_kernel _ZN2at6native27unrolled_elementwise_kernelIZZZNS0_12_GLOBAL__N_130modified_bessel_i1_kernel_cudaERNS_18TensorIteratorBaseEENKUlvE_clEvENKUlvE0_clEvEUlfE_St5arrayIPcLm2EELi4E23TrivialOffsetCalculatorILi1EjESC_NS0_6memory15LoadWithoutCastENSD_16StoreWithoutCastEEEviT_T0_T2_T3_T4_T5_
		.amdhsa_group_segment_fixed_size 0
		.amdhsa_private_segment_fixed_size 0
		.amdhsa_kernarg_size 28
		.amdhsa_user_sgpr_count 15
		.amdhsa_user_sgpr_dispatch_ptr 0
		.amdhsa_user_sgpr_queue_ptr 0
		.amdhsa_user_sgpr_kernarg_segment_ptr 1
		.amdhsa_user_sgpr_dispatch_id 0
		.amdhsa_user_sgpr_private_segment_size 0
		.amdhsa_wavefront_size32 1
		.amdhsa_uses_dynamic_stack 0
		.amdhsa_enable_private_segment 0
		.amdhsa_system_sgpr_workgroup_id_x 1
		.amdhsa_system_sgpr_workgroup_id_y 0
		.amdhsa_system_sgpr_workgroup_id_z 0
		.amdhsa_system_sgpr_workgroup_info 0
		.amdhsa_system_vgpr_workitem_id 0
		.amdhsa_next_free_vgpr 32
		.amdhsa_next_free_sgpr 33
		.amdhsa_reserve_vcc 1
		.amdhsa_float_round_mode_32 0
		.amdhsa_float_round_mode_16_64 0
		.amdhsa_float_denorm_mode_32 3
		.amdhsa_float_denorm_mode_16_64 3
		.amdhsa_dx10_clamp 1
		.amdhsa_ieee_mode 1
		.amdhsa_fp16_overflow 0
		.amdhsa_workgroup_processor_mode 1
		.amdhsa_memory_ordered 1
		.amdhsa_forward_progress 0
		.amdhsa_shared_vgpr_count 0
		.amdhsa_exception_fp_ieee_invalid_op 0
		.amdhsa_exception_fp_denorm_src 0
		.amdhsa_exception_fp_ieee_div_zero 0
		.amdhsa_exception_fp_ieee_overflow 0
		.amdhsa_exception_fp_ieee_underflow 0
		.amdhsa_exception_fp_ieee_inexact 0
		.amdhsa_exception_int_div_zero 0
	.end_amdhsa_kernel
	.section	.text._ZN2at6native27unrolled_elementwise_kernelIZZZNS0_12_GLOBAL__N_130modified_bessel_i1_kernel_cudaERNS_18TensorIteratorBaseEENKUlvE_clEvENKUlvE0_clEvEUlfE_St5arrayIPcLm2EELi4E23TrivialOffsetCalculatorILi1EjESC_NS0_6memory15LoadWithoutCastENSD_16StoreWithoutCastEEEviT_T0_T2_T3_T4_T5_,"axG",@progbits,_ZN2at6native27unrolled_elementwise_kernelIZZZNS0_12_GLOBAL__N_130modified_bessel_i1_kernel_cudaERNS_18TensorIteratorBaseEENKUlvE_clEvENKUlvE0_clEvEUlfE_St5arrayIPcLm2EELi4E23TrivialOffsetCalculatorILi1EjESC_NS0_6memory15LoadWithoutCastENSD_16StoreWithoutCastEEEviT_T0_T2_T3_T4_T5_,comdat
.Lfunc_end16:
	.size	_ZN2at6native27unrolled_elementwise_kernelIZZZNS0_12_GLOBAL__N_130modified_bessel_i1_kernel_cudaERNS_18TensorIteratorBaseEENKUlvE_clEvENKUlvE0_clEvEUlfE_St5arrayIPcLm2EELi4E23TrivialOffsetCalculatorILi1EjESC_NS0_6memory15LoadWithoutCastENSD_16StoreWithoutCastEEEviT_T0_T2_T3_T4_T5_, .Lfunc_end16-_ZN2at6native27unrolled_elementwise_kernelIZZZNS0_12_GLOBAL__N_130modified_bessel_i1_kernel_cudaERNS_18TensorIteratorBaseEENKUlvE_clEvENKUlvE0_clEvEUlfE_St5arrayIPcLm2EELi4E23TrivialOffsetCalculatorILi1EjESC_NS0_6memory15LoadWithoutCastENSD_16StoreWithoutCastEEEviT_T0_T2_T3_T4_T5_
                                        ; -- End function
	.section	.AMDGPU.csdata,"",@progbits
; Kernel info:
; codeLenInByte = 92
; NumSgprs: 35
; NumVgprs: 32
; ScratchSize: 0
; MemoryBound: 0
; FloatMode: 240
; IeeeMode: 1
; LDSByteSize: 0 bytes/workgroup (compile time only)
; SGPRBlocks: 4
; VGPRBlocks: 3
; NumSGPRsForWavesPerEU: 35
; NumVGPRsForWavesPerEU: 32
; Occupancy: 16
; WaveLimiterHint : 0
; COMPUTE_PGM_RSRC2:SCRATCH_EN: 0
; COMPUTE_PGM_RSRC2:USER_SGPR: 15
; COMPUTE_PGM_RSRC2:TRAP_HANDLER: 0
; COMPUTE_PGM_RSRC2:TGID_X_EN: 1
; COMPUTE_PGM_RSRC2:TGID_Y_EN: 0
; COMPUTE_PGM_RSRC2:TGID_Z_EN: 0
; COMPUTE_PGM_RSRC2:TIDIG_COMP_CNT: 0
	.section	.text._ZN2at6native32elementwise_kernel_manual_unrollILi128ELi4EZNS0_22gpu_kernel_impl_nocastIZZZNS0_12_GLOBAL__N_130modified_bessel_i1_kernel_cudaERNS_18TensorIteratorBaseEENKUlvE_clEvENKUlvE0_clEvEUlfE_EEvS5_RKT_EUlibE_EEviT1_,"axG",@progbits,_ZN2at6native32elementwise_kernel_manual_unrollILi128ELi4EZNS0_22gpu_kernel_impl_nocastIZZZNS0_12_GLOBAL__N_130modified_bessel_i1_kernel_cudaERNS_18TensorIteratorBaseEENKUlvE_clEvENKUlvE0_clEvEUlfE_EEvS5_RKT_EUlibE_EEviT1_,comdat
	.globl	_ZN2at6native32elementwise_kernel_manual_unrollILi128ELi4EZNS0_22gpu_kernel_impl_nocastIZZZNS0_12_GLOBAL__N_130modified_bessel_i1_kernel_cudaERNS_18TensorIteratorBaseEENKUlvE_clEvENKUlvE0_clEvEUlfE_EEvS5_RKT_EUlibE_EEviT1_ ; -- Begin function _ZN2at6native32elementwise_kernel_manual_unrollILi128ELi4EZNS0_22gpu_kernel_impl_nocastIZZZNS0_12_GLOBAL__N_130modified_bessel_i1_kernel_cudaERNS_18TensorIteratorBaseEENKUlvE_clEvENKUlvE0_clEvEUlfE_EEvS5_RKT_EUlibE_EEviT1_
	.p2align	8
	.type	_ZN2at6native32elementwise_kernel_manual_unrollILi128ELi4EZNS0_22gpu_kernel_impl_nocastIZZZNS0_12_GLOBAL__N_130modified_bessel_i1_kernel_cudaERNS_18TensorIteratorBaseEENKUlvE_clEvENKUlvE0_clEvEUlfE_EEvS5_RKT_EUlibE_EEviT1_,@function
_ZN2at6native32elementwise_kernel_manual_unrollILi128ELi4EZNS0_22gpu_kernel_impl_nocastIZZZNS0_12_GLOBAL__N_130modified_bessel_i1_kernel_cudaERNS_18TensorIteratorBaseEENKUlvE_clEvENKUlvE0_clEvEUlfE_EEvS5_RKT_EUlibE_EEviT1_: ; @_ZN2at6native32elementwise_kernel_manual_unrollILi128ELi4EZNS0_22gpu_kernel_impl_nocastIZZZNS0_12_GLOBAL__N_130modified_bessel_i1_kernel_cudaERNS_18TensorIteratorBaseEENKUlvE_clEvENKUlvE0_clEvEUlfE_EEvS5_RKT_EUlibE_EEviT1_
; %bb.0:
	s_clause 0x1
	s_load_b32 s22, s[0:1], 0x8
	s_load_b32 s27, s[0:1], 0x0
	v_lshl_or_b32 v2, s15, 9, v0
	s_or_b32 s0, s0, 8
	s_mov_b32 s2, exec_lo
	s_delay_alu instid0(VALU_DEP_1) | instskip(SKIP_2) | instid1(SALU_CYCLE_1)
	v_or_b32_e32 v8, 0x180, v2
	s_waitcnt lgkmcnt(0)
	s_add_i32 s23, s22, -1
	s_cmp_gt_u32 s23, 1
	s_cselect_b32 s24, -1, 0
	v_cmpx_le_i32_e64 s27, v8
	s_xor_b32 s25, exec_lo, s2
	s_cbranch_execz .LBB17_7
; %bb.1:
	s_clause 0x3
	s_load_b128 s[12:15], s[0:1], 0x4
	s_load_b64 s[16:17], s[0:1], 0x14
	s_load_b128 s[8:11], s[0:1], 0xc4
	s_load_b128 s[4:7], s[0:1], 0x148
	s_cmp_lg_u32 s22, 0
	s_mov_b32 s30, exec_lo
	s_cselect_b32 s29, -1, 0
	s_add_u32 s18, s0, 0xc4
	s_addc_u32 s19, s1, 0
	s_min_u32 s28, s23, 15
	s_cmp_gt_u32 s22, 1
	s_cselect_b32 s26, -1, 0
	v_cmpx_gt_i32_e64 s27, v2
	s_cbranch_execz .LBB17_14
; %bb.2:
	s_and_not1_b32 vcc_lo, exec_lo, s24
	s_cbranch_vccnz .LBB17_21
; %bb.3:
	v_dual_mov_b32 v0, 0 :: v_dual_mov_b32 v1, 0
	s_and_not1_b32 vcc_lo, exec_lo, s29
	s_mov_b32 s31, 0
	s_cbranch_vccnz .LBB17_121
; %bb.4:
	v_mov_b32_e32 v0, 0
	s_add_i32 s34, s28, 1
	s_cmp_eq_u32 s23, 2
	s_mov_b32 s33, 0
	s_cbranch_scc1 .LBB17_117
; %bb.5:
	v_dual_mov_b32 v1, 0 :: v_dual_mov_b32 v0, 0
	v_mov_b32_e32 v3, v2
	s_and_b32 s33, s34, 28
	s_mov_b32 s35, 0
	s_mov_b64 s[2:3], s[18:19]
	s_mov_b64 s[20:21], s[0:1]
.LBB17_6:                               ; =>This Inner Loop Header: Depth=1
	s_clause 0x1
	s_load_b256 s[36:43], s[20:21], 0x4
	s_load_b128 s[52:55], s[20:21], 0x24
	s_load_b256 s[44:51], s[2:3], 0x0
	s_add_u32 s20, s20, 48
	s_addc_u32 s21, s21, 0
	s_add_i32 s35, s35, 4
	s_add_u32 s2, s2, 32
	s_addc_u32 s3, s3, 0
	s_cmp_lg_u32 s33, s35
	s_waitcnt lgkmcnt(0)
	v_mul_hi_u32 v4, s37, v3
	s_delay_alu instid0(VALU_DEP_1) | instskip(NEXT) | instid1(VALU_DEP_1)
	v_add_nc_u32_e32 v4, v3, v4
	v_lshrrev_b32_e32 v4, s38, v4
	s_delay_alu instid0(VALU_DEP_1) | instskip(SKIP_1) | instid1(VALU_DEP_2)
	v_mul_hi_u32 v5, s40, v4
	v_mul_lo_u32 v7, v4, s36
	v_add_nc_u32_e32 v5, v4, v5
	s_delay_alu instid0(VALU_DEP_2) | instskip(NEXT) | instid1(VALU_DEP_2)
	v_sub_nc_u32_e32 v3, v3, v7
	v_lshrrev_b32_e32 v5, s41, v5
	s_delay_alu instid0(VALU_DEP_2) | instskip(SKIP_1) | instid1(VALU_DEP_3)
	v_mul_lo_u32 v7, v3, s44
	v_mul_lo_u32 v9, v3, s45
	v_mul_hi_u32 v6, s43, v5
	s_delay_alu instid0(VALU_DEP_1) | instskip(NEXT) | instid1(VALU_DEP_1)
	v_add_nc_u32_e32 v6, v5, v6
	v_lshrrev_b32_e32 v6, s52, v6
	s_delay_alu instid0(VALU_DEP_1) | instskip(SKIP_1) | instid1(VALU_DEP_2)
	v_mul_hi_u32 v8, s54, v6
	v_mul_lo_u32 v10, v6, s42
	v_add_nc_u32_e32 v3, v6, v8
	v_mul_lo_u32 v8, v5, s39
	s_delay_alu instid0(VALU_DEP_3) | instskip(NEXT) | instid1(VALU_DEP_3)
	v_sub_nc_u32_e32 v5, v5, v10
	v_lshrrev_b32_e32 v3, s55, v3
	s_delay_alu instid0(VALU_DEP_2) | instskip(SKIP_2) | instid1(VALU_DEP_4)
	v_mul_lo_u32 v10, v5, s48
	v_mul_lo_u32 v5, v5, s49
	v_sub_nc_u32_e32 v4, v4, v8
	v_mul_lo_u32 v11, v3, s53
	s_delay_alu instid0(VALU_DEP_2) | instskip(SKIP_1) | instid1(VALU_DEP_3)
	v_mul_lo_u32 v8, v4, s46
	v_mul_lo_u32 v4, v4, s47
	v_sub_nc_u32_e32 v6, v6, v11
	s_delay_alu instid0(VALU_DEP_3) | instskip(NEXT) | instid1(VALU_DEP_2)
	v_add3_u32 v0, v7, v0, v8
	v_mul_lo_u32 v11, v6, s50
	v_mul_lo_u32 v6, v6, s51
	v_add3_u32 v1, v9, v1, v4
	s_delay_alu instid0(VALU_DEP_3) | instskip(NEXT) | instid1(VALU_DEP_2)
	v_add3_u32 v0, v10, v0, v11
	v_add3_u32 v1, v5, v1, v6
	s_cbranch_scc1 .LBB17_6
	s_branch .LBB17_118
.LBB17_7:
	s_and_not1_saveexec_b32 s2, s25
	s_cbranch_execz .LBB17_166
.LBB17_8:
	v_cndmask_b32_e64 v3, 0, 1, s24
	s_and_not1_b32 vcc_lo, exec_lo, s24
	s_cbranch_vccnz .LBB17_20
; %bb.9:
	v_dual_mov_b32 v0, 0 :: v_dual_mov_b32 v7, 0
	s_cmp_lg_u32 s22, 0
	s_waitcnt lgkmcnt(0)
	s_mov_b32 s6, 0
	s_cbranch_scc0 .LBB17_26
; %bb.10:
	s_min_u32 s7, s23, 15
	v_mov_b32_e32 v0, 0
	s_add_i32 s7, s7, 1
	s_cmp_eq_u32 s23, 2
	s_mov_b32 s8, 0
	s_cbranch_scc1 .LBB17_23
; %bb.11:
	v_dual_mov_b32 v7, 0 :: v_dual_mov_b32 v0, 0
	v_mov_b32_e32 v1, v2
	s_add_u32 s2, s0, 0xc4
	s_addc_u32 s3, s1, 0
	s_and_b32 s8, s7, 28
	s_mov_b32 s9, 0
	s_mov_b64 s[4:5], s[0:1]
.LBB17_12:                              ; =>This Inner Loop Header: Depth=1
	s_clause 0x1
	s_load_b256 s[12:19], s[4:5], 0x4
	s_load_b128 s[36:39], s[4:5], 0x24
	s_load_b256 s[24:31], s[2:3], 0x0
	s_add_u32 s4, s4, 48
	s_addc_u32 s5, s5, 0
	s_add_i32 s9, s9, 4
	s_add_u32 s2, s2, 32
	s_addc_u32 s3, s3, 0
	s_cmp_lg_u32 s8, s9
	s_waitcnt lgkmcnt(0)
	v_mul_hi_u32 v4, s13, v1
	s_delay_alu instid0(VALU_DEP_1) | instskip(NEXT) | instid1(VALU_DEP_1)
	v_add_nc_u32_e32 v4, v1, v4
	v_lshrrev_b32_e32 v4, s14, v4
	s_delay_alu instid0(VALU_DEP_1) | instskip(SKIP_1) | instid1(VALU_DEP_2)
	v_mul_hi_u32 v5, s16, v4
	v_mul_lo_u32 v9, v4, s12
	v_add_nc_u32_e32 v5, v4, v5
	s_delay_alu instid0(VALU_DEP_2) | instskip(NEXT) | instid1(VALU_DEP_2)
	v_sub_nc_u32_e32 v1, v1, v9
	v_lshrrev_b32_e32 v5, s17, v5
	s_delay_alu instid0(VALU_DEP_2) | instskip(SKIP_1) | instid1(VALU_DEP_3)
	v_mul_lo_u32 v9, v1, s24
	v_mul_lo_u32 v11, v1, s25
	v_mul_hi_u32 v6, s19, v5
	s_delay_alu instid0(VALU_DEP_1) | instskip(NEXT) | instid1(VALU_DEP_1)
	v_add_nc_u32_e32 v6, v5, v6
	v_lshrrev_b32_e32 v6, s36, v6
	s_delay_alu instid0(VALU_DEP_1) | instskip(SKIP_1) | instid1(VALU_DEP_2)
	v_mul_hi_u32 v10, s38, v6
	v_mul_lo_u32 v12, v6, s18
	v_add_nc_u32_e32 v1, v6, v10
	v_mul_lo_u32 v10, v5, s15
	s_delay_alu instid0(VALU_DEP_3) | instskip(NEXT) | instid1(VALU_DEP_3)
	v_sub_nc_u32_e32 v5, v5, v12
	v_lshrrev_b32_e32 v1, s39, v1
	s_delay_alu instid0(VALU_DEP_2) | instskip(SKIP_2) | instid1(VALU_DEP_4)
	v_mul_lo_u32 v12, v5, s28
	v_mul_lo_u32 v5, v5, s29
	v_sub_nc_u32_e32 v4, v4, v10
	v_mul_lo_u32 v13, v1, s37
	s_delay_alu instid0(VALU_DEP_2) | instskip(SKIP_1) | instid1(VALU_DEP_3)
	v_mul_lo_u32 v10, v4, s26
	v_mul_lo_u32 v4, v4, s27
	v_sub_nc_u32_e32 v6, v6, v13
	s_delay_alu instid0(VALU_DEP_3) | instskip(NEXT) | instid1(VALU_DEP_2)
	v_add3_u32 v0, v9, v0, v10
	v_mul_lo_u32 v13, v6, s30
	v_mul_lo_u32 v6, v6, s31
	v_add3_u32 v4, v11, v7, v4
	s_delay_alu instid0(VALU_DEP_3) | instskip(NEXT) | instid1(VALU_DEP_2)
	v_add3_u32 v0, v12, v0, v13
	v_add3_u32 v7, v5, v4, v6
	s_cbranch_scc1 .LBB17_12
; %bb.13:
	s_and_b32 s7, s7, 3
	s_delay_alu instid0(SALU_CYCLE_1)
	s_cmp_eq_u32 s7, 0
	s_cbranch_scc0 .LBB17_24
	s_branch .LBB17_26
.LBB17_14:
	s_or_b32 exec_lo, exec_lo, s30
	s_delay_alu instid0(SALU_CYCLE_1)
	s_mov_b32 s30, exec_lo
	v_cmpx_gt_i32_e64 s27, v2
	s_cbranch_execz .LBB17_137
.LBB17_15:
	s_and_not1_b32 vcc_lo, exec_lo, s24
	s_cbranch_vccnz .LBB17_22
; %bb.16:
	v_dual_mov_b32 v0, 0 :: v_dual_mov_b32 v1, 0
	s_and_not1_b32 vcc_lo, exec_lo, s29
	s_mov_b32 s31, 0
	s_cbranch_vccnz .LBB17_148
; %bb.17:
	v_mov_b32_e32 v0, 0
	s_add_i32 s34, s28, 1
	s_cmp_eq_u32 s23, 2
	s_mov_b32 s33, 0
	s_cbranch_scc1 .LBB17_144
; %bb.18:
	v_dual_mov_b32 v1, 0 :: v_dual_mov_b32 v0, 0
	v_mov_b32_e32 v3, v2
	s_and_b32 s33, s34, 28
	s_mov_b32 s35, 0
	s_mov_b64 s[2:3], s[18:19]
	s_mov_b64 s[20:21], s[0:1]
.LBB17_19:                              ; =>This Inner Loop Header: Depth=1
	s_clause 0x1
	s_load_b256 s[36:43], s[20:21], 0x4
	s_load_b128 s[52:55], s[20:21], 0x24
	s_load_b256 s[44:51], s[2:3], 0x0
	s_add_u32 s20, s20, 48
	s_addc_u32 s21, s21, 0
	s_add_i32 s35, s35, 4
	s_add_u32 s2, s2, 32
	s_addc_u32 s3, s3, 0
	s_cmp_eq_u32 s33, s35
	s_waitcnt lgkmcnt(0)
	v_mul_hi_u32 v4, s37, v3
	s_delay_alu instid0(VALU_DEP_1) | instskip(NEXT) | instid1(VALU_DEP_1)
	v_add_nc_u32_e32 v4, v3, v4
	v_lshrrev_b32_e32 v4, s38, v4
	s_delay_alu instid0(VALU_DEP_1) | instskip(SKIP_1) | instid1(VALU_DEP_2)
	v_mul_hi_u32 v5, s40, v4
	v_mul_lo_u32 v7, v4, s36
	v_add_nc_u32_e32 v5, v4, v5
	s_delay_alu instid0(VALU_DEP_2) | instskip(NEXT) | instid1(VALU_DEP_2)
	v_sub_nc_u32_e32 v3, v3, v7
	v_lshrrev_b32_e32 v5, s41, v5
	s_delay_alu instid0(VALU_DEP_2) | instskip(SKIP_1) | instid1(VALU_DEP_3)
	v_mul_lo_u32 v7, v3, s44
	v_mul_lo_u32 v9, v3, s45
	v_mul_hi_u32 v6, s43, v5
	s_delay_alu instid0(VALU_DEP_1) | instskip(NEXT) | instid1(VALU_DEP_1)
	v_add_nc_u32_e32 v6, v5, v6
	v_lshrrev_b32_e32 v6, s52, v6
	s_delay_alu instid0(VALU_DEP_1) | instskip(SKIP_1) | instid1(VALU_DEP_2)
	v_mul_hi_u32 v8, s54, v6
	v_mul_lo_u32 v10, v6, s42
	v_add_nc_u32_e32 v3, v6, v8
	v_mul_lo_u32 v8, v5, s39
	s_delay_alu instid0(VALU_DEP_3) | instskip(NEXT) | instid1(VALU_DEP_3)
	v_sub_nc_u32_e32 v5, v5, v10
	v_lshrrev_b32_e32 v3, s55, v3
	s_delay_alu instid0(VALU_DEP_2) | instskip(SKIP_2) | instid1(VALU_DEP_4)
	v_mul_lo_u32 v10, v5, s48
	v_mul_lo_u32 v5, v5, s49
	v_sub_nc_u32_e32 v4, v4, v8
	v_mul_lo_u32 v11, v3, s53
	s_delay_alu instid0(VALU_DEP_2) | instskip(SKIP_1) | instid1(VALU_DEP_3)
	v_mul_lo_u32 v8, v4, s46
	v_mul_lo_u32 v4, v4, s47
	v_sub_nc_u32_e32 v6, v6, v11
	s_delay_alu instid0(VALU_DEP_3) | instskip(NEXT) | instid1(VALU_DEP_2)
	v_add3_u32 v0, v7, v0, v8
	v_mul_lo_u32 v11, v6, s50
	v_mul_lo_u32 v6, v6, s51
	v_add3_u32 v1, v9, v1, v4
	s_delay_alu instid0(VALU_DEP_3) | instskip(NEXT) | instid1(VALU_DEP_2)
	v_add3_u32 v0, v10, v0, v11
	v_add3_u32 v1, v5, v1, v6
	s_cbranch_scc0 .LBB17_19
	s_branch .LBB17_145
.LBB17_20:
	s_waitcnt lgkmcnt(0)
	s_mov_b32 s6, -1
                                        ; implicit-def: $vgpr0
                                        ; implicit-def: $vgpr7
	s_branch .LBB17_26
.LBB17_21:
	s_mov_b32 s31, -1
                                        ; implicit-def: $vgpr0
                                        ; implicit-def: $vgpr1
	s_branch .LBB17_121
.LBB17_22:
	s_mov_b32 s31, -1
                                        ; implicit-def: $vgpr0
                                        ; implicit-def: $vgpr1
	s_branch .LBB17_148
.LBB17_23:
	v_mov_b32_e32 v1, v2
	v_mov_b32_e32 v7, 0
	s_and_b32 s7, s7, 3
	s_delay_alu instid0(SALU_CYCLE_1)
	s_cmp_eq_u32 s7, 0
	s_cbranch_scc1 .LBB17_26
.LBB17_24:
	s_lshl_b32 s2, s8, 3
	s_mul_i32 s4, s8, 12
	s_add_u32 s2, s2, s0
	s_addc_u32 s3, 0, s1
	s_add_u32 s2, s2, 0xc4
	s_addc_u32 s3, s3, 0
	;; [unrolled: 2-line block ×3, first 2 shown]
	.p2align	6
.LBB17_25:                              ; =>This Inner Loop Header: Depth=1
	s_clause 0x1
	s_load_b64 s[8:9], s[4:5], 0x4
	s_load_b32 s12, s[4:5], 0xc
	s_load_b64 s[10:11], s[2:3], 0x0
	s_add_u32 s4, s4, 12
	s_addc_u32 s5, s5, 0
	s_add_u32 s2, s2, 8
	s_addc_u32 s3, s3, 0
	s_add_i32 s7, s7, -1
	s_delay_alu instid0(SALU_CYCLE_1) | instskip(SKIP_2) | instid1(VALU_DEP_1)
	s_cmp_lg_u32 s7, 0
	s_waitcnt lgkmcnt(0)
	v_mul_hi_u32 v4, s9, v1
	v_add_nc_u32_e32 v4, v1, v4
	s_delay_alu instid0(VALU_DEP_1) | instskip(NEXT) | instid1(VALU_DEP_1)
	v_lshrrev_b32_e32 v9, s12, v4
	v_mul_lo_u32 v4, v9, s8
	s_delay_alu instid0(VALU_DEP_1) | instskip(NEXT) | instid1(VALU_DEP_1)
	v_sub_nc_u32_e32 v1, v1, v4
	v_mad_u64_u32 v[4:5], null, v1, s10, v[0:1]
	v_mad_u64_u32 v[5:6], null, v1, s11, v[7:8]
	s_delay_alu instid0(VALU_DEP_2) | instskip(NEXT) | instid1(VALU_DEP_2)
	v_dual_mov_b32 v1, v9 :: v_dual_mov_b32 v0, v4
	v_mov_b32_e32 v7, v5
	s_cbranch_scc1 .LBB17_25
.LBB17_26:
	s_and_not1_b32 vcc_lo, exec_lo, s6
	s_cbranch_vccnz .LBB17_29
; %bb.27:
	s_clause 0x1
	s_load_b128 s[4:7], s[0:1], 0x4
	s_load_b64 s[2:3], s[0:1], 0xc4
	s_cmp_lt_u32 s22, 2
	s_waitcnt lgkmcnt(0)
	v_mul_hi_u32 v0, s5, v2
	s_delay_alu instid0(VALU_DEP_1) | instskip(NEXT) | instid1(VALU_DEP_1)
	v_add_nc_u32_e32 v0, v2, v0
	v_lshrrev_b32_e32 v1, s6, v0
	s_delay_alu instid0(VALU_DEP_1) | instskip(NEXT) | instid1(VALU_DEP_1)
	v_mul_lo_u32 v0, v1, s4
	v_sub_nc_u32_e32 v4, v2, v0
	s_delay_alu instid0(VALU_DEP_1)
	v_mul_lo_u32 v0, v4, s2
	v_mul_lo_u32 v7, v4, s3
	s_cbranch_scc1 .LBB17_29
; %bb.28:
	s_clause 0x1
	s_load_b128 s[4:7], s[0:1], 0x10
	s_load_b64 s[2:3], s[0:1], 0xcc
	s_waitcnt lgkmcnt(0)
	v_mul_hi_u32 v4, s5, v1
	s_delay_alu instid0(VALU_DEP_1) | instskip(NEXT) | instid1(VALU_DEP_1)
	v_add_nc_u32_e32 v4, v1, v4
	v_lshrrev_b32_e32 v4, s6, v4
	s_delay_alu instid0(VALU_DEP_1) | instskip(NEXT) | instid1(VALU_DEP_1)
	v_mul_lo_u32 v4, v4, s4
	v_sub_nc_u32_e32 v1, v1, v4
	s_delay_alu instid0(VALU_DEP_1) | instskip(SKIP_1) | instid1(VALU_DEP_1)
	v_mad_u64_u32 v[4:5], null, v1, s2, v[0:1]
	v_mad_u64_u32 v[5:6], null, v1, s3, v[7:8]
	v_dual_mov_b32 v0, v4 :: v_dual_mov_b32 v7, v5
.LBB17_29:
	v_cmp_ne_u32_e32 vcc_lo, 1, v3
	v_add_nc_u32_e32 v4, 0x80, v2
	s_cbranch_vccnz .LBB17_35
; %bb.30:
	v_dual_mov_b32 v1, 0 :: v_dual_mov_b32 v6, 0
	s_cmp_lg_u32 s22, 0
	s_mov_b32 s6, 0
	s_cbranch_scc0 .LBB17_39
; %bb.31:
	s_min_u32 s7, s23, 15
	v_mov_b32_e32 v1, 0
	s_add_i32 s7, s7, 1
	s_cmp_eq_u32 s23, 2
	s_mov_b32 s8, 0
	s_cbranch_scc1 .LBB17_36
; %bb.32:
	v_dual_mov_b32 v6, 0 :: v_dual_mov_b32 v1, 0
	v_mov_b32_e32 v5, v4
	s_add_u32 s2, s0, 0xc4
	s_addc_u32 s3, s1, 0
	s_and_b32 s8, s7, 28
	s_mov_b32 s9, 0
	s_mov_b64 s[4:5], s[0:1]
.LBB17_33:                              ; =>This Inner Loop Header: Depth=1
	s_clause 0x1
	s_load_b256 s[12:19], s[4:5], 0x4
	s_load_b128 s[36:39], s[4:5], 0x24
	s_load_b256 s[24:31], s[2:3], 0x0
	s_add_u32 s4, s4, 48
	s_addc_u32 s5, s5, 0
	s_add_i32 s9, s9, 4
	s_add_u32 s2, s2, 32
	s_addc_u32 s3, s3, 0
	s_cmp_lg_u32 s8, s9
	s_waitcnt lgkmcnt(0)
	v_mul_hi_u32 v9, s13, v5
	s_delay_alu instid0(VALU_DEP_1) | instskip(NEXT) | instid1(VALU_DEP_1)
	v_add_nc_u32_e32 v9, v5, v9
	v_lshrrev_b32_e32 v9, s14, v9
	s_delay_alu instid0(VALU_DEP_1) | instskip(SKIP_1) | instid1(VALU_DEP_2)
	v_mul_hi_u32 v10, s16, v9
	v_mul_lo_u32 v12, v9, s12
	v_add_nc_u32_e32 v10, v9, v10
	s_delay_alu instid0(VALU_DEP_2) | instskip(NEXT) | instid1(VALU_DEP_2)
	v_sub_nc_u32_e32 v5, v5, v12
	v_lshrrev_b32_e32 v10, s17, v10
	s_delay_alu instid0(VALU_DEP_2) | instskip(SKIP_1) | instid1(VALU_DEP_3)
	v_mul_lo_u32 v12, v5, s24
	v_mul_lo_u32 v14, v5, s25
	v_mul_hi_u32 v11, s19, v10
	s_delay_alu instid0(VALU_DEP_1) | instskip(NEXT) | instid1(VALU_DEP_1)
	v_add_nc_u32_e32 v11, v10, v11
	v_lshrrev_b32_e32 v11, s36, v11
	s_delay_alu instid0(VALU_DEP_1) | instskip(SKIP_1) | instid1(VALU_DEP_2)
	v_mul_hi_u32 v13, s38, v11
	v_mul_lo_u32 v15, v11, s18
	v_add_nc_u32_e32 v5, v11, v13
	v_mul_lo_u32 v13, v10, s15
	s_delay_alu instid0(VALU_DEP_3) | instskip(NEXT) | instid1(VALU_DEP_3)
	v_sub_nc_u32_e32 v10, v10, v15
	v_lshrrev_b32_e32 v5, s39, v5
	s_delay_alu instid0(VALU_DEP_2) | instskip(SKIP_2) | instid1(VALU_DEP_4)
	v_mul_lo_u32 v15, v10, s28
	v_mul_lo_u32 v10, v10, s29
	v_sub_nc_u32_e32 v9, v9, v13
	v_mul_lo_u32 v16, v5, s37
	s_delay_alu instid0(VALU_DEP_2) | instskip(SKIP_1) | instid1(VALU_DEP_3)
	v_mul_lo_u32 v13, v9, s26
	v_mul_lo_u32 v9, v9, s27
	v_sub_nc_u32_e32 v11, v11, v16
	s_delay_alu instid0(VALU_DEP_3) | instskip(NEXT) | instid1(VALU_DEP_2)
	v_add3_u32 v1, v12, v1, v13
	v_mul_lo_u32 v16, v11, s30
	v_mul_lo_u32 v11, v11, s31
	v_add3_u32 v6, v14, v6, v9
	s_delay_alu instid0(VALU_DEP_3) | instskip(NEXT) | instid1(VALU_DEP_2)
	v_add3_u32 v1, v15, v1, v16
	v_add3_u32 v6, v10, v6, v11
	s_cbranch_scc1 .LBB17_33
; %bb.34:
	s_and_b32 s7, s7, 3
	s_delay_alu instid0(SALU_CYCLE_1)
	s_cmp_eq_u32 s7, 0
	s_cbranch_scc0 .LBB17_37
	s_branch .LBB17_39
.LBB17_35:
	s_mov_b32 s6, -1
                                        ; implicit-def: $vgpr1
                                        ; implicit-def: $vgpr6
	s_branch .LBB17_39
.LBB17_36:
	v_dual_mov_b32 v5, v4 :: v_dual_mov_b32 v6, 0
	s_and_b32 s7, s7, 3
	s_delay_alu instid0(SALU_CYCLE_1)
	s_cmp_eq_u32 s7, 0
	s_cbranch_scc1 .LBB17_39
.LBB17_37:
	s_lshl_b32 s2, s8, 3
	s_mul_i32 s4, s8, 12
	s_add_u32 s2, s2, s0
	s_addc_u32 s3, 0, s1
	s_add_u32 s2, s2, 0xc4
	s_addc_u32 s3, s3, 0
	;; [unrolled: 2-line block ×3, first 2 shown]
	.p2align	6
.LBB17_38:                              ; =>This Inner Loop Header: Depth=1
	s_clause 0x1
	s_load_b64 s[8:9], s[4:5], 0x4
	s_load_b32 s12, s[4:5], 0xc
	s_load_b64 s[10:11], s[2:3], 0x0
	s_add_u32 s4, s4, 12
	s_addc_u32 s5, s5, 0
	s_add_u32 s2, s2, 8
	s_addc_u32 s3, s3, 0
	s_add_i32 s7, s7, -1
	s_delay_alu instid0(SALU_CYCLE_1) | instskip(SKIP_2) | instid1(VALU_DEP_1)
	s_cmp_lg_u32 s7, 0
	s_waitcnt lgkmcnt(0)
	v_mul_hi_u32 v9, s9, v5
	v_add_nc_u32_e32 v9, v5, v9
	s_delay_alu instid0(VALU_DEP_1) | instskip(NEXT) | instid1(VALU_DEP_1)
	v_lshrrev_b32_e32 v12, s12, v9
	v_mul_lo_u32 v9, v12, s8
	s_delay_alu instid0(VALU_DEP_1) | instskip(NEXT) | instid1(VALU_DEP_1)
	v_sub_nc_u32_e32 v5, v5, v9
	v_mad_u64_u32 v[9:10], null, v5, s10, v[1:2]
	v_mad_u64_u32 v[10:11], null, v5, s11, v[6:7]
	v_mov_b32_e32 v5, v12
	s_delay_alu instid0(VALU_DEP_2)
	v_dual_mov_b32 v1, v9 :: v_dual_mov_b32 v6, v10
	s_cbranch_scc1 .LBB17_38
.LBB17_39:
	s_and_not1_b32 vcc_lo, exec_lo, s6
	s_cbranch_vccnz .LBB17_42
; %bb.40:
	s_clause 0x1
	s_load_b128 s[4:7], s[0:1], 0x4
	s_load_b64 s[2:3], s[0:1], 0xc4
	s_cmp_lt_u32 s22, 2
	s_waitcnt lgkmcnt(0)
	v_mul_hi_u32 v1, s5, v4
	s_delay_alu instid0(VALU_DEP_1) | instskip(NEXT) | instid1(VALU_DEP_1)
	v_add_nc_u32_e32 v1, v4, v1
	v_lshrrev_b32_e32 v5, s6, v1
	s_delay_alu instid0(VALU_DEP_1) | instskip(NEXT) | instid1(VALU_DEP_1)
	v_mul_lo_u32 v1, v5, s4
	v_sub_nc_u32_e32 v4, v4, v1
	s_delay_alu instid0(VALU_DEP_1)
	v_mul_lo_u32 v1, v4, s2
	v_mul_lo_u32 v6, v4, s3
	s_cbranch_scc1 .LBB17_42
; %bb.41:
	s_clause 0x1
	s_load_b128 s[4:7], s[0:1], 0x10
	s_load_b64 s[2:3], s[0:1], 0xcc
	s_waitcnt lgkmcnt(0)
	v_mul_hi_u32 v4, s5, v5
	s_delay_alu instid0(VALU_DEP_1) | instskip(NEXT) | instid1(VALU_DEP_1)
	v_add_nc_u32_e32 v4, v5, v4
	v_lshrrev_b32_e32 v4, s6, v4
	s_delay_alu instid0(VALU_DEP_1) | instskip(NEXT) | instid1(VALU_DEP_1)
	v_mul_lo_u32 v4, v4, s4
	v_sub_nc_u32_e32 v11, v5, v4
	s_delay_alu instid0(VALU_DEP_1) | instskip(SKIP_1) | instid1(VALU_DEP_1)
	v_mad_u64_u32 v[4:5], null, v11, s2, v[1:2]
	v_mad_u64_u32 v[9:10], null, v11, s3, v[6:7]
	v_dual_mov_b32 v1, v4 :: v_dual_mov_b32 v6, v9
.LBB17_42:
	v_cmp_ne_u32_e32 vcc_lo, 1, v3
	v_add_nc_u32_e32 v4, 0x100, v2
	s_cbranch_vccnz .LBB17_48
; %bb.43:
	v_dual_mov_b32 v2, 0 :: v_dual_mov_b32 v5, 0
	s_cmp_lg_u32 s22, 0
	s_mov_b32 s6, 0
	s_cbranch_scc0 .LBB17_52
; %bb.44:
	s_min_u32 s7, s23, 15
	v_mov_b32_e32 v2, 0
	s_add_i32 s7, s7, 1
	s_cmp_eq_u32 s23, 2
	s_mov_b32 s8, 0
	s_cbranch_scc1 .LBB17_49
; %bb.45:
	v_dual_mov_b32 v5, 0 :: v_dual_mov_b32 v2, 0
	v_mov_b32_e32 v9, v4
	s_add_u32 s2, s0, 0xc4
	s_addc_u32 s3, s1, 0
	s_and_b32 s8, s7, 28
	s_mov_b32 s9, 0
	s_mov_b64 s[4:5], s[0:1]
.LBB17_46:                              ; =>This Inner Loop Header: Depth=1
	s_clause 0x1
	s_load_b256 s[12:19], s[4:5], 0x4
	s_load_b128 s[36:39], s[4:5], 0x24
	s_load_b256 s[24:31], s[2:3], 0x0
	s_add_u32 s4, s4, 48
	s_addc_u32 s5, s5, 0
	s_add_i32 s9, s9, 4
	s_add_u32 s2, s2, 32
	s_addc_u32 s3, s3, 0
	s_cmp_lg_u32 s8, s9
	s_waitcnt lgkmcnt(0)
	v_mul_hi_u32 v10, s13, v9
	s_delay_alu instid0(VALU_DEP_1) | instskip(NEXT) | instid1(VALU_DEP_1)
	v_add_nc_u32_e32 v10, v9, v10
	v_lshrrev_b32_e32 v10, s14, v10
	s_delay_alu instid0(VALU_DEP_1) | instskip(SKIP_1) | instid1(VALU_DEP_2)
	v_mul_hi_u32 v11, s16, v10
	v_mul_lo_u32 v13, v10, s12
	v_add_nc_u32_e32 v11, v10, v11
	s_delay_alu instid0(VALU_DEP_2) | instskip(NEXT) | instid1(VALU_DEP_2)
	v_sub_nc_u32_e32 v9, v9, v13
	v_lshrrev_b32_e32 v11, s17, v11
	s_delay_alu instid0(VALU_DEP_2) | instskip(SKIP_1) | instid1(VALU_DEP_3)
	v_mul_lo_u32 v13, v9, s24
	v_mul_lo_u32 v15, v9, s25
	v_mul_hi_u32 v12, s19, v11
	s_delay_alu instid0(VALU_DEP_1) | instskip(NEXT) | instid1(VALU_DEP_1)
	v_add_nc_u32_e32 v12, v11, v12
	v_lshrrev_b32_e32 v12, s36, v12
	s_delay_alu instid0(VALU_DEP_1) | instskip(SKIP_1) | instid1(VALU_DEP_2)
	v_mul_hi_u32 v14, s38, v12
	v_mul_lo_u32 v16, v12, s18
	v_add_nc_u32_e32 v9, v12, v14
	v_mul_lo_u32 v14, v11, s15
	s_delay_alu instid0(VALU_DEP_3) | instskip(NEXT) | instid1(VALU_DEP_3)
	v_sub_nc_u32_e32 v11, v11, v16
	v_lshrrev_b32_e32 v9, s39, v9
	s_delay_alu instid0(VALU_DEP_2) | instskip(SKIP_2) | instid1(VALU_DEP_4)
	v_mul_lo_u32 v16, v11, s28
	v_mul_lo_u32 v11, v11, s29
	v_sub_nc_u32_e32 v10, v10, v14
	v_mul_lo_u32 v17, v9, s37
	s_delay_alu instid0(VALU_DEP_2) | instskip(SKIP_1) | instid1(VALU_DEP_3)
	v_mul_lo_u32 v14, v10, s26
	v_mul_lo_u32 v10, v10, s27
	v_sub_nc_u32_e32 v12, v12, v17
	s_delay_alu instid0(VALU_DEP_3) | instskip(NEXT) | instid1(VALU_DEP_2)
	v_add3_u32 v2, v13, v2, v14
	v_mul_lo_u32 v17, v12, s30
	v_mul_lo_u32 v12, v12, s31
	v_add3_u32 v5, v15, v5, v10
	s_delay_alu instid0(VALU_DEP_3) | instskip(NEXT) | instid1(VALU_DEP_2)
	v_add3_u32 v2, v16, v2, v17
	v_add3_u32 v5, v11, v5, v12
	s_cbranch_scc1 .LBB17_46
; %bb.47:
	s_and_b32 s7, s7, 3
	s_delay_alu instid0(SALU_CYCLE_1)
	s_cmp_eq_u32 s7, 0
	s_cbranch_scc0 .LBB17_50
	s_branch .LBB17_52
.LBB17_48:
	s_mov_b32 s6, -1
                                        ; implicit-def: $vgpr2
                                        ; implicit-def: $vgpr5
	s_branch .LBB17_52
.LBB17_49:
	v_mov_b32_e32 v9, v4
	v_mov_b32_e32 v5, 0
	s_and_b32 s7, s7, 3
	s_delay_alu instid0(SALU_CYCLE_1)
	s_cmp_eq_u32 s7, 0
	s_cbranch_scc1 .LBB17_52
.LBB17_50:
	s_lshl_b32 s2, s8, 3
	s_mul_i32 s4, s8, 12
	s_add_u32 s2, s2, s0
	s_addc_u32 s3, 0, s1
	s_add_u32 s2, s2, 0xc4
	s_addc_u32 s3, s3, 0
	;; [unrolled: 2-line block ×3, first 2 shown]
	.p2align	6
.LBB17_51:                              ; =>This Inner Loop Header: Depth=1
	s_clause 0x1
	s_load_b64 s[8:9], s[4:5], 0x4
	s_load_b32 s12, s[4:5], 0xc
	s_load_b64 s[10:11], s[2:3], 0x0
	s_add_u32 s4, s4, 12
	s_addc_u32 s5, s5, 0
	s_add_u32 s2, s2, 8
	s_addc_u32 s3, s3, 0
	s_add_i32 s7, s7, -1
	s_delay_alu instid0(SALU_CYCLE_1) | instskip(SKIP_2) | instid1(VALU_DEP_1)
	s_cmp_lg_u32 s7, 0
	s_waitcnt lgkmcnt(0)
	v_mul_hi_u32 v10, s9, v9
	v_add_nc_u32_e32 v10, v9, v10
	s_delay_alu instid0(VALU_DEP_1) | instskip(NEXT) | instid1(VALU_DEP_1)
	v_lshrrev_b32_e32 v13, s12, v10
	v_mul_lo_u32 v10, v13, s8
	s_delay_alu instid0(VALU_DEP_1) | instskip(NEXT) | instid1(VALU_DEP_1)
	v_sub_nc_u32_e32 v9, v9, v10
	v_mad_u64_u32 v[10:11], null, v9, s10, v[2:3]
	v_mad_u64_u32 v[11:12], null, v9, s11, v[5:6]
	s_delay_alu instid0(VALU_DEP_2) | instskip(NEXT) | instid1(VALU_DEP_2)
	v_dual_mov_b32 v9, v13 :: v_dual_mov_b32 v2, v10
	v_mov_b32_e32 v5, v11
	s_cbranch_scc1 .LBB17_51
.LBB17_52:
	s_and_not1_b32 vcc_lo, exec_lo, s6
	s_cbranch_vccnz .LBB17_55
; %bb.53:
	s_clause 0x1
	s_load_b128 s[4:7], s[0:1], 0x4
	s_load_b64 s[2:3], s[0:1], 0xc4
	s_cmp_lt_u32 s22, 2
	s_waitcnt lgkmcnt(0)
	v_mul_hi_u32 v2, s5, v4
	s_delay_alu instid0(VALU_DEP_1) | instskip(NEXT) | instid1(VALU_DEP_1)
	v_add_nc_u32_e32 v2, v4, v2
	v_lshrrev_b32_e32 v9, s6, v2
	s_delay_alu instid0(VALU_DEP_1) | instskip(NEXT) | instid1(VALU_DEP_1)
	v_mul_lo_u32 v2, v9, s4
	v_sub_nc_u32_e32 v4, v4, v2
	s_delay_alu instid0(VALU_DEP_1)
	v_mul_lo_u32 v2, v4, s2
	v_mul_lo_u32 v5, v4, s3
	s_cbranch_scc1 .LBB17_55
; %bb.54:
	s_clause 0x1
	s_load_b128 s[4:7], s[0:1], 0x10
	s_load_b64 s[2:3], s[0:1], 0xcc
	s_waitcnt lgkmcnt(0)
	v_mul_hi_u32 v4, s5, v9
	s_delay_alu instid0(VALU_DEP_1) | instskip(NEXT) | instid1(VALU_DEP_1)
	v_add_nc_u32_e32 v4, v9, v4
	v_lshrrev_b32_e32 v4, s6, v4
	s_delay_alu instid0(VALU_DEP_1) | instskip(NEXT) | instid1(VALU_DEP_1)
	v_mul_lo_u32 v4, v4, s4
	v_sub_nc_u32_e32 v4, v9, v4
	s_delay_alu instid0(VALU_DEP_1) | instskip(SKIP_1) | instid1(VALU_DEP_1)
	v_mad_u64_u32 v[9:10], null, v4, s2, v[2:3]
	v_mad_u64_u32 v[10:11], null, v4, s3, v[5:6]
	v_dual_mov_b32 v2, v9 :: v_dual_mov_b32 v5, v10
.LBB17_55:
	v_cmp_ne_u32_e32 vcc_lo, 1, v3
	s_cbranch_vccnz .LBB17_61
; %bb.56:
	v_dual_mov_b32 v3, 0 :: v_dual_mov_b32 v4, 0
	s_cmp_lg_u32 s22, 0
	s_mov_b32 s6, 0
	s_cbranch_scc0 .LBB17_65
; %bb.57:
	s_min_u32 s7, s23, 15
	v_mov_b32_e32 v3, 0
	s_add_i32 s7, s7, 1
	s_cmp_eq_u32 s23, 2
	s_mov_b32 s8, 0
	s_cbranch_scc1 .LBB17_62
; %bb.58:
	v_dual_mov_b32 v4, 0 :: v_dual_mov_b32 v3, 0
	v_mov_b32_e32 v9, v8
	s_add_u32 s2, s0, 0xc4
	s_addc_u32 s3, s1, 0
	s_and_b32 s8, s7, 28
	s_mov_b32 s9, 0
	s_mov_b64 s[4:5], s[0:1]
.LBB17_59:                              ; =>This Inner Loop Header: Depth=1
	s_clause 0x1
	s_load_b256 s[12:19], s[4:5], 0x4
	s_load_b128 s[36:39], s[4:5], 0x24
	s_load_b256 s[24:31], s[2:3], 0x0
	s_add_u32 s4, s4, 48
	s_addc_u32 s5, s5, 0
	s_add_i32 s9, s9, 4
	s_add_u32 s2, s2, 32
	s_addc_u32 s3, s3, 0
	s_cmp_lg_u32 s8, s9
	s_waitcnt lgkmcnt(0)
	v_mul_hi_u32 v10, s13, v9
	s_delay_alu instid0(VALU_DEP_1) | instskip(NEXT) | instid1(VALU_DEP_1)
	v_add_nc_u32_e32 v10, v9, v10
	v_lshrrev_b32_e32 v10, s14, v10
	s_delay_alu instid0(VALU_DEP_1) | instskip(SKIP_1) | instid1(VALU_DEP_2)
	v_mul_hi_u32 v11, s16, v10
	v_mul_lo_u32 v13, v10, s12
	v_add_nc_u32_e32 v11, v10, v11
	s_delay_alu instid0(VALU_DEP_2) | instskip(NEXT) | instid1(VALU_DEP_2)
	v_sub_nc_u32_e32 v9, v9, v13
	v_lshrrev_b32_e32 v11, s17, v11
	s_delay_alu instid0(VALU_DEP_2) | instskip(SKIP_1) | instid1(VALU_DEP_3)
	v_mul_lo_u32 v13, v9, s24
	v_mul_lo_u32 v15, v9, s25
	v_mul_hi_u32 v12, s19, v11
	s_delay_alu instid0(VALU_DEP_1) | instskip(NEXT) | instid1(VALU_DEP_1)
	v_add_nc_u32_e32 v12, v11, v12
	v_lshrrev_b32_e32 v12, s36, v12
	s_delay_alu instid0(VALU_DEP_1) | instskip(SKIP_1) | instid1(VALU_DEP_2)
	v_mul_hi_u32 v14, s38, v12
	v_mul_lo_u32 v16, v12, s18
	v_add_nc_u32_e32 v9, v12, v14
	v_mul_lo_u32 v14, v11, s15
	s_delay_alu instid0(VALU_DEP_3) | instskip(NEXT) | instid1(VALU_DEP_3)
	v_sub_nc_u32_e32 v11, v11, v16
	v_lshrrev_b32_e32 v9, s39, v9
	s_delay_alu instid0(VALU_DEP_2) | instskip(SKIP_2) | instid1(VALU_DEP_4)
	v_mul_lo_u32 v16, v11, s28
	v_mul_lo_u32 v11, v11, s29
	v_sub_nc_u32_e32 v10, v10, v14
	v_mul_lo_u32 v17, v9, s37
	s_delay_alu instid0(VALU_DEP_2) | instskip(SKIP_1) | instid1(VALU_DEP_3)
	v_mul_lo_u32 v14, v10, s26
	v_mul_lo_u32 v10, v10, s27
	v_sub_nc_u32_e32 v12, v12, v17
	s_delay_alu instid0(VALU_DEP_3) | instskip(NEXT) | instid1(VALU_DEP_2)
	v_add3_u32 v3, v13, v3, v14
	v_mul_lo_u32 v17, v12, s30
	v_mul_lo_u32 v12, v12, s31
	v_add3_u32 v4, v15, v4, v10
	s_delay_alu instid0(VALU_DEP_3) | instskip(NEXT) | instid1(VALU_DEP_2)
	v_add3_u32 v3, v16, v3, v17
	v_add3_u32 v4, v11, v4, v12
	s_cbranch_scc1 .LBB17_59
; %bb.60:
	s_and_b32 s7, s7, 3
	s_delay_alu instid0(SALU_CYCLE_1)
	s_cmp_eq_u32 s7, 0
	s_cbranch_scc0 .LBB17_63
	s_branch .LBB17_65
.LBB17_61:
	s_mov_b32 s6, -1
                                        ; implicit-def: $vgpr3
                                        ; implicit-def: $vgpr4
	s_branch .LBB17_65
.LBB17_62:
	v_dual_mov_b32 v9, v8 :: v_dual_mov_b32 v4, 0
	s_and_b32 s7, s7, 3
	s_delay_alu instid0(SALU_CYCLE_1)
	s_cmp_eq_u32 s7, 0
	s_cbranch_scc1 .LBB17_65
.LBB17_63:
	s_lshl_b32 s2, s8, 3
	s_mul_i32 s4, s8, 12
	s_add_u32 s2, s2, s0
	s_addc_u32 s3, 0, s1
	s_add_u32 s2, s2, 0xc4
	s_addc_u32 s3, s3, 0
	;; [unrolled: 2-line block ×3, first 2 shown]
	.p2align	6
.LBB17_64:                              ; =>This Inner Loop Header: Depth=1
	s_clause 0x1
	s_load_b64 s[8:9], s[4:5], 0x4
	s_load_b32 s12, s[4:5], 0xc
	s_load_b64 s[10:11], s[2:3], 0x0
	s_add_u32 s4, s4, 12
	s_addc_u32 s5, s5, 0
	s_add_u32 s2, s2, 8
	s_addc_u32 s3, s3, 0
	s_add_i32 s7, s7, -1
	s_delay_alu instid0(SALU_CYCLE_1) | instskip(SKIP_2) | instid1(VALU_DEP_1)
	s_cmp_lg_u32 s7, 0
	s_waitcnt lgkmcnt(0)
	v_mul_hi_u32 v10, s9, v9
	v_add_nc_u32_e32 v10, v9, v10
	s_delay_alu instid0(VALU_DEP_1) | instskip(NEXT) | instid1(VALU_DEP_1)
	v_lshrrev_b32_e32 v13, s12, v10
	v_mul_lo_u32 v10, v13, s8
	s_delay_alu instid0(VALU_DEP_1) | instskip(NEXT) | instid1(VALU_DEP_1)
	v_sub_nc_u32_e32 v9, v9, v10
	v_mad_u64_u32 v[10:11], null, v9, s10, v[3:4]
	v_mad_u64_u32 v[11:12], null, v9, s11, v[4:5]
	v_mov_b32_e32 v9, v13
	s_delay_alu instid0(VALU_DEP_2)
	v_dual_mov_b32 v3, v10 :: v_dual_mov_b32 v4, v11
	s_cbranch_scc1 .LBB17_64
.LBB17_65:
	s_and_not1_b32 vcc_lo, exec_lo, s6
	s_cbranch_vccnz .LBB17_68
; %bb.66:
	s_clause 0x1
	s_load_b128 s[4:7], s[0:1], 0x4
	s_load_b64 s[2:3], s[0:1], 0xc4
	s_cmp_lt_u32 s22, 2
	s_waitcnt lgkmcnt(0)
	v_mul_hi_u32 v3, s5, v8
	s_delay_alu instid0(VALU_DEP_1) | instskip(NEXT) | instid1(VALU_DEP_1)
	v_add_nc_u32_e32 v3, v8, v3
	v_lshrrev_b32_e32 v9, s6, v3
	s_delay_alu instid0(VALU_DEP_1) | instskip(NEXT) | instid1(VALU_DEP_1)
	v_mul_lo_u32 v3, v9, s4
	v_sub_nc_u32_e32 v4, v8, v3
	s_delay_alu instid0(VALU_DEP_1)
	v_mul_lo_u32 v3, v4, s2
	v_mul_lo_u32 v4, v4, s3
	s_cbranch_scc1 .LBB17_68
; %bb.67:
	s_clause 0x1
	s_load_b128 s[4:7], s[0:1], 0x10
	s_load_b64 s[2:3], s[0:1], 0xcc
	s_waitcnt lgkmcnt(0)
	v_mul_hi_u32 v8, s5, v9
	s_delay_alu instid0(VALU_DEP_1) | instskip(NEXT) | instid1(VALU_DEP_1)
	v_add_nc_u32_e32 v8, v9, v8
	v_lshrrev_b32_e32 v8, s6, v8
	s_delay_alu instid0(VALU_DEP_1) | instskip(NEXT) | instid1(VALU_DEP_1)
	v_mul_lo_u32 v8, v8, s4
	v_sub_nc_u32_e32 v11, v9, v8
	s_delay_alu instid0(VALU_DEP_1) | instskip(SKIP_1) | instid1(VALU_DEP_1)
	v_mad_u64_u32 v[8:9], null, v11, s2, v[3:4]
	v_mad_u64_u32 v[9:10], null, v11, s3, v[4:5]
	v_dual_mov_b32 v3, v8 :: v_dual_mov_b32 v4, v9
.LBB17_68:
	s_load_b128 s[4:7], s[0:1], 0x148
	s_waitcnt lgkmcnt(0)
	global_load_b32 v8, v7, s[6:7]
                                        ; implicit-def: $vgpr7
	s_waitcnt vmcnt(0)
	v_cmp_ge_f32_e64 s0, 0x41000000, |v8|
	s_delay_alu instid0(VALU_DEP_1) | instskip(NEXT) | instid1(SALU_CYCLE_1)
	s_and_saveexec_b32 s1, s0
	s_xor_b32 s0, exec_lo, s1
	s_cbranch_execz .LBB17_74
; %bb.69:
	v_fma_f32 v7, |v8|, 0.5, -2.0
	s_mov_b32 s1, 0x224cf950
	s_delay_alu instid0(VALU_DEP_1) | instid1(SALU_CYCLE_1)
	v_fmaak_f32 v9, s1, v7, 0xa3c2be86
	s_mov_b32 s1, exec_lo
	s_delay_alu instid0(VALU_DEP_1) | instskip(NEXT) | instid1(VALU_DEP_1)
	v_fmaak_f32 v10, v7, v9, 0xa24cf950
	v_add_f32_e32 v10, 0x25331f1f, v10
	s_delay_alu instid0(VALU_DEP_1) | instskip(NEXT) | instid1(VALU_DEP_1)
	v_fma_f32 v9, v7, v10, -v9
	v_add_f32_e32 v9, 0xa69f5554, v9
	s_delay_alu instid0(VALU_DEP_1) | instskip(NEXT) | instid1(VALU_DEP_1)
	v_fma_f32 v10, v7, v9, -v10
	;; [unrolled: 3-line block ×26, first 2 shown]
	v_add_f32_e32 v7, 0x3e81531c, v7
	s_delay_alu instid0(VALU_DEP_1)
	v_sub_f32_e32 v9, v7, v10
                                        ; implicit-def: $vgpr7
	v_cmpx_ngt_f32_e32 0, v8
	s_xor_b32 s1, exec_lo, s1
	s_cbranch_execz .LBB17_71
; %bb.70:
	v_mul_f32_e64 v7, 0x3fb8aa3b, |v8|
	v_cmp_ngt_f32_e64 vcc_lo, 0xc2ce8ed0, |v8|
	v_mul_f32_e32 v9, 0.5, v9
	s_delay_alu instid0(VALU_DEP_3) | instskip(SKIP_1) | instid1(VALU_DEP_3)
	v_rndne_f32_e32 v10, v7
	v_fma_f32 v11, 0x3fb8aa3b, |v8|, -v7
	v_mul_f32_e64 v9, |v8|, v9
	s_delay_alu instid0(VALU_DEP_3) | instskip(NEXT) | instid1(VALU_DEP_3)
	v_sub_f32_e32 v7, v7, v10
	v_fma_f32 v11, 0x32a5705f, |v8|, v11
	v_cvt_i32_f32_e32 v10, v10
	s_delay_alu instid0(VALU_DEP_2) | instskip(NEXT) | instid1(VALU_DEP_1)
	v_add_f32_e32 v7, v7, v11
	v_exp_f32_e32 v7, v7
	s_waitcnt_depctr 0xfff
	v_ldexp_f32 v7, v7, v10
	s_delay_alu instid0(VALU_DEP_1) | instskip(SKIP_1) | instid1(VALU_DEP_2)
	v_cndmask_b32_e32 v7, 0, v7, vcc_lo
	v_cmp_nlt_f32_e64 vcc_lo, 0x42b17218, |v8|
                                        ; implicit-def: $vgpr8
	v_cndmask_b32_e32 v7, 0x7f800000, v7, vcc_lo
	s_delay_alu instid0(VALU_DEP_1)
	v_mul_f32_e32 v7, v7, v9
                                        ; implicit-def: $vgpr9
.LBB17_71:
	s_and_not1_saveexec_b32 s1, s1
	s_cbranch_execz .LBB17_73
; %bb.72:
	v_mul_f32_e64 v7, 0x3fb8aa3b, |v8|
	v_cmp_ngt_f32_e64 vcc_lo, 0xc2ce8ed0, |v8|
	v_mul_f32_e32 v9, -0.5, v9
	s_delay_alu instid0(VALU_DEP_3) | instskip(SKIP_1) | instid1(VALU_DEP_2)
	v_rndne_f32_e32 v10, v7
	v_fma_f32 v11, 0x3fb8aa3b, |v8|, -v7
	v_sub_f32_e32 v7, v7, v10
	s_delay_alu instid0(VALU_DEP_2) | instskip(SKIP_1) | instid1(VALU_DEP_2)
	v_fma_f32 v11, 0x32a5705f, |v8|, v11
	v_cvt_i32_f32_e32 v10, v10
	v_add_f32_e32 v7, v7, v11
	s_delay_alu instid0(VALU_DEP_1) | instskip(SKIP_2) | instid1(VALU_DEP_1)
	v_exp_f32_e32 v7, v7
	s_waitcnt_depctr 0xfff
	v_ldexp_f32 v7, v7, v10
	v_cndmask_b32_e32 v7, 0, v7, vcc_lo
	v_cmp_nlt_f32_e64 vcc_lo, 0x42b17218, |v8|
	v_mul_f32_e64 v8, |v8|, v9
	s_delay_alu instid0(VALU_DEP_3) | instskip(NEXT) | instid1(VALU_DEP_1)
	v_cndmask_b32_e32 v7, 0x7f800000, v7, vcc_lo
	v_mul_f32_e32 v7, v7, v8
.LBB17_73:
	s_or_b32 exec_lo, exec_lo, s1
                                        ; implicit-def: $vgpr8
.LBB17_74:
	s_and_not1_saveexec_b32 s1, s0
	s_cbranch_execz .LBB17_80
; %bb.75:
	v_and_b32_e32 v7, 0x7fffffff, v8
	s_mov_b32 s0, 0x230aab6e
	s_delay_alu instid0(VALU_DEP_1) | instskip(NEXT) | instid1(VALU_DEP_1)
	v_div_scale_f32 v9, null, v7, v7, 0x42000000
	v_rcp_f32_e32 v10, v9
	s_waitcnt_depctr 0xfff
	v_fma_f32 v11, -v9, v10, 1.0
	s_delay_alu instid0(VALU_DEP_1) | instskip(SKIP_1) | instid1(VALU_DEP_1)
	v_fmac_f32_e32 v10, v11, v10
	v_div_scale_f32 v7, vcc_lo, 0x42000000, v7, 0x42000000
	v_mul_f32_e32 v11, v7, v10
	s_delay_alu instid0(VALU_DEP_1) | instskip(NEXT) | instid1(VALU_DEP_1)
	v_fma_f32 v12, -v9, v11, v7
	v_fmac_f32_e32 v11, v12, v10
	s_delay_alu instid0(VALU_DEP_1) | instskip(NEXT) | instid1(VALU_DEP_1)
	v_fma_f32 v7, -v9, v11, v7
	v_div_fmas_f32 v7, v7, v10, v11
	v_mul_f32_e64 v11, 0x3fb8aa3b, |v8|
	v_cmp_ngt_f32_e64 vcc_lo, 0xc2ce8ed0, |v8|
	s_delay_alu instid0(VALU_DEP_3) | instskip(NEXT) | instid1(VALU_DEP_3)
	v_div_fixup_f32 v7, v7, |v8|, 0x42000000
	v_rndne_f32_e32 v12, v11
	v_fma_f32 v13, 0x3fb8aa3b, |v8|, -v11
	s_delay_alu instid0(VALU_DEP_3) | instskip(NEXT) | instid1(VALU_DEP_3)
	v_add_f32_e32 v7, -2.0, v7
	v_sub_f32_e32 v11, v11, v12
	s_delay_alu instid0(VALU_DEP_3) | instskip(SKIP_1) | instid1(VALU_DEP_4)
	v_fma_f32 v13, 0x32a5705f, |v8|, v13
	v_cvt_i32_f32_e32 v12, v12
	v_fmaak_f32 v9, s0, v7, 0x22a2dc57
	v_cmp_nlt_f32_e64 s0, 0x42b17218, |v8|
	s_delay_alu instid0(VALU_DEP_4) | instskip(NEXT) | instid1(VALU_DEP_3)
	v_add_f32_e32 v11, v11, v13
	v_fmaak_f32 v10, v7, v9, 0xa30aab6e
	s_delay_alu instid0(VALU_DEP_2) | instskip(NEXT) | instid1(VALU_DEP_1)
	v_exp_f32_e32 v11, v11
	v_add_f32_e32 v10, 0xa456751e, v10
	s_delay_alu instid0(VALU_DEP_1) | instskip(NEXT) | instid1(VALU_DEP_1)
	v_fma_f32 v9, v7, v10, -v9
	v_add_f32_e32 v9, 0xa4140365, v9
	s_delay_alu instid0(VALU_DEP_1) | instskip(NEXT) | instid1(VALU_DEP_1)
	v_fma_f32 v10, v7, v9, -v10
	;; [unrolled: 3-line block ×21, first 2 shown]
	v_add_f32_e32 v9, 0xbc1fed03, v9
	s_delay_alu instid0(VALU_DEP_1) | instskip(SKIP_2) | instid1(VALU_DEP_3)
	v_fma_f32 v7, v7, v9, -v10
	v_ldexp_f32 v9, v11, v12
	v_mul_f32_e64 v11, 0x4f800000, |v8|
	v_add_f32_e32 v7, 0x3f4750c6, v7
	s_delay_alu instid0(VALU_DEP_3) | instskip(NEXT) | instid1(VALU_DEP_2)
	v_cndmask_b32_e32 v9, 0, v9, vcc_lo
	v_sub_f32_e32 v7, v7, v10
	s_delay_alu instid0(VALU_DEP_2) | instskip(SKIP_1) | instid1(VALU_DEP_2)
	v_cndmask_b32_e64 v9, 0x7f800000, v9, s0
	s_mov_b32 s0, exec_lo
	v_mul_f32_e32 v10, 0.5, v7
                                        ; implicit-def: $vgpr7
	v_cmpx_ngt_f32_e32 0, v8
	s_xor_b32 s2, exec_lo, s0
	s_cbranch_execz .LBB17_77
; %bb.76:
	v_cmp_gt_f32_e64 vcc_lo, 0xf800000, |v8|
	v_mul_f32_e32 v9, v9, v10
	s_delay_alu instid0(VALU_DEP_2) | instskip(NEXT) | instid1(VALU_DEP_1)
	v_cndmask_b32_e64 v7, |v8|, v11, vcc_lo
	v_sqrt_f32_e32 v8, v7
	s_waitcnt_depctr 0xfff
	v_add_nc_u32_e32 v11, -1, v8
	v_add_nc_u32_e32 v12, 1, v8
	s_delay_alu instid0(VALU_DEP_2) | instskip(NEXT) | instid1(VALU_DEP_2)
	v_fma_f32 v13, -v11, v8, v7
	v_fma_f32 v14, -v12, v8, v7
	s_delay_alu instid0(VALU_DEP_2) | instskip(NEXT) | instid1(VALU_DEP_1)
	v_cmp_ge_f32_e64 s0, 0, v13
	v_cndmask_b32_e64 v8, v8, v11, s0
	s_delay_alu instid0(VALU_DEP_3) | instskip(NEXT) | instid1(VALU_DEP_1)
	v_cmp_lt_f32_e64 s0, 0, v14
	v_cndmask_b32_e64 v8, v8, v12, s0
	s_delay_alu instid0(VALU_DEP_1) | instskip(NEXT) | instid1(VALU_DEP_1)
	v_mul_f32_e32 v11, 0x37800000, v8
	v_cndmask_b32_e32 v8, v8, v11, vcc_lo
	v_cmp_class_f32_e64 vcc_lo, v7, 0x260
	s_delay_alu instid0(VALU_DEP_2) | instskip(NEXT) | instid1(VALU_DEP_1)
	v_cndmask_b32_e32 v7, v8, v7, vcc_lo
	v_div_scale_f32 v8, null, v7, v7, v9
	s_delay_alu instid0(VALU_DEP_1) | instskip(SKIP_2) | instid1(VALU_DEP_1)
	v_rcp_f32_e32 v10, v8
	s_waitcnt_depctr 0xfff
	v_fma_f32 v11, -v8, v10, 1.0
	v_fmac_f32_e32 v10, v11, v10
	v_div_scale_f32 v11, vcc_lo, v9, v7, v9
	s_delay_alu instid0(VALU_DEP_1) | instskip(NEXT) | instid1(VALU_DEP_1)
	v_mul_f32_e32 v12, v11, v10
	v_fma_f32 v13, -v8, v12, v11
	s_delay_alu instid0(VALU_DEP_1) | instskip(NEXT) | instid1(VALU_DEP_1)
	v_fmac_f32_e32 v12, v13, v10
	v_fma_f32 v8, -v8, v12, v11
                                        ; implicit-def: $vgpr11
	s_delay_alu instid0(VALU_DEP_1) | instskip(NEXT) | instid1(VALU_DEP_1)
	v_div_fmas_f32 v8, v8, v10, v12
                                        ; implicit-def: $vgpr10
	v_div_fixup_f32 v7, v8, v7, v9
                                        ; implicit-def: $vgpr8
                                        ; implicit-def: $vgpr9
.LBB17_77:
	s_and_not1_saveexec_b32 s2, s2
	s_cbranch_execz .LBB17_79
; %bb.78:
	v_cmp_gt_f32_e64 vcc_lo, 0xf800000, |v8|
	v_mul_f32_e64 v9, v10, -v9
	s_delay_alu instid0(VALU_DEP_2) | instskip(NEXT) | instid1(VALU_DEP_1)
	v_cndmask_b32_e64 v7, |v8|, v11, vcc_lo
	v_sqrt_f32_e32 v8, v7
	s_waitcnt_depctr 0xfff
	v_add_nc_u32_e32 v11, -1, v8
	v_add_nc_u32_e32 v12, 1, v8
	s_delay_alu instid0(VALU_DEP_2) | instskip(NEXT) | instid1(VALU_DEP_2)
	v_fma_f32 v13, -v11, v8, v7
	v_fma_f32 v14, -v12, v8, v7
	s_delay_alu instid0(VALU_DEP_2) | instskip(NEXT) | instid1(VALU_DEP_1)
	v_cmp_ge_f32_e64 s0, 0, v13
	v_cndmask_b32_e64 v8, v8, v11, s0
	s_delay_alu instid0(VALU_DEP_3) | instskip(NEXT) | instid1(VALU_DEP_1)
	v_cmp_lt_f32_e64 s0, 0, v14
	v_cndmask_b32_e64 v8, v8, v12, s0
	s_delay_alu instid0(VALU_DEP_1) | instskip(NEXT) | instid1(VALU_DEP_1)
	v_mul_f32_e32 v11, 0x37800000, v8
	v_cndmask_b32_e32 v8, v8, v11, vcc_lo
	v_cmp_class_f32_e64 vcc_lo, v7, 0x260
	s_delay_alu instid0(VALU_DEP_2) | instskip(NEXT) | instid1(VALU_DEP_1)
	v_cndmask_b32_e32 v7, v8, v7, vcc_lo
	v_div_scale_f32 v8, null, v7, v7, v9
	s_delay_alu instid0(VALU_DEP_1) | instskip(SKIP_2) | instid1(VALU_DEP_1)
	v_rcp_f32_e32 v10, v8
	s_waitcnt_depctr 0xfff
	v_fma_f32 v11, -v8, v10, 1.0
	v_fmac_f32_e32 v10, v11, v10
	v_div_scale_f32 v11, vcc_lo, v9, v7, v9
	s_delay_alu instid0(VALU_DEP_1) | instskip(NEXT) | instid1(VALU_DEP_1)
	v_mul_f32_e32 v12, v11, v10
	v_fma_f32 v13, -v8, v12, v11
	s_delay_alu instid0(VALU_DEP_1) | instskip(NEXT) | instid1(VALU_DEP_1)
	v_fmac_f32_e32 v12, v13, v10
	v_fma_f32 v8, -v8, v12, v11
	s_delay_alu instid0(VALU_DEP_1) | instskip(NEXT) | instid1(VALU_DEP_1)
	v_div_fmas_f32 v8, v8, v10, v12
	v_div_fixup_f32 v7, v8, v7, v9
.LBB17_79:
	s_or_b32 exec_lo, exec_lo, s2
.LBB17_80:
	s_delay_alu instid0(SALU_CYCLE_1) | instskip(SKIP_3) | instid1(VALU_DEP_1)
	s_or_b32 exec_lo, exec_lo, s1
	global_load_b32 v8, v6, s[6:7]
                                        ; implicit-def: $vgpr6
	s_waitcnt vmcnt(0)
	v_cmp_ge_f32_e64 s0, 0x41000000, |v8|
	s_and_saveexec_b32 s1, s0
	s_delay_alu instid0(SALU_CYCLE_1)
	s_xor_b32 s0, exec_lo, s1
	s_cbranch_execz .LBB17_86
; %bb.81:
	v_fma_f32 v6, |v8|, 0.5, -2.0
	s_mov_b32 s1, 0x224cf950
	s_delay_alu instid0(VALU_DEP_1) | instid1(SALU_CYCLE_1)
	v_fmaak_f32 v9, s1, v6, 0xa3c2be86
	s_mov_b32 s1, exec_lo
	s_delay_alu instid0(VALU_DEP_1) | instskip(NEXT) | instid1(VALU_DEP_1)
	v_fmaak_f32 v10, v6, v9, 0xa24cf950
	v_add_f32_e32 v10, 0x25331f1f, v10
	s_delay_alu instid0(VALU_DEP_1) | instskip(NEXT) | instid1(VALU_DEP_1)
	v_fma_f32 v9, v6, v10, -v9
	v_add_f32_e32 v9, 0xa69f5554, v9
	s_delay_alu instid0(VALU_DEP_1) | instskip(NEXT) | instid1(VALU_DEP_1)
	v_fma_f32 v10, v6, v9, -v10
	;; [unrolled: 3-line block ×26, first 2 shown]
	v_add_f32_e32 v6, 0x3e81531c, v6
	s_delay_alu instid0(VALU_DEP_1)
	v_sub_f32_e32 v9, v6, v10
                                        ; implicit-def: $vgpr6
	v_cmpx_ngt_f32_e32 0, v8
	s_xor_b32 s1, exec_lo, s1
	s_cbranch_execz .LBB17_83
; %bb.82:
	v_mul_f32_e64 v6, 0x3fb8aa3b, |v8|
	v_cmp_ngt_f32_e64 vcc_lo, 0xc2ce8ed0, |v8|
	v_mul_f32_e32 v9, 0.5, v9
	s_delay_alu instid0(VALU_DEP_3) | instskip(SKIP_1) | instid1(VALU_DEP_3)
	v_rndne_f32_e32 v10, v6
	v_fma_f32 v11, 0x3fb8aa3b, |v8|, -v6
	v_mul_f32_e64 v9, |v8|, v9
	s_delay_alu instid0(VALU_DEP_3) | instskip(NEXT) | instid1(VALU_DEP_3)
	v_sub_f32_e32 v6, v6, v10
	v_fma_f32 v11, 0x32a5705f, |v8|, v11
	v_cvt_i32_f32_e32 v10, v10
	s_delay_alu instid0(VALU_DEP_2) | instskip(NEXT) | instid1(VALU_DEP_1)
	v_add_f32_e32 v6, v6, v11
	v_exp_f32_e32 v6, v6
	s_waitcnt_depctr 0xfff
	v_ldexp_f32 v6, v6, v10
	s_delay_alu instid0(VALU_DEP_1) | instskip(SKIP_1) | instid1(VALU_DEP_2)
	v_cndmask_b32_e32 v6, 0, v6, vcc_lo
	v_cmp_nlt_f32_e64 vcc_lo, 0x42b17218, |v8|
                                        ; implicit-def: $vgpr8
	v_cndmask_b32_e32 v6, 0x7f800000, v6, vcc_lo
	s_delay_alu instid0(VALU_DEP_1)
	v_mul_f32_e32 v6, v6, v9
                                        ; implicit-def: $vgpr9
.LBB17_83:
	s_and_not1_saveexec_b32 s1, s1
	s_cbranch_execz .LBB17_85
; %bb.84:
	v_mul_f32_e64 v6, 0x3fb8aa3b, |v8|
	v_cmp_ngt_f32_e64 vcc_lo, 0xc2ce8ed0, |v8|
	v_mul_f32_e32 v9, -0.5, v9
	s_delay_alu instid0(VALU_DEP_3) | instskip(SKIP_1) | instid1(VALU_DEP_2)
	v_rndne_f32_e32 v10, v6
	v_fma_f32 v11, 0x3fb8aa3b, |v8|, -v6
	v_sub_f32_e32 v6, v6, v10
	s_delay_alu instid0(VALU_DEP_2) | instskip(SKIP_1) | instid1(VALU_DEP_2)
	v_fma_f32 v11, 0x32a5705f, |v8|, v11
	v_cvt_i32_f32_e32 v10, v10
	v_add_f32_e32 v6, v6, v11
	s_delay_alu instid0(VALU_DEP_1) | instskip(SKIP_2) | instid1(VALU_DEP_1)
	v_exp_f32_e32 v6, v6
	s_waitcnt_depctr 0xfff
	v_ldexp_f32 v6, v6, v10
	v_cndmask_b32_e32 v6, 0, v6, vcc_lo
	v_cmp_nlt_f32_e64 vcc_lo, 0x42b17218, |v8|
	v_mul_f32_e64 v8, |v8|, v9
	s_delay_alu instid0(VALU_DEP_3) | instskip(NEXT) | instid1(VALU_DEP_1)
	v_cndmask_b32_e32 v6, 0x7f800000, v6, vcc_lo
	v_mul_f32_e32 v6, v6, v8
.LBB17_85:
	s_or_b32 exec_lo, exec_lo, s1
                                        ; implicit-def: $vgpr8
.LBB17_86:
	s_and_not1_saveexec_b32 s1, s0
	s_cbranch_execz .LBB17_92
; %bb.87:
	v_and_b32_e32 v6, 0x7fffffff, v8
	s_mov_b32 s0, 0x230aab6e
	s_delay_alu instid0(VALU_DEP_1) | instskip(SKIP_1) | instid1(VALU_DEP_2)
	v_div_scale_f32 v9, null, v6, v6, 0x42000000
	v_div_scale_f32 v6, vcc_lo, 0x42000000, v6, 0x42000000
	v_rcp_f32_e32 v10, v9
	s_waitcnt_depctr 0xfff
	v_fma_f32 v11, -v9, v10, 1.0
	s_delay_alu instid0(VALU_DEP_1) | instskip(NEXT) | instid1(VALU_DEP_1)
	v_fmac_f32_e32 v10, v11, v10
	v_mul_f32_e32 v11, v6, v10
	s_delay_alu instid0(VALU_DEP_1) | instskip(NEXT) | instid1(VALU_DEP_1)
	v_fma_f32 v12, -v9, v11, v6
	v_fmac_f32_e32 v11, v12, v10
	s_delay_alu instid0(VALU_DEP_1) | instskip(NEXT) | instid1(VALU_DEP_1)
	v_fma_f32 v6, -v9, v11, v6
	v_div_fmas_f32 v6, v6, v10, v11
	v_mul_f32_e64 v11, 0x3fb8aa3b, |v8|
	v_cmp_ngt_f32_e64 vcc_lo, 0xc2ce8ed0, |v8|
	s_delay_alu instid0(VALU_DEP_3) | instskip(NEXT) | instid1(VALU_DEP_3)
	v_div_fixup_f32 v6, v6, |v8|, 0x42000000
	v_rndne_f32_e32 v12, v11
	v_fma_f32 v13, 0x3fb8aa3b, |v8|, -v11
	s_delay_alu instid0(VALU_DEP_2) | instskip(NEXT) | instid1(VALU_DEP_2)
	v_dual_add_f32 v6, -2.0, v6 :: v_dual_sub_f32 v11, v11, v12
	v_fma_f32 v13, 0x32a5705f, |v8|, v13
	v_cvt_i32_f32_e32 v12, v12
	s_delay_alu instid0(VALU_DEP_3) | instskip(SKIP_1) | instid1(VALU_DEP_4)
	v_fmaak_f32 v9, s0, v6, 0x22a2dc57
	v_cmp_nlt_f32_e64 s0, 0x42b17218, |v8|
	v_add_f32_e32 v11, v11, v13
	s_delay_alu instid0(VALU_DEP_3) | instskip(NEXT) | instid1(VALU_DEP_2)
	v_fmaak_f32 v10, v6, v9, 0xa30aab6e
	v_exp_f32_e32 v11, v11
	s_delay_alu instid0(VALU_DEP_1) | instskip(NEXT) | instid1(VALU_DEP_1)
	v_add_f32_e32 v10, 0xa456751e, v10
	v_fma_f32 v9, v6, v10, -v9
	s_delay_alu instid0(VALU_DEP_1) | instskip(NEXT) | instid1(VALU_DEP_1)
	v_add_f32_e32 v9, 0xa4140365, v9
	v_fma_f32 v10, v6, v9, -v10
	;; [unrolled: 3-line block ×22, first 2 shown]
	v_ldexp_f32 v9, v11, v12
	v_mul_f32_e64 v11, 0x4f800000, |v8|
	s_delay_alu instid0(VALU_DEP_2) | instskip(NEXT) | instid1(VALU_DEP_1)
	v_dual_add_f32 v6, 0x3f4750c6, v6 :: v_dual_cndmask_b32 v9, 0, v9
	v_sub_f32_e32 v6, v6, v10
	s_delay_alu instid0(VALU_DEP_2) | instskip(SKIP_1) | instid1(VALU_DEP_2)
	v_cndmask_b32_e64 v9, 0x7f800000, v9, s0
	s_mov_b32 s0, exec_lo
	v_mul_f32_e32 v10, 0.5, v6
                                        ; implicit-def: $vgpr6
	v_cmpx_ngt_f32_e32 0, v8
	s_xor_b32 s2, exec_lo, s0
	s_cbranch_execz .LBB17_89
; %bb.88:
	v_cmp_gt_f32_e64 vcc_lo, 0xf800000, |v8|
	v_mul_f32_e32 v9, v9, v10
	s_delay_alu instid0(VALU_DEP_2) | instskip(NEXT) | instid1(VALU_DEP_1)
	v_cndmask_b32_e64 v6, |v8|, v11, vcc_lo
	v_sqrt_f32_e32 v8, v6
	s_waitcnt_depctr 0xfff
	v_add_nc_u32_e32 v11, -1, v8
	v_add_nc_u32_e32 v12, 1, v8
	s_delay_alu instid0(VALU_DEP_2) | instskip(NEXT) | instid1(VALU_DEP_2)
	v_fma_f32 v13, -v11, v8, v6
	v_fma_f32 v14, -v12, v8, v6
	s_delay_alu instid0(VALU_DEP_2) | instskip(NEXT) | instid1(VALU_DEP_1)
	v_cmp_ge_f32_e64 s0, 0, v13
	v_cndmask_b32_e64 v8, v8, v11, s0
	s_delay_alu instid0(VALU_DEP_3) | instskip(NEXT) | instid1(VALU_DEP_1)
	v_cmp_lt_f32_e64 s0, 0, v14
	v_cndmask_b32_e64 v8, v8, v12, s0
	s_delay_alu instid0(VALU_DEP_1) | instskip(NEXT) | instid1(VALU_DEP_1)
	v_mul_f32_e32 v11, 0x37800000, v8
	v_cndmask_b32_e32 v8, v8, v11, vcc_lo
	v_cmp_class_f32_e64 vcc_lo, v6, 0x260
	s_delay_alu instid0(VALU_DEP_2) | instskip(NEXT) | instid1(VALU_DEP_1)
	v_cndmask_b32_e32 v6, v8, v6, vcc_lo
	v_div_scale_f32 v8, null, v6, v6, v9
	s_delay_alu instid0(VALU_DEP_1) | instskip(SKIP_2) | instid1(VALU_DEP_1)
	v_rcp_f32_e32 v10, v8
	s_waitcnt_depctr 0xfff
	v_fma_f32 v11, -v8, v10, 1.0
	v_fmac_f32_e32 v10, v11, v10
	v_div_scale_f32 v11, vcc_lo, v9, v6, v9
	s_delay_alu instid0(VALU_DEP_1) | instskip(NEXT) | instid1(VALU_DEP_1)
	v_mul_f32_e32 v12, v11, v10
	v_fma_f32 v13, -v8, v12, v11
	s_delay_alu instid0(VALU_DEP_1) | instskip(NEXT) | instid1(VALU_DEP_1)
	v_fmac_f32_e32 v12, v13, v10
	v_fma_f32 v8, -v8, v12, v11
                                        ; implicit-def: $vgpr11
	s_delay_alu instid0(VALU_DEP_1) | instskip(NEXT) | instid1(VALU_DEP_1)
	v_div_fmas_f32 v8, v8, v10, v12
                                        ; implicit-def: $vgpr10
	v_div_fixup_f32 v6, v8, v6, v9
                                        ; implicit-def: $vgpr8
                                        ; implicit-def: $vgpr9
.LBB17_89:
	s_and_not1_saveexec_b32 s2, s2
	s_cbranch_execz .LBB17_91
; %bb.90:
	v_cmp_gt_f32_e64 vcc_lo, 0xf800000, |v8|
	v_mul_f32_e64 v9, v10, -v9
	s_delay_alu instid0(VALU_DEP_2) | instskip(NEXT) | instid1(VALU_DEP_1)
	v_cndmask_b32_e64 v6, |v8|, v11, vcc_lo
	v_sqrt_f32_e32 v8, v6
	s_waitcnt_depctr 0xfff
	v_add_nc_u32_e32 v11, -1, v8
	v_add_nc_u32_e32 v12, 1, v8
	s_delay_alu instid0(VALU_DEP_2) | instskip(NEXT) | instid1(VALU_DEP_2)
	v_fma_f32 v13, -v11, v8, v6
	v_fma_f32 v14, -v12, v8, v6
	s_delay_alu instid0(VALU_DEP_2) | instskip(NEXT) | instid1(VALU_DEP_1)
	v_cmp_ge_f32_e64 s0, 0, v13
	v_cndmask_b32_e64 v8, v8, v11, s0
	s_delay_alu instid0(VALU_DEP_3) | instskip(NEXT) | instid1(VALU_DEP_1)
	v_cmp_lt_f32_e64 s0, 0, v14
	v_cndmask_b32_e64 v8, v8, v12, s0
	s_delay_alu instid0(VALU_DEP_1) | instskip(NEXT) | instid1(VALU_DEP_1)
	v_mul_f32_e32 v11, 0x37800000, v8
	v_cndmask_b32_e32 v8, v8, v11, vcc_lo
	v_cmp_class_f32_e64 vcc_lo, v6, 0x260
	s_delay_alu instid0(VALU_DEP_2) | instskip(NEXT) | instid1(VALU_DEP_1)
	v_cndmask_b32_e32 v6, v8, v6, vcc_lo
	v_div_scale_f32 v8, null, v6, v6, v9
	s_delay_alu instid0(VALU_DEP_1) | instskip(SKIP_2) | instid1(VALU_DEP_1)
	v_rcp_f32_e32 v10, v8
	s_waitcnt_depctr 0xfff
	v_fma_f32 v11, -v8, v10, 1.0
	v_fmac_f32_e32 v10, v11, v10
	v_div_scale_f32 v11, vcc_lo, v9, v6, v9
	s_delay_alu instid0(VALU_DEP_1) | instskip(NEXT) | instid1(VALU_DEP_1)
	v_mul_f32_e32 v12, v11, v10
	v_fma_f32 v13, -v8, v12, v11
	s_delay_alu instid0(VALU_DEP_1) | instskip(NEXT) | instid1(VALU_DEP_1)
	v_fmac_f32_e32 v12, v13, v10
	v_fma_f32 v8, -v8, v12, v11
	s_delay_alu instid0(VALU_DEP_1) | instskip(NEXT) | instid1(VALU_DEP_1)
	v_div_fmas_f32 v8, v8, v10, v12
	v_div_fixup_f32 v6, v8, v6, v9
.LBB17_91:
	s_or_b32 exec_lo, exec_lo, s2
.LBB17_92:
	s_delay_alu instid0(SALU_CYCLE_1) | instskip(SKIP_3) | instid1(VALU_DEP_1)
	s_or_b32 exec_lo, exec_lo, s1
	global_load_b32 v8, v5, s[6:7]
                                        ; implicit-def: $vgpr5
	s_waitcnt vmcnt(0)
	v_cmp_ge_f32_e64 s0, 0x41000000, |v8|
	s_and_saveexec_b32 s1, s0
	s_delay_alu instid0(SALU_CYCLE_1)
	s_xor_b32 s0, exec_lo, s1
	s_cbranch_execz .LBB17_98
; %bb.93:
	v_fma_f32 v5, |v8|, 0.5, -2.0
	s_mov_b32 s1, 0x224cf950
	s_delay_alu instid0(VALU_DEP_1) | instid1(SALU_CYCLE_1)
	v_fmaak_f32 v9, s1, v5, 0xa3c2be86
	s_mov_b32 s1, exec_lo
	s_delay_alu instid0(VALU_DEP_1) | instskip(NEXT) | instid1(VALU_DEP_1)
	v_fmaak_f32 v10, v5, v9, 0xa24cf950
	v_add_f32_e32 v10, 0x25331f1f, v10
	s_delay_alu instid0(VALU_DEP_1) | instskip(NEXT) | instid1(VALU_DEP_1)
	v_fma_f32 v9, v5, v10, -v9
	v_add_f32_e32 v9, 0xa69f5554, v9
	s_delay_alu instid0(VALU_DEP_1) | instskip(NEXT) | instid1(VALU_DEP_1)
	v_fma_f32 v10, v5, v9, -v10
	;; [unrolled: 3-line block ×26, first 2 shown]
	v_add_f32_e32 v5, 0x3e81531c, v5
	s_delay_alu instid0(VALU_DEP_1)
	v_sub_f32_e32 v9, v5, v10
                                        ; implicit-def: $vgpr5
	v_cmpx_ngt_f32_e32 0, v8
	s_xor_b32 s1, exec_lo, s1
	s_cbranch_execz .LBB17_95
; %bb.94:
	v_mul_f32_e64 v5, 0x3fb8aa3b, |v8|
	v_cmp_ngt_f32_e64 vcc_lo, 0xc2ce8ed0, |v8|
	v_mul_f32_e32 v9, 0.5, v9
	s_delay_alu instid0(VALU_DEP_3) | instskip(SKIP_1) | instid1(VALU_DEP_3)
	v_rndne_f32_e32 v10, v5
	v_fma_f32 v11, 0x3fb8aa3b, |v8|, -v5
	v_mul_f32_e64 v9, |v8|, v9
	s_delay_alu instid0(VALU_DEP_3) | instskip(NEXT) | instid1(VALU_DEP_3)
	v_sub_f32_e32 v5, v5, v10
	v_fma_f32 v11, 0x32a5705f, |v8|, v11
	v_cvt_i32_f32_e32 v10, v10
	s_delay_alu instid0(VALU_DEP_2) | instskip(NEXT) | instid1(VALU_DEP_1)
	v_add_f32_e32 v5, v5, v11
	v_exp_f32_e32 v5, v5
	s_waitcnt_depctr 0xfff
	v_ldexp_f32 v5, v5, v10
	s_delay_alu instid0(VALU_DEP_1) | instskip(SKIP_1) | instid1(VALU_DEP_2)
	v_cndmask_b32_e32 v5, 0, v5, vcc_lo
	v_cmp_nlt_f32_e64 vcc_lo, 0x42b17218, |v8|
                                        ; implicit-def: $vgpr8
	v_cndmask_b32_e32 v5, 0x7f800000, v5, vcc_lo
	s_delay_alu instid0(VALU_DEP_1)
	v_mul_f32_e32 v5, v5, v9
                                        ; implicit-def: $vgpr9
.LBB17_95:
	s_and_not1_saveexec_b32 s1, s1
	s_cbranch_execz .LBB17_97
; %bb.96:
	v_mul_f32_e64 v5, 0x3fb8aa3b, |v8|
	v_cmp_ngt_f32_e64 vcc_lo, 0xc2ce8ed0, |v8|
	v_mul_f32_e32 v9, -0.5, v9
	s_delay_alu instid0(VALU_DEP_3) | instskip(SKIP_1) | instid1(VALU_DEP_2)
	v_rndne_f32_e32 v10, v5
	v_fma_f32 v11, 0x3fb8aa3b, |v8|, -v5
	v_sub_f32_e32 v5, v5, v10
	s_delay_alu instid0(VALU_DEP_2) | instskip(SKIP_1) | instid1(VALU_DEP_2)
	v_fma_f32 v11, 0x32a5705f, |v8|, v11
	v_cvt_i32_f32_e32 v10, v10
	v_add_f32_e32 v5, v5, v11
	s_delay_alu instid0(VALU_DEP_1) | instskip(SKIP_2) | instid1(VALU_DEP_1)
	v_exp_f32_e32 v5, v5
	s_waitcnt_depctr 0xfff
	v_ldexp_f32 v5, v5, v10
	v_cndmask_b32_e32 v5, 0, v5, vcc_lo
	v_cmp_nlt_f32_e64 vcc_lo, 0x42b17218, |v8|
	v_mul_f32_e64 v8, |v8|, v9
	s_delay_alu instid0(VALU_DEP_3) | instskip(NEXT) | instid1(VALU_DEP_1)
	v_cndmask_b32_e32 v5, 0x7f800000, v5, vcc_lo
	v_mul_f32_e32 v5, v5, v8
.LBB17_97:
	s_or_b32 exec_lo, exec_lo, s1
                                        ; implicit-def: $vgpr8
.LBB17_98:
	s_and_not1_saveexec_b32 s1, s0
	s_cbranch_execz .LBB17_104
; %bb.99:
	v_and_b32_e32 v5, 0x7fffffff, v8
	s_mov_b32 s0, 0x230aab6e
	s_delay_alu instid0(VALU_DEP_1) | instskip(NEXT) | instid1(VALU_DEP_1)
	v_div_scale_f32 v9, null, v5, v5, 0x42000000
	v_rcp_f32_e32 v10, v9
	s_waitcnt_depctr 0xfff
	v_fma_f32 v11, -v9, v10, 1.0
	s_delay_alu instid0(VALU_DEP_1) | instskip(SKIP_1) | instid1(VALU_DEP_1)
	v_fmac_f32_e32 v10, v11, v10
	v_div_scale_f32 v5, vcc_lo, 0x42000000, v5, 0x42000000
	v_mul_f32_e32 v11, v5, v10
	s_delay_alu instid0(VALU_DEP_1) | instskip(NEXT) | instid1(VALU_DEP_1)
	v_fma_f32 v12, -v9, v11, v5
	v_fmac_f32_e32 v11, v12, v10
	s_delay_alu instid0(VALU_DEP_1) | instskip(NEXT) | instid1(VALU_DEP_1)
	v_fma_f32 v5, -v9, v11, v5
	v_div_fmas_f32 v5, v5, v10, v11
	v_mul_f32_e64 v11, 0x3fb8aa3b, |v8|
	v_cmp_ngt_f32_e64 vcc_lo, 0xc2ce8ed0, |v8|
	s_delay_alu instid0(VALU_DEP_3) | instskip(NEXT) | instid1(VALU_DEP_3)
	v_div_fixup_f32 v5, v5, |v8|, 0x42000000
	v_rndne_f32_e32 v12, v11
	v_fma_f32 v13, 0x3fb8aa3b, |v8|, -v11
	s_delay_alu instid0(VALU_DEP_3) | instskip(NEXT) | instid1(VALU_DEP_3)
	v_add_f32_e32 v5, -2.0, v5
	v_sub_f32_e32 v11, v11, v12
	s_delay_alu instid0(VALU_DEP_3) | instskip(SKIP_1) | instid1(VALU_DEP_4)
	v_fma_f32 v13, 0x32a5705f, |v8|, v13
	v_cvt_i32_f32_e32 v12, v12
	v_fmaak_f32 v9, s0, v5, 0x22a2dc57
	v_cmp_nlt_f32_e64 s0, 0x42b17218, |v8|
	s_delay_alu instid0(VALU_DEP_4) | instskip(NEXT) | instid1(VALU_DEP_3)
	v_add_f32_e32 v11, v11, v13
	v_fmaak_f32 v10, v5, v9, 0xa30aab6e
	s_delay_alu instid0(VALU_DEP_2) | instskip(NEXT) | instid1(VALU_DEP_1)
	v_exp_f32_e32 v11, v11
	v_add_f32_e32 v10, 0xa456751e, v10
	s_delay_alu instid0(VALU_DEP_1) | instskip(NEXT) | instid1(VALU_DEP_1)
	v_fma_f32 v9, v5, v10, -v9
	v_add_f32_e32 v9, 0xa4140365, v9
	s_delay_alu instid0(VALU_DEP_1) | instskip(NEXT) | instid1(VALU_DEP_1)
	v_fma_f32 v10, v5, v9, -v10
	;; [unrolled: 3-line block ×21, first 2 shown]
	v_add_f32_e32 v9, 0xbc1fed03, v9
	s_delay_alu instid0(VALU_DEP_1) | instskip(SKIP_2) | instid1(VALU_DEP_3)
	v_fma_f32 v5, v5, v9, -v10
	v_ldexp_f32 v9, v11, v12
	v_mul_f32_e64 v11, 0x4f800000, |v8|
	v_add_f32_e32 v5, 0x3f4750c6, v5
	s_delay_alu instid0(VALU_DEP_3) | instskip(NEXT) | instid1(VALU_DEP_2)
	v_cndmask_b32_e32 v9, 0, v9, vcc_lo
	v_sub_f32_e32 v5, v5, v10
	s_delay_alu instid0(VALU_DEP_2) | instskip(SKIP_1) | instid1(VALU_DEP_2)
	v_cndmask_b32_e64 v9, 0x7f800000, v9, s0
	s_mov_b32 s0, exec_lo
	v_mul_f32_e32 v10, 0.5, v5
                                        ; implicit-def: $vgpr5
	v_cmpx_ngt_f32_e32 0, v8
	s_xor_b32 s2, exec_lo, s0
	s_cbranch_execz .LBB17_101
; %bb.100:
	v_cmp_gt_f32_e64 vcc_lo, 0xf800000, |v8|
	v_mul_f32_e32 v9, v9, v10
	s_delay_alu instid0(VALU_DEP_2) | instskip(NEXT) | instid1(VALU_DEP_1)
	v_cndmask_b32_e64 v5, |v8|, v11, vcc_lo
	v_sqrt_f32_e32 v8, v5
	s_waitcnt_depctr 0xfff
	v_add_nc_u32_e32 v11, -1, v8
	v_add_nc_u32_e32 v12, 1, v8
	s_delay_alu instid0(VALU_DEP_2) | instskip(NEXT) | instid1(VALU_DEP_2)
	v_fma_f32 v13, -v11, v8, v5
	v_fma_f32 v14, -v12, v8, v5
	s_delay_alu instid0(VALU_DEP_2) | instskip(NEXT) | instid1(VALU_DEP_1)
	v_cmp_ge_f32_e64 s0, 0, v13
	v_cndmask_b32_e64 v8, v8, v11, s0
	s_delay_alu instid0(VALU_DEP_3) | instskip(NEXT) | instid1(VALU_DEP_1)
	v_cmp_lt_f32_e64 s0, 0, v14
	v_cndmask_b32_e64 v8, v8, v12, s0
	s_delay_alu instid0(VALU_DEP_1) | instskip(NEXT) | instid1(VALU_DEP_1)
	v_mul_f32_e32 v11, 0x37800000, v8
	v_cndmask_b32_e32 v8, v8, v11, vcc_lo
	v_cmp_class_f32_e64 vcc_lo, v5, 0x260
	s_delay_alu instid0(VALU_DEP_2) | instskip(NEXT) | instid1(VALU_DEP_1)
	v_cndmask_b32_e32 v5, v8, v5, vcc_lo
	v_div_scale_f32 v8, null, v5, v5, v9
	s_delay_alu instid0(VALU_DEP_1) | instskip(SKIP_2) | instid1(VALU_DEP_1)
	v_rcp_f32_e32 v10, v8
	s_waitcnt_depctr 0xfff
	v_fma_f32 v11, -v8, v10, 1.0
	v_fmac_f32_e32 v10, v11, v10
	v_div_scale_f32 v11, vcc_lo, v9, v5, v9
	s_delay_alu instid0(VALU_DEP_1) | instskip(NEXT) | instid1(VALU_DEP_1)
	v_mul_f32_e32 v12, v11, v10
	v_fma_f32 v13, -v8, v12, v11
	s_delay_alu instid0(VALU_DEP_1) | instskip(NEXT) | instid1(VALU_DEP_1)
	v_fmac_f32_e32 v12, v13, v10
	v_fma_f32 v8, -v8, v12, v11
                                        ; implicit-def: $vgpr11
	s_delay_alu instid0(VALU_DEP_1) | instskip(NEXT) | instid1(VALU_DEP_1)
	v_div_fmas_f32 v8, v8, v10, v12
                                        ; implicit-def: $vgpr10
	v_div_fixup_f32 v5, v8, v5, v9
                                        ; implicit-def: $vgpr8
                                        ; implicit-def: $vgpr9
.LBB17_101:
	s_and_not1_saveexec_b32 s2, s2
	s_cbranch_execz .LBB17_103
; %bb.102:
	v_cmp_gt_f32_e64 vcc_lo, 0xf800000, |v8|
	v_mul_f32_e64 v9, v10, -v9
	s_delay_alu instid0(VALU_DEP_2) | instskip(NEXT) | instid1(VALU_DEP_1)
	v_cndmask_b32_e64 v5, |v8|, v11, vcc_lo
	v_sqrt_f32_e32 v8, v5
	s_waitcnt_depctr 0xfff
	v_add_nc_u32_e32 v11, -1, v8
	v_add_nc_u32_e32 v12, 1, v8
	s_delay_alu instid0(VALU_DEP_2) | instskip(NEXT) | instid1(VALU_DEP_2)
	v_fma_f32 v13, -v11, v8, v5
	v_fma_f32 v14, -v12, v8, v5
	s_delay_alu instid0(VALU_DEP_2) | instskip(NEXT) | instid1(VALU_DEP_1)
	v_cmp_ge_f32_e64 s0, 0, v13
	v_cndmask_b32_e64 v8, v8, v11, s0
	s_delay_alu instid0(VALU_DEP_3) | instskip(NEXT) | instid1(VALU_DEP_1)
	v_cmp_lt_f32_e64 s0, 0, v14
	v_cndmask_b32_e64 v8, v8, v12, s0
	s_delay_alu instid0(VALU_DEP_1) | instskip(NEXT) | instid1(VALU_DEP_1)
	v_mul_f32_e32 v11, 0x37800000, v8
	v_cndmask_b32_e32 v8, v8, v11, vcc_lo
	v_cmp_class_f32_e64 vcc_lo, v5, 0x260
	s_delay_alu instid0(VALU_DEP_2) | instskip(NEXT) | instid1(VALU_DEP_1)
	v_cndmask_b32_e32 v5, v8, v5, vcc_lo
	v_div_scale_f32 v8, null, v5, v5, v9
	s_delay_alu instid0(VALU_DEP_1) | instskip(SKIP_2) | instid1(VALU_DEP_1)
	v_rcp_f32_e32 v10, v8
	s_waitcnt_depctr 0xfff
	v_fma_f32 v11, -v8, v10, 1.0
	v_fmac_f32_e32 v10, v11, v10
	v_div_scale_f32 v11, vcc_lo, v9, v5, v9
	s_delay_alu instid0(VALU_DEP_1) | instskip(NEXT) | instid1(VALU_DEP_1)
	v_mul_f32_e32 v12, v11, v10
	v_fma_f32 v13, -v8, v12, v11
	s_delay_alu instid0(VALU_DEP_1) | instskip(NEXT) | instid1(VALU_DEP_1)
	v_fmac_f32_e32 v12, v13, v10
	v_fma_f32 v8, -v8, v12, v11
	s_delay_alu instid0(VALU_DEP_1) | instskip(NEXT) | instid1(VALU_DEP_1)
	v_div_fmas_f32 v8, v8, v10, v12
	v_div_fixup_f32 v5, v8, v5, v9
.LBB17_103:
	s_or_b32 exec_lo, exec_lo, s2
.LBB17_104:
	s_delay_alu instid0(SALU_CYCLE_1) | instskip(SKIP_3) | instid1(VALU_DEP_1)
	s_or_b32 exec_lo, exec_lo, s1
	global_load_b32 v4, v4, s[6:7]
                                        ; implicit-def: $vgpr8
	s_waitcnt vmcnt(0)
	v_cmp_ge_f32_e64 s0, 0x41000000, |v4|
	s_and_saveexec_b32 s1, s0
	s_delay_alu instid0(SALU_CYCLE_1)
	s_xor_b32 s0, exec_lo, s1
	s_cbranch_execz .LBB17_110
; %bb.105:
	v_fma_f32 v8, |v4|, 0.5, -2.0
	s_mov_b32 s1, 0x224cf950
	s_delay_alu instid0(VALU_DEP_1) | instid1(SALU_CYCLE_1)
	v_fmaak_f32 v9, s1, v8, 0xa3c2be86
	s_mov_b32 s1, exec_lo
	s_delay_alu instid0(VALU_DEP_1) | instskip(NEXT) | instid1(VALU_DEP_1)
	v_fmaak_f32 v10, v8, v9, 0xa24cf950
	v_add_f32_e32 v10, 0x25331f1f, v10
	s_delay_alu instid0(VALU_DEP_1) | instskip(NEXT) | instid1(VALU_DEP_1)
	v_fma_f32 v9, v8, v10, -v9
	v_add_f32_e32 v9, 0xa69f5554, v9
	s_delay_alu instid0(VALU_DEP_1) | instskip(NEXT) | instid1(VALU_DEP_1)
	v_fma_f32 v10, v8, v9, -v10
	v_add_f32_e32 v10, 0x2808ebf8, v10
	s_delay_alu instid0(VALU_DEP_1) | instskip(NEXT) | instid1(VALU_DEP_1)
	v_fma_f32 v9, v8, v10, -v9
	v_add_f32_e32 v9, 0xa9631471, v9
	s_delay_alu instid0(VALU_DEP_1) | instskip(NEXT) | instid1(VALU_DEP_1)
	v_fma_f32 v10, v8, v9, -v10
	v_add_f32_e32 v10, 0x2ab57bc2, v10
	s_delay_alu instid0(VALU_DEP_1) | instskip(NEXT) | instid1(VALU_DEP_1)
	v_fma_f32 v9, v8, v10, -v9
	v_add_f32_e32 v9, 0xac0b9c1b, v9
	s_delay_alu instid0(VALU_DEP_1) | instskip(NEXT) | instid1(VALU_DEP_1)
	v_fma_f32 v10, v8, v9, -v10
	v_add_f32_e32 v10, 0x2d4e7716, v10
	s_delay_alu instid0(VALU_DEP_1) | instskip(NEXT) | instid1(VALU_DEP_1)
	v_fma_f32 v9, v8, v10, -v9
	v_add_f32_e32 v9, 0xae92881d, v9
	s_delay_alu instid0(VALU_DEP_1) | instskip(NEXT) | instid1(VALU_DEP_1)
	v_fma_f32 v10, v8, v9, -v10
	v_add_f32_e32 v10, 0x2fc751a6, v10
	s_delay_alu instid0(VALU_DEP_1) | instskip(NEXT) | instid1(VALU_DEP_1)
	v_fma_f32 v9, v8, v10, -v9
	v_add_f32_e32 v9, 0xb101b0d9, v9
	s_delay_alu instid0(VALU_DEP_1) | instskip(NEXT) | instid1(VALU_DEP_1)
	v_fma_f32 v10, v8, v9, -v10
	v_add_f32_e32 v10, 0x32212c70, v10
	s_delay_alu instid0(VALU_DEP_1) | instskip(NEXT) | instid1(VALU_DEP_1)
	v_fma_f32 v9, v8, v10, -v9
	v_add_f32_e32 v9, 0xb33ee9f1, v9
	s_delay_alu instid0(VALU_DEP_1) | instskip(NEXT) | instid1(VALU_DEP_1)
	v_fma_f32 v10, v8, v9, -v10
	v_add_f32_e32 v10, 0x34571a26, v10
	s_delay_alu instid0(VALU_DEP_1) | instskip(NEXT) | instid1(VALU_DEP_1)
	v_fma_f32 v9, v8, v10, -v9
	v_add_f32_e32 v9, 0xb56603cc, v9
	s_delay_alu instid0(VALU_DEP_1) | instskip(NEXT) | instid1(VALU_DEP_1)
	v_fma_f32 v10, v8, v9, -v10
	v_add_f32_e32 v10, 0x3668e277, v10
	s_delay_alu instid0(VALU_DEP_1) | instskip(NEXT) | instid1(VALU_DEP_1)
	v_fma_f32 v9, v8, v10, -v9
	v_add_f32_e32 v9, 0xb75eafce, v9
	s_delay_alu instid0(VALU_DEP_1) | instskip(NEXT) | instid1(VALU_DEP_1)
	v_fma_f32 v10, v8, v9, -v10
	v_add_f32_e32 v10, 0x38488daa, v10
	s_delay_alu instid0(VALU_DEP_1) | instskip(NEXT) | instid1(VALU_DEP_1)
	v_fma_f32 v9, v8, v10, -v9
	v_add_f32_e32 v9, 0xb9299e57, v9
	s_delay_alu instid0(VALU_DEP_1) | instskip(NEXT) | instid1(VALU_DEP_1)
	v_fma_f32 v10, v8, v9, -v10
	v_add_f32_e32 v10, 0x3a064aee, v10
	s_delay_alu instid0(VALU_DEP_1) | instskip(NEXT) | instid1(VALU_DEP_1)
	v_fma_f32 v9, v8, v10, -v9
	v_add_f32_e32 v9, 0xbac66310, v9
	s_delay_alu instid0(VALU_DEP_1) | instskip(NEXT) | instid1(VALU_DEP_1)
	v_fma_f32 v10, v8, v9, -v10
	v_add_f32_e32 v10, 0x3b88329a, v10
	s_delay_alu instid0(VALU_DEP_1) | instskip(NEXT) | instid1(VALU_DEP_1)
	v_fma_f32 v9, v8, v10, -v9
	v_add_f32_e32 v9, 0xbc2d14fc, v9
	s_delay_alu instid0(VALU_DEP_1) | instskip(NEXT) | instid1(VALU_DEP_1)
	v_fma_f32 v10, v8, v9, -v10
	v_add_f32_e32 v10, 0x3cca8f1f, v10
	s_delay_alu instid0(VALU_DEP_1) | instskip(NEXT) | instid1(VALU_DEP_1)
	v_fma_f32 v9, v8, v10, -v9
	v_add_f32_e32 v9, 0xbd58dde3, v9
	s_delay_alu instid0(VALU_DEP_1) | instskip(NEXT) | instid1(VALU_DEP_1)
	v_fma_f32 v10, v8, v9, -v10
	v_add_f32_e32 v10, 0x3dd236d7, v10
	s_delay_alu instid0(VALU_DEP_1) | instskip(NEXT) | instid1(VALU_DEP_1)
	v_fma_f32 v9, v8, v10, -v9
	v_add_f32_e32 v9, 0xbe34a688, v9
	s_delay_alu instid0(VALU_DEP_1) | instskip(NEXT) | instid1(VALU_DEP_1)
	v_fma_f32 v8, v8, v9, -v10
	v_add_f32_e32 v8, 0x3e81531c, v8
	s_delay_alu instid0(VALU_DEP_1)
	v_sub_f32_e32 v9, v8, v10
                                        ; implicit-def: $vgpr8
	v_cmpx_ngt_f32_e32 0, v4
	s_xor_b32 s1, exec_lo, s1
	s_cbranch_execz .LBB17_107
; %bb.106:
	v_mul_f32_e64 v8, 0x3fb8aa3b, |v4|
	v_cmp_ngt_f32_e64 vcc_lo, 0xc2ce8ed0, |v4|
	v_mul_f32_e32 v9, 0.5, v9
	s_delay_alu instid0(VALU_DEP_3) | instskip(SKIP_1) | instid1(VALU_DEP_3)
	v_rndne_f32_e32 v10, v8
	v_fma_f32 v11, 0x3fb8aa3b, |v4|, -v8
	v_mul_f32_e64 v9, |v4|, v9
	s_delay_alu instid0(VALU_DEP_3) | instskip(NEXT) | instid1(VALU_DEP_3)
	v_sub_f32_e32 v8, v8, v10
	v_fma_f32 v11, 0x32a5705f, |v4|, v11
	v_cvt_i32_f32_e32 v10, v10
	s_delay_alu instid0(VALU_DEP_2) | instskip(NEXT) | instid1(VALU_DEP_1)
	v_add_f32_e32 v8, v8, v11
	v_exp_f32_e32 v8, v8
	s_waitcnt_depctr 0xfff
	v_ldexp_f32 v8, v8, v10
	s_delay_alu instid0(VALU_DEP_1) | instskip(SKIP_1) | instid1(VALU_DEP_2)
	v_cndmask_b32_e32 v8, 0, v8, vcc_lo
	v_cmp_nlt_f32_e64 vcc_lo, 0x42b17218, |v4|
	v_cndmask_b32_e32 v4, 0x7f800000, v8, vcc_lo
	s_delay_alu instid0(VALU_DEP_1)
	v_mul_f32_e32 v8, v4, v9
                                        ; implicit-def: $vgpr4
                                        ; implicit-def: $vgpr9
.LBB17_107:
	s_and_not1_saveexec_b32 s1, s1
	s_cbranch_execz .LBB17_109
; %bb.108:
	v_mul_f32_e64 v8, 0x3fb8aa3b, |v4|
	v_cmp_ngt_f32_e64 vcc_lo, 0xc2ce8ed0, |v4|
	v_mul_f32_e32 v9, -0.5, v9
	s_delay_alu instid0(VALU_DEP_3) | instskip(SKIP_1) | instid1(VALU_DEP_2)
	v_rndne_f32_e32 v10, v8
	v_fma_f32 v11, 0x3fb8aa3b, |v4|, -v8
	v_sub_f32_e32 v8, v8, v10
	s_delay_alu instid0(VALU_DEP_2) | instskip(SKIP_1) | instid1(VALU_DEP_2)
	v_fma_f32 v11, 0x32a5705f, |v4|, v11
	v_cvt_i32_f32_e32 v10, v10
	v_add_f32_e32 v8, v8, v11
	s_delay_alu instid0(VALU_DEP_1) | instskip(SKIP_2) | instid1(VALU_DEP_1)
	v_exp_f32_e32 v8, v8
	s_waitcnt_depctr 0xfff
	v_ldexp_f32 v8, v8, v10
	v_cndmask_b32_e32 v8, 0, v8, vcc_lo
	v_cmp_nlt_f32_e64 vcc_lo, 0x42b17218, |v4|
	v_mul_f32_e64 v4, |v4|, v9
	s_delay_alu instid0(VALU_DEP_3) | instskip(NEXT) | instid1(VALU_DEP_1)
	v_cndmask_b32_e32 v8, 0x7f800000, v8, vcc_lo
	v_mul_f32_e32 v8, v8, v4
.LBB17_109:
	s_or_b32 exec_lo, exec_lo, s1
                                        ; implicit-def: $vgpr4
.LBB17_110:
	s_and_not1_saveexec_b32 s1, s0
	s_cbranch_execz .LBB17_116
; %bb.111:
	v_and_b32_e32 v8, 0x7fffffff, v4
	s_mov_b32 s0, 0x230aab6e
	s_delay_alu instid0(VALU_DEP_1) | instskip(SKIP_1) | instid1(VALU_DEP_2)
	v_div_scale_f32 v9, null, v8, v8, 0x42000000
	v_div_scale_f32 v8, vcc_lo, 0x42000000, v8, 0x42000000
	v_rcp_f32_e32 v10, v9
	s_waitcnt_depctr 0xfff
	v_fma_f32 v11, -v9, v10, 1.0
	s_delay_alu instid0(VALU_DEP_1) | instskip(NEXT) | instid1(VALU_DEP_1)
	v_fmac_f32_e32 v10, v11, v10
	v_mul_f32_e32 v11, v8, v10
	s_delay_alu instid0(VALU_DEP_1) | instskip(NEXT) | instid1(VALU_DEP_1)
	v_fma_f32 v12, -v9, v11, v8
	v_fmac_f32_e32 v11, v12, v10
	s_delay_alu instid0(VALU_DEP_1) | instskip(NEXT) | instid1(VALU_DEP_1)
	v_fma_f32 v8, -v9, v11, v8
	v_div_fmas_f32 v8, v8, v10, v11
	v_mul_f32_e64 v11, 0x3fb8aa3b, |v4|
	v_cmp_ngt_f32_e64 vcc_lo, 0xc2ce8ed0, |v4|
	s_delay_alu instid0(VALU_DEP_3) | instskip(NEXT) | instid1(VALU_DEP_3)
	v_div_fixup_f32 v8, v8, |v4|, 0x42000000
	v_rndne_f32_e32 v12, v11
	v_fma_f32 v13, 0x3fb8aa3b, |v4|, -v11
	s_delay_alu instid0(VALU_DEP_3) | instskip(NEXT) | instid1(VALU_DEP_3)
	v_add_f32_e32 v8, -2.0, v8
	v_sub_f32_e32 v11, v11, v12
	s_delay_alu instid0(VALU_DEP_3) | instskip(SKIP_1) | instid1(VALU_DEP_4)
	v_fma_f32 v13, 0x32a5705f, |v4|, v13
	v_cvt_i32_f32_e32 v12, v12
	v_fmaak_f32 v9, s0, v8, 0x22a2dc57
	v_cmp_nlt_f32_e64 s0, 0x42b17218, |v4|
	s_delay_alu instid0(VALU_DEP_4) | instskip(NEXT) | instid1(VALU_DEP_3)
	v_add_f32_e32 v11, v11, v13
	v_fmaak_f32 v10, v8, v9, 0xa30aab6e
	s_delay_alu instid0(VALU_DEP_2) | instskip(NEXT) | instid1(VALU_DEP_1)
	v_exp_f32_e32 v11, v11
	v_add_f32_e32 v10, 0xa456751e, v10
	s_delay_alu instid0(VALU_DEP_1) | instskip(NEXT) | instid1(VALU_DEP_1)
	v_fma_f32 v9, v8, v10, -v9
	v_add_f32_e32 v9, 0xa4140365, v9
	s_delay_alu instid0(VALU_DEP_1) | instskip(NEXT) | instid1(VALU_DEP_1)
	v_fma_f32 v10, v8, v9, -v10
	;; [unrolled: 3-line block ×21, first 2 shown]
	v_add_f32_e32 v9, 0xbc1fed03, v9
	s_delay_alu instid0(VALU_DEP_1) | instskip(SKIP_2) | instid1(VALU_DEP_2)
	v_fma_f32 v8, v8, v9, -v10
	v_ldexp_f32 v9, v11, v12
	v_mul_f32_e64 v11, 0x4f800000, |v4|
	v_dual_add_f32 v8, 0x3f4750c6, v8 :: v_dual_cndmask_b32 v9, 0, v9
	s_delay_alu instid0(VALU_DEP_1) | instskip(NEXT) | instid1(VALU_DEP_2)
	v_sub_f32_e32 v8, v8, v10
	v_cndmask_b32_e64 v9, 0x7f800000, v9, s0
	s_mov_b32 s0, exec_lo
	s_delay_alu instid0(VALU_DEP_2)
	v_mul_f32_e32 v10, 0.5, v8
                                        ; implicit-def: $vgpr8
	v_cmpx_ngt_f32_e32 0, v4
	s_xor_b32 s2, exec_lo, s0
	s_cbranch_execz .LBB17_113
; %bb.112:
	v_cmp_gt_f32_e64 vcc_lo, 0xf800000, |v4|
	v_mul_f32_e32 v9, v9, v10
	s_delay_alu instid0(VALU_DEP_2) | instskip(NEXT) | instid1(VALU_DEP_1)
	v_cndmask_b32_e64 v4, |v4|, v11, vcc_lo
	v_sqrt_f32_e32 v8, v4
	s_waitcnt_depctr 0xfff
	v_add_nc_u32_e32 v11, -1, v8
	v_add_nc_u32_e32 v12, 1, v8
	s_delay_alu instid0(VALU_DEP_2) | instskip(NEXT) | instid1(VALU_DEP_2)
	v_fma_f32 v13, -v11, v8, v4
	v_fma_f32 v14, -v12, v8, v4
	s_delay_alu instid0(VALU_DEP_2) | instskip(NEXT) | instid1(VALU_DEP_1)
	v_cmp_ge_f32_e64 s0, 0, v13
	v_cndmask_b32_e64 v8, v8, v11, s0
	s_delay_alu instid0(VALU_DEP_3) | instskip(NEXT) | instid1(VALU_DEP_1)
	v_cmp_lt_f32_e64 s0, 0, v14
	v_cndmask_b32_e64 v8, v8, v12, s0
	s_delay_alu instid0(VALU_DEP_1) | instskip(NEXT) | instid1(VALU_DEP_1)
	v_mul_f32_e32 v11, 0x37800000, v8
	v_cndmask_b32_e32 v8, v8, v11, vcc_lo
	v_cmp_class_f32_e64 vcc_lo, v4, 0x260
	s_delay_alu instid0(VALU_DEP_2) | instskip(NEXT) | instid1(VALU_DEP_1)
	v_cndmask_b32_e32 v4, v8, v4, vcc_lo
	v_div_scale_f32 v8, null, v4, v4, v9
	s_delay_alu instid0(VALU_DEP_1) | instskip(SKIP_2) | instid1(VALU_DEP_1)
	v_rcp_f32_e32 v10, v8
	s_waitcnt_depctr 0xfff
	v_fma_f32 v11, -v8, v10, 1.0
	v_fmac_f32_e32 v10, v11, v10
	v_div_scale_f32 v11, vcc_lo, v9, v4, v9
	s_delay_alu instid0(VALU_DEP_1) | instskip(NEXT) | instid1(VALU_DEP_1)
	v_mul_f32_e32 v12, v11, v10
	v_fma_f32 v13, -v8, v12, v11
	s_delay_alu instid0(VALU_DEP_1) | instskip(NEXT) | instid1(VALU_DEP_1)
	v_fmac_f32_e32 v12, v13, v10
	v_fma_f32 v8, -v8, v12, v11
                                        ; implicit-def: $vgpr11
	s_delay_alu instid0(VALU_DEP_1) | instskip(NEXT) | instid1(VALU_DEP_1)
	v_div_fmas_f32 v8, v8, v10, v12
                                        ; implicit-def: $vgpr10
	v_div_fixup_f32 v8, v8, v4, v9
                                        ; implicit-def: $vgpr4
                                        ; implicit-def: $vgpr9
.LBB17_113:
	s_and_not1_saveexec_b32 s2, s2
	s_cbranch_execz .LBB17_115
; %bb.114:
	v_cmp_gt_f32_e64 vcc_lo, 0xf800000, |v4|
	v_mul_f32_e64 v9, v10, -v9
	s_delay_alu instid0(VALU_DEP_2) | instskip(NEXT) | instid1(VALU_DEP_1)
	v_cndmask_b32_e64 v4, |v4|, v11, vcc_lo
	v_sqrt_f32_e32 v8, v4
	s_waitcnt_depctr 0xfff
	v_add_nc_u32_e32 v11, -1, v8
	v_add_nc_u32_e32 v12, 1, v8
	s_delay_alu instid0(VALU_DEP_2) | instskip(NEXT) | instid1(VALU_DEP_2)
	v_fma_f32 v13, -v11, v8, v4
	v_fma_f32 v14, -v12, v8, v4
	s_delay_alu instid0(VALU_DEP_2) | instskip(NEXT) | instid1(VALU_DEP_1)
	v_cmp_ge_f32_e64 s0, 0, v13
	v_cndmask_b32_e64 v8, v8, v11, s0
	s_delay_alu instid0(VALU_DEP_3) | instskip(NEXT) | instid1(VALU_DEP_1)
	v_cmp_lt_f32_e64 s0, 0, v14
	v_cndmask_b32_e64 v8, v8, v12, s0
	s_delay_alu instid0(VALU_DEP_1) | instskip(NEXT) | instid1(VALU_DEP_1)
	v_mul_f32_e32 v11, 0x37800000, v8
	v_cndmask_b32_e32 v8, v8, v11, vcc_lo
	v_cmp_class_f32_e64 vcc_lo, v4, 0x260
	s_delay_alu instid0(VALU_DEP_2) | instskip(NEXT) | instid1(VALU_DEP_1)
	v_cndmask_b32_e32 v4, v8, v4, vcc_lo
	v_div_scale_f32 v8, null, v4, v4, v9
	s_delay_alu instid0(VALU_DEP_1) | instskip(SKIP_2) | instid1(VALU_DEP_1)
	v_rcp_f32_e32 v10, v8
	s_waitcnt_depctr 0xfff
	v_fma_f32 v11, -v8, v10, 1.0
	v_fmac_f32_e32 v10, v11, v10
	v_div_scale_f32 v11, vcc_lo, v9, v4, v9
	s_delay_alu instid0(VALU_DEP_1) | instskip(NEXT) | instid1(VALU_DEP_1)
	v_mul_f32_e32 v12, v11, v10
	v_fma_f32 v13, -v8, v12, v11
	s_delay_alu instid0(VALU_DEP_1) | instskip(NEXT) | instid1(VALU_DEP_1)
	v_fmac_f32_e32 v12, v13, v10
	v_fma_f32 v8, -v8, v12, v11
	s_delay_alu instid0(VALU_DEP_1) | instskip(NEXT) | instid1(VALU_DEP_1)
	v_div_fmas_f32 v8, v8, v10, v12
	v_div_fixup_f32 v8, v8, v4, v9
.LBB17_115:
	s_or_b32 exec_lo, exec_lo, s2
.LBB17_116:
	s_delay_alu instid0(SALU_CYCLE_1)
	s_or_b32 exec_lo, exec_lo, s1
	s_clause 0x3
	global_store_b32 v0, v7, s[4:5]
	global_store_b32 v1, v6, s[4:5]
	;; [unrolled: 1-line block ×4, first 2 shown]
	s_nop 0
	s_sendmsg sendmsg(MSG_DEALLOC_VGPRS)
	s_endpgm
.LBB17_117:
	v_mov_b32_e32 v3, v2
	v_mov_b32_e32 v1, 0
.LBB17_118:
	s_and_b32 s34, s34, 3
	s_delay_alu instid0(SALU_CYCLE_1)
	s_cmp_eq_u32 s34, 0
	s_cbranch_scc1 .LBB17_121
; %bb.119:
	s_lshl_b32 s2, s33, 3
	s_mul_i32 s20, s33, 12
	s_add_u32 s2, s2, s0
	s_addc_u32 s3, s1, 0
	s_add_u32 s2, s2, 0xc4
	s_addc_u32 s3, s3, 0
	;; [unrolled: 2-line block ×3, first 2 shown]
	.p2align	6
.LBB17_120:                             ; =>This Inner Loop Header: Depth=1
	s_clause 0x1
	s_load_b64 s[36:37], s[20:21], 0x4
	s_load_b32 s33, s[20:21], 0xc
	s_load_b64 s[38:39], s[2:3], 0x0
	s_add_u32 s20, s20, 12
	s_addc_u32 s21, s21, 0
	s_add_u32 s2, s2, 8
	s_addc_u32 s3, s3, 0
	s_add_i32 s34, s34, -1
	s_delay_alu instid0(SALU_CYCLE_1) | instskip(SKIP_2) | instid1(VALU_DEP_1)
	s_cmp_lg_u32 s34, 0
	s_waitcnt lgkmcnt(0)
	v_mul_hi_u32 v4, s37, v3
	v_add_nc_u32_e32 v4, v3, v4
	s_delay_alu instid0(VALU_DEP_1) | instskip(NEXT) | instid1(VALU_DEP_1)
	v_lshrrev_b32_e32 v7, s33, v4
	v_mul_lo_u32 v4, v7, s36
	s_delay_alu instid0(VALU_DEP_1) | instskip(NEXT) | instid1(VALU_DEP_1)
	v_sub_nc_u32_e32 v3, v3, v4
	v_mad_u64_u32 v[4:5], null, v3, s38, v[0:1]
	v_mad_u64_u32 v[5:6], null, v3, s39, v[1:2]
	s_delay_alu instid0(VALU_DEP_2) | instskip(NEXT) | instid1(VALU_DEP_2)
	v_dual_mov_b32 v3, v7 :: v_dual_mov_b32 v0, v4
	v_mov_b32_e32 v1, v5
	s_cbranch_scc1 .LBB17_120
.LBB17_121:
	s_and_not1_b32 vcc_lo, exec_lo, s31
	s_cbranch_vccnz .LBB17_124
; %bb.122:
	s_waitcnt lgkmcnt(0)
	v_mul_hi_u32 v0, s13, v2
	s_and_not1_b32 vcc_lo, exec_lo, s26
	s_delay_alu instid0(VALU_DEP_1) | instskip(NEXT) | instid1(VALU_DEP_1)
	v_add_nc_u32_e32 v0, v2, v0
	v_lshrrev_b32_e32 v3, s14, v0
	s_delay_alu instid0(VALU_DEP_1) | instskip(NEXT) | instid1(VALU_DEP_1)
	v_mul_lo_u32 v0, v3, s12
	v_sub_nc_u32_e32 v1, v2, v0
	s_delay_alu instid0(VALU_DEP_1)
	v_mul_lo_u32 v0, v1, s8
	v_mul_lo_u32 v1, v1, s9
	s_cbranch_vccnz .LBB17_124
; %bb.123:
	v_mul_hi_u32 v4, s16, v3
	s_delay_alu instid0(VALU_DEP_1) | instskip(NEXT) | instid1(VALU_DEP_1)
	v_add_nc_u32_e32 v4, v3, v4
	v_lshrrev_b32_e32 v4, s17, v4
	s_delay_alu instid0(VALU_DEP_1) | instskip(NEXT) | instid1(VALU_DEP_1)
	v_mul_lo_u32 v4, v4, s15
	v_sub_nc_u32_e32 v6, v3, v4
	s_delay_alu instid0(VALU_DEP_1) | instskip(SKIP_1) | instid1(VALU_DEP_1)
	v_mad_u64_u32 v[3:4], null, v6, s10, v[0:1]
	v_mad_u64_u32 v[4:5], null, v6, s11, v[1:2]
	v_dual_mov_b32 v0, v3 :: v_dual_mov_b32 v1, v4
.LBB17_124:
	s_waitcnt lgkmcnt(0)
	global_load_b32 v1, v1, s[6:7]
                                        ; implicit-def: $vgpr3
	s_waitcnt vmcnt(0)
	v_cmp_ge_f32_e64 s2, 0x41000000, |v1|
	s_delay_alu instid0(VALU_DEP_1) | instskip(NEXT) | instid1(SALU_CYCLE_1)
	s_and_saveexec_b32 s3, s2
	s_xor_b32 s2, exec_lo, s3
	s_cbranch_execz .LBB17_130
; %bb.125:
	v_fma_f32 v3, |v1|, 0.5, -2.0
	s_mov_b32 s3, 0x224cf950
	s_delay_alu instid0(VALU_DEP_1) | instid1(SALU_CYCLE_1)
	v_fmaak_f32 v4, s3, v3, 0xa3c2be86
	s_mov_b32 s3, exec_lo
	s_delay_alu instid0(VALU_DEP_1) | instskip(NEXT) | instid1(VALU_DEP_1)
	v_fmaak_f32 v5, v3, v4, 0xa24cf950
	v_add_f32_e32 v5, 0x25331f1f, v5
	s_delay_alu instid0(VALU_DEP_1) | instskip(NEXT) | instid1(VALU_DEP_1)
	v_fma_f32 v4, v3, v5, -v4
	v_add_f32_e32 v4, 0xa69f5554, v4
	s_delay_alu instid0(VALU_DEP_1) | instskip(NEXT) | instid1(VALU_DEP_1)
	v_fma_f32 v5, v3, v4, -v5
	;; [unrolled: 3-line block ×26, first 2 shown]
	v_add_f32_e32 v3, 0x3e81531c, v3
	s_delay_alu instid0(VALU_DEP_1)
	v_sub_f32_e32 v4, v3, v5
                                        ; implicit-def: $vgpr3
	v_cmpx_ngt_f32_e32 0, v1
	s_xor_b32 s3, exec_lo, s3
	s_cbranch_execz .LBB17_127
; %bb.126:
	v_mul_f32_e64 v3, 0x3fb8aa3b, |v1|
	v_cmp_ngt_f32_e64 vcc_lo, 0xc2ce8ed0, |v1|
	v_mul_f32_e32 v4, 0.5, v4
	s_delay_alu instid0(VALU_DEP_3) | instskip(SKIP_1) | instid1(VALU_DEP_3)
	v_rndne_f32_e32 v5, v3
	v_fma_f32 v6, 0x3fb8aa3b, |v1|, -v3
	v_mul_f32_e64 v4, |v1|, v4
	s_delay_alu instid0(VALU_DEP_3) | instskip(NEXT) | instid1(VALU_DEP_3)
	v_sub_f32_e32 v3, v3, v5
	v_fma_f32 v6, 0x32a5705f, |v1|, v6
	v_cvt_i32_f32_e32 v5, v5
	s_delay_alu instid0(VALU_DEP_2) | instskip(NEXT) | instid1(VALU_DEP_1)
	v_add_f32_e32 v3, v3, v6
	v_exp_f32_e32 v3, v3
	s_waitcnt_depctr 0xfff
	v_ldexp_f32 v3, v3, v5
	s_delay_alu instid0(VALU_DEP_1) | instskip(SKIP_1) | instid1(VALU_DEP_2)
	v_cndmask_b32_e32 v3, 0, v3, vcc_lo
	v_cmp_nlt_f32_e64 vcc_lo, 0x42b17218, |v1|
	v_cndmask_b32_e32 v1, 0x7f800000, v3, vcc_lo
	s_delay_alu instid0(VALU_DEP_1)
	v_mul_f32_e32 v3, v1, v4
                                        ; implicit-def: $vgpr1
                                        ; implicit-def: $vgpr4
.LBB17_127:
	s_and_not1_saveexec_b32 s3, s3
	s_cbranch_execz .LBB17_129
; %bb.128:
	v_mul_f32_e64 v3, 0x3fb8aa3b, |v1|
	v_cmp_ngt_f32_e64 vcc_lo, 0xc2ce8ed0, |v1|
	v_mul_f32_e32 v4, -0.5, v4
	s_delay_alu instid0(VALU_DEP_3) | instskip(SKIP_1) | instid1(VALU_DEP_2)
	v_rndne_f32_e32 v5, v3
	v_fma_f32 v6, 0x3fb8aa3b, |v1|, -v3
	v_sub_f32_e32 v3, v3, v5
	s_delay_alu instid0(VALU_DEP_2) | instskip(SKIP_1) | instid1(VALU_DEP_2)
	v_fma_f32 v6, 0x32a5705f, |v1|, v6
	v_cvt_i32_f32_e32 v5, v5
	v_add_f32_e32 v3, v3, v6
	s_delay_alu instid0(VALU_DEP_1) | instskip(SKIP_2) | instid1(VALU_DEP_1)
	v_exp_f32_e32 v3, v3
	s_waitcnt_depctr 0xfff
	v_ldexp_f32 v3, v3, v5
	v_cndmask_b32_e32 v3, 0, v3, vcc_lo
	v_cmp_nlt_f32_e64 vcc_lo, 0x42b17218, |v1|
	v_mul_f32_e64 v1, |v1|, v4
	s_delay_alu instid0(VALU_DEP_3) | instskip(NEXT) | instid1(VALU_DEP_1)
	v_cndmask_b32_e32 v3, 0x7f800000, v3, vcc_lo
	v_mul_f32_e32 v3, v3, v1
.LBB17_129:
	s_or_b32 exec_lo, exec_lo, s3
                                        ; implicit-def: $vgpr1
.LBB17_130:
	s_and_not1_saveexec_b32 s3, s2
	s_cbranch_execz .LBB17_136
; %bb.131:
	v_and_b32_e32 v3, 0x7fffffff, v1
	s_mov_b32 s2, 0x230aab6e
	s_delay_alu instid0(VALU_DEP_1) | instskip(SKIP_1) | instid1(VALU_DEP_2)
	v_div_scale_f32 v4, null, v3, v3, 0x42000000
	v_div_scale_f32 v3, vcc_lo, 0x42000000, v3, 0x42000000
	v_rcp_f32_e32 v5, v4
	s_waitcnt_depctr 0xfff
	v_fma_f32 v6, -v4, v5, 1.0
	s_delay_alu instid0(VALU_DEP_1) | instskip(NEXT) | instid1(VALU_DEP_1)
	v_fmac_f32_e32 v5, v6, v5
	v_mul_f32_e32 v6, v3, v5
	s_delay_alu instid0(VALU_DEP_1) | instskip(NEXT) | instid1(VALU_DEP_1)
	v_fma_f32 v7, -v4, v6, v3
	v_fmac_f32_e32 v6, v7, v5
	s_delay_alu instid0(VALU_DEP_1) | instskip(NEXT) | instid1(VALU_DEP_1)
	v_fma_f32 v3, -v4, v6, v3
	v_div_fmas_f32 v3, v3, v5, v6
	v_mul_f32_e64 v6, 0x3fb8aa3b, |v1|
	v_cmp_ngt_f32_e64 vcc_lo, 0xc2ce8ed0, |v1|
	s_delay_alu instid0(VALU_DEP_3) | instskip(NEXT) | instid1(VALU_DEP_3)
	v_div_fixup_f32 v3, v3, |v1|, 0x42000000
	v_rndne_f32_e32 v7, v6
	v_fma_f32 v8, 0x3fb8aa3b, |v1|, -v6
	s_delay_alu instid0(VALU_DEP_3) | instskip(NEXT) | instid1(VALU_DEP_3)
	v_add_f32_e32 v3, -2.0, v3
	v_sub_f32_e32 v6, v6, v7
	s_delay_alu instid0(VALU_DEP_3) | instskip(SKIP_1) | instid1(VALU_DEP_4)
	v_fma_f32 v8, 0x32a5705f, |v1|, v8
	v_cvt_i32_f32_e32 v7, v7
	v_fmaak_f32 v4, s2, v3, 0x22a2dc57
	v_cmp_nlt_f32_e64 s2, 0x42b17218, |v1|
	s_delay_alu instid0(VALU_DEP_4) | instskip(NEXT) | instid1(VALU_DEP_3)
	v_add_f32_e32 v6, v6, v8
	v_fmaak_f32 v5, v3, v4, 0xa30aab6e
	s_delay_alu instid0(VALU_DEP_2) | instskip(NEXT) | instid1(VALU_DEP_1)
	v_exp_f32_e32 v6, v6
	v_add_f32_e32 v5, 0xa456751e, v5
	s_delay_alu instid0(VALU_DEP_1) | instskip(NEXT) | instid1(VALU_DEP_1)
	v_fma_f32 v4, v3, v5, -v4
	v_add_f32_e32 v4, 0xa4140365, v4
	s_delay_alu instid0(VALU_DEP_1) | instskip(NEXT) | instid1(VALU_DEP_1)
	v_fma_f32 v5, v3, v4, -v5
	;; [unrolled: 3-line block ×21, first 2 shown]
	v_add_f32_e32 v4, 0xbc1fed03, v4
	s_delay_alu instid0(VALU_DEP_1) | instskip(SKIP_1) | instid1(VALU_DEP_1)
	v_fma_f32 v3, v3, v4, -v5
	v_ldexp_f32 v4, v6, v7
	v_dual_add_f32 v3, 0x3f4750c6, v3 :: v_dual_cndmask_b32 v4, 0, v4
	s_delay_alu instid0(VALU_DEP_1) | instskip(NEXT) | instid1(VALU_DEP_2)
	v_sub_f32_e32 v3, v3, v5
	v_cndmask_b32_e64 v4, 0x7f800000, v4, s2
	s_mov_b32 s2, exec_lo
	s_delay_alu instid0(VALU_DEP_2)
	v_mul_f32_e32 v5, 0.5, v3
                                        ; implicit-def: $vgpr3
	v_cmpx_ngt_f32_e32 0, v1
	s_xor_b32 s20, exec_lo, s2
	s_cbranch_execz .LBB17_133
; %bb.132:
	v_mul_f32_e64 v3, 0x4f800000, |v1|
	v_cmp_gt_f32_e64 vcc_lo, 0xf800000, |v1|
	v_mul_f32_e32 v4, v4, v5
	s_delay_alu instid0(VALU_DEP_2) | instskip(NEXT) | instid1(VALU_DEP_1)
	v_cndmask_b32_e64 v1, |v1|, v3, vcc_lo
	v_sqrt_f32_e32 v3, v1
	s_waitcnt_depctr 0xfff
	v_add_nc_u32_e32 v6, -1, v3
	v_add_nc_u32_e32 v7, 1, v3
	s_delay_alu instid0(VALU_DEP_2) | instskip(NEXT) | instid1(VALU_DEP_2)
	v_fma_f32 v8, -v6, v3, v1
	v_fma_f32 v9, -v7, v3, v1
	s_delay_alu instid0(VALU_DEP_2) | instskip(NEXT) | instid1(VALU_DEP_1)
	v_cmp_ge_f32_e64 s2, 0, v8
	v_cndmask_b32_e64 v3, v3, v6, s2
	s_delay_alu instid0(VALU_DEP_3) | instskip(NEXT) | instid1(VALU_DEP_1)
	v_cmp_lt_f32_e64 s2, 0, v9
	v_cndmask_b32_e64 v3, v3, v7, s2
	s_delay_alu instid0(VALU_DEP_1) | instskip(NEXT) | instid1(VALU_DEP_1)
	v_mul_f32_e32 v6, 0x37800000, v3
	v_cndmask_b32_e32 v3, v3, v6, vcc_lo
	v_cmp_class_f32_e64 vcc_lo, v1, 0x260
	s_delay_alu instid0(VALU_DEP_2) | instskip(NEXT) | instid1(VALU_DEP_1)
	v_cndmask_b32_e32 v1, v3, v1, vcc_lo
	v_div_scale_f32 v3, null, v1, v1, v4
	s_delay_alu instid0(VALU_DEP_1) | instskip(SKIP_2) | instid1(VALU_DEP_1)
	v_rcp_f32_e32 v5, v3
	s_waitcnt_depctr 0xfff
	v_fma_f32 v6, -v3, v5, 1.0
	v_fmac_f32_e32 v5, v6, v5
	v_div_scale_f32 v6, vcc_lo, v4, v1, v4
	s_delay_alu instid0(VALU_DEP_1) | instskip(NEXT) | instid1(VALU_DEP_1)
	v_mul_f32_e32 v7, v6, v5
	v_fma_f32 v8, -v3, v7, v6
	s_delay_alu instid0(VALU_DEP_1) | instskip(NEXT) | instid1(VALU_DEP_1)
	v_fmac_f32_e32 v7, v8, v5
	v_fma_f32 v3, -v3, v7, v6
	s_delay_alu instid0(VALU_DEP_1) | instskip(NEXT) | instid1(VALU_DEP_1)
	v_div_fmas_f32 v3, v3, v5, v7
                                        ; implicit-def: $vgpr5
	v_div_fixup_f32 v3, v3, v1, v4
                                        ; implicit-def: $vgpr1
                                        ; implicit-def: $vgpr4
.LBB17_133:
	s_and_not1_saveexec_b32 s20, s20
	s_cbranch_execz .LBB17_135
; %bb.134:
	v_mul_f32_e64 v3, 0x4f800000, |v1|
	v_cmp_gt_f32_e64 vcc_lo, 0xf800000, |v1|
	v_mul_f32_e64 v4, v5, -v4
	s_delay_alu instid0(VALU_DEP_2) | instskip(NEXT) | instid1(VALU_DEP_1)
	v_cndmask_b32_e64 v1, |v1|, v3, vcc_lo
	v_sqrt_f32_e32 v3, v1
	s_waitcnt_depctr 0xfff
	v_add_nc_u32_e32 v6, -1, v3
	v_add_nc_u32_e32 v7, 1, v3
	s_delay_alu instid0(VALU_DEP_2) | instskip(NEXT) | instid1(VALU_DEP_2)
	v_fma_f32 v8, -v6, v3, v1
	v_fma_f32 v9, -v7, v3, v1
	s_delay_alu instid0(VALU_DEP_2) | instskip(NEXT) | instid1(VALU_DEP_1)
	v_cmp_ge_f32_e64 s2, 0, v8
	v_cndmask_b32_e64 v3, v3, v6, s2
	s_delay_alu instid0(VALU_DEP_3) | instskip(NEXT) | instid1(VALU_DEP_1)
	v_cmp_lt_f32_e64 s2, 0, v9
	v_cndmask_b32_e64 v3, v3, v7, s2
	s_delay_alu instid0(VALU_DEP_1) | instskip(NEXT) | instid1(VALU_DEP_1)
	v_mul_f32_e32 v6, 0x37800000, v3
	v_cndmask_b32_e32 v3, v3, v6, vcc_lo
	v_cmp_class_f32_e64 vcc_lo, v1, 0x260
	s_delay_alu instid0(VALU_DEP_2) | instskip(NEXT) | instid1(VALU_DEP_1)
	v_cndmask_b32_e32 v1, v3, v1, vcc_lo
	v_div_scale_f32 v3, null, v1, v1, v4
	s_delay_alu instid0(VALU_DEP_1) | instskip(SKIP_2) | instid1(VALU_DEP_1)
	v_rcp_f32_e32 v5, v3
	s_waitcnt_depctr 0xfff
	v_fma_f32 v6, -v3, v5, 1.0
	v_fmac_f32_e32 v5, v6, v5
	v_div_scale_f32 v6, vcc_lo, v4, v1, v4
	s_delay_alu instid0(VALU_DEP_1) | instskip(NEXT) | instid1(VALU_DEP_1)
	v_mul_f32_e32 v7, v6, v5
	v_fma_f32 v8, -v3, v7, v6
	s_delay_alu instid0(VALU_DEP_1) | instskip(NEXT) | instid1(VALU_DEP_1)
	v_fmac_f32_e32 v7, v8, v5
	v_fma_f32 v3, -v3, v7, v6
	s_delay_alu instid0(VALU_DEP_1) | instskip(NEXT) | instid1(VALU_DEP_1)
	v_div_fmas_f32 v3, v3, v5, v7
	v_div_fixup_f32 v3, v3, v1, v4
.LBB17_135:
	s_or_b32 exec_lo, exec_lo, s20
.LBB17_136:
	s_delay_alu instid0(SALU_CYCLE_1) | instskip(SKIP_3) | instid1(SALU_CYCLE_1)
	s_or_b32 exec_lo, exec_lo, s3
	v_add_nc_u32_e32 v2, 0x80, v2
	global_store_b32 v0, v3, s[4:5]
	s_or_b32 exec_lo, exec_lo, s30
	s_mov_b32 s30, exec_lo
	v_cmpx_gt_i32_e64 s27, v2
	s_cbranch_execnz .LBB17_15
.LBB17_137:
	s_or_b32 exec_lo, exec_lo, s30
	s_delay_alu instid0(SALU_CYCLE_1)
	s_mov_b32 s30, exec_lo
	v_cmpx_gt_i32_e64 s27, v2
	s_cbranch_execz .LBB17_164
.LBB17_138:
	s_and_not1_b32 vcc_lo, exec_lo, s24
	s_cbranch_vccnz .LBB17_143
; %bb.139:
	v_dual_mov_b32 v0, 0 :: v_dual_mov_b32 v1, 0
	s_and_not1_b32 vcc_lo, exec_lo, s29
	s_mov_b32 s31, 0
	s_cbranch_vccnz .LBB17_171
; %bb.140:
	v_mov_b32_e32 v0, 0
	s_add_i32 s34, s28, 1
	s_cmp_eq_u32 s23, 2
	s_mov_b32 s33, 0
	s_cbranch_scc1 .LBB17_167
; %bb.141:
	v_dual_mov_b32 v1, 0 :: v_dual_mov_b32 v0, 0
	v_mov_b32_e32 v3, v2
	s_and_b32 s33, s34, 28
	s_mov_b32 s35, 0
	s_mov_b64 s[2:3], s[18:19]
	s_mov_b64 s[20:21], s[0:1]
.LBB17_142:                             ; =>This Inner Loop Header: Depth=1
	s_clause 0x1
	s_load_b256 s[36:43], s[20:21], 0x4
	s_load_b128 s[52:55], s[20:21], 0x24
	s_load_b256 s[44:51], s[2:3], 0x0
	s_add_u32 s20, s20, 48
	s_addc_u32 s21, s21, 0
	s_add_i32 s35, s35, 4
	s_add_u32 s2, s2, 32
	s_addc_u32 s3, s3, 0
	s_cmp_eq_u32 s33, s35
	s_waitcnt lgkmcnt(0)
	v_mul_hi_u32 v4, s37, v3
	s_delay_alu instid0(VALU_DEP_1) | instskip(NEXT) | instid1(VALU_DEP_1)
	v_add_nc_u32_e32 v4, v3, v4
	v_lshrrev_b32_e32 v4, s38, v4
	s_delay_alu instid0(VALU_DEP_1) | instskip(SKIP_1) | instid1(VALU_DEP_2)
	v_mul_hi_u32 v5, s40, v4
	v_mul_lo_u32 v7, v4, s36
	v_add_nc_u32_e32 v5, v4, v5
	s_delay_alu instid0(VALU_DEP_2) | instskip(NEXT) | instid1(VALU_DEP_2)
	v_sub_nc_u32_e32 v3, v3, v7
	v_lshrrev_b32_e32 v5, s41, v5
	s_delay_alu instid0(VALU_DEP_2) | instskip(SKIP_1) | instid1(VALU_DEP_3)
	v_mul_lo_u32 v7, v3, s44
	v_mul_lo_u32 v9, v3, s45
	v_mul_hi_u32 v6, s43, v5
	s_delay_alu instid0(VALU_DEP_1) | instskip(NEXT) | instid1(VALU_DEP_1)
	v_add_nc_u32_e32 v6, v5, v6
	v_lshrrev_b32_e32 v6, s52, v6
	s_delay_alu instid0(VALU_DEP_1) | instskip(SKIP_1) | instid1(VALU_DEP_2)
	v_mul_hi_u32 v8, s54, v6
	v_mul_lo_u32 v10, v6, s42
	v_add_nc_u32_e32 v3, v6, v8
	v_mul_lo_u32 v8, v5, s39
	s_delay_alu instid0(VALU_DEP_3) | instskip(NEXT) | instid1(VALU_DEP_3)
	v_sub_nc_u32_e32 v5, v5, v10
	v_lshrrev_b32_e32 v3, s55, v3
	s_delay_alu instid0(VALU_DEP_2) | instskip(SKIP_2) | instid1(VALU_DEP_4)
	v_mul_lo_u32 v10, v5, s48
	v_mul_lo_u32 v5, v5, s49
	v_sub_nc_u32_e32 v4, v4, v8
	v_mul_lo_u32 v11, v3, s53
	s_delay_alu instid0(VALU_DEP_2) | instskip(SKIP_1) | instid1(VALU_DEP_3)
	v_mul_lo_u32 v8, v4, s46
	v_mul_lo_u32 v4, v4, s47
	v_sub_nc_u32_e32 v6, v6, v11
	s_delay_alu instid0(VALU_DEP_3) | instskip(NEXT) | instid1(VALU_DEP_2)
	v_add3_u32 v0, v7, v0, v8
	v_mul_lo_u32 v11, v6, s50
	v_mul_lo_u32 v6, v6, s51
	v_add3_u32 v1, v9, v1, v4
	s_delay_alu instid0(VALU_DEP_3) | instskip(NEXT) | instid1(VALU_DEP_2)
	v_add3_u32 v0, v10, v0, v11
	v_add3_u32 v1, v5, v1, v6
	s_cbranch_scc0 .LBB17_142
	s_branch .LBB17_168
.LBB17_143:
	s_mov_b32 s31, -1
                                        ; implicit-def: $vgpr0
                                        ; implicit-def: $vgpr1
	s_branch .LBB17_171
.LBB17_144:
	v_mov_b32_e32 v3, v2
	v_mov_b32_e32 v1, 0
.LBB17_145:
	s_and_b32 s34, s34, 3
	s_delay_alu instid0(SALU_CYCLE_1)
	s_cmp_eq_u32 s34, 0
	s_cbranch_scc1 .LBB17_148
; %bb.146:
	s_lshl_b32 s2, s33, 3
	s_mul_i32 s20, s33, 12
	s_add_u32 s2, s2, s0
	s_addc_u32 s3, s1, 0
	s_add_u32 s2, s2, 0xc4
	s_addc_u32 s3, s3, 0
	s_add_u32 s20, s0, s20
	s_addc_u32 s21, s1, 0
	.p2align	6
.LBB17_147:                             ; =>This Inner Loop Header: Depth=1
	s_clause 0x1
	s_load_b64 s[36:37], s[20:21], 0x4
	s_load_b32 s33, s[20:21], 0xc
	s_load_b64 s[38:39], s[2:3], 0x0
	s_add_u32 s20, s20, 12
	s_addc_u32 s21, s21, 0
	s_add_u32 s2, s2, 8
	s_addc_u32 s3, s3, 0
	s_add_i32 s34, s34, -1
	s_delay_alu instid0(SALU_CYCLE_1) | instskip(SKIP_2) | instid1(VALU_DEP_1)
	s_cmp_lg_u32 s34, 0
	s_waitcnt lgkmcnt(0)
	v_mul_hi_u32 v4, s37, v3
	v_add_nc_u32_e32 v4, v3, v4
	s_delay_alu instid0(VALU_DEP_1) | instskip(NEXT) | instid1(VALU_DEP_1)
	v_lshrrev_b32_e32 v7, s33, v4
	v_mul_lo_u32 v4, v7, s36
	s_delay_alu instid0(VALU_DEP_1) | instskip(NEXT) | instid1(VALU_DEP_1)
	v_sub_nc_u32_e32 v3, v3, v4
	v_mad_u64_u32 v[4:5], null, v3, s38, v[0:1]
	v_mad_u64_u32 v[5:6], null, v3, s39, v[1:2]
	s_delay_alu instid0(VALU_DEP_2) | instskip(NEXT) | instid1(VALU_DEP_2)
	v_dual_mov_b32 v3, v7 :: v_dual_mov_b32 v0, v4
	v_mov_b32_e32 v1, v5
	s_cbranch_scc1 .LBB17_147
.LBB17_148:
	s_and_not1_b32 vcc_lo, exec_lo, s31
	s_cbranch_vccnz .LBB17_151
; %bb.149:
	s_waitcnt lgkmcnt(0)
	v_mul_hi_u32 v0, s13, v2
	s_and_not1_b32 vcc_lo, exec_lo, s26
	s_delay_alu instid0(VALU_DEP_1) | instskip(NEXT) | instid1(VALU_DEP_1)
	v_add_nc_u32_e32 v0, v2, v0
	v_lshrrev_b32_e32 v3, s14, v0
	s_delay_alu instid0(VALU_DEP_1) | instskip(NEXT) | instid1(VALU_DEP_1)
	v_mul_lo_u32 v0, v3, s12
	v_sub_nc_u32_e32 v1, v2, v0
	s_delay_alu instid0(VALU_DEP_1)
	v_mul_lo_u32 v0, v1, s8
	v_mul_lo_u32 v1, v1, s9
	s_cbranch_vccnz .LBB17_151
; %bb.150:
	v_mul_hi_u32 v4, s16, v3
	s_delay_alu instid0(VALU_DEP_1) | instskip(NEXT) | instid1(VALU_DEP_1)
	v_add_nc_u32_e32 v4, v3, v4
	v_lshrrev_b32_e32 v4, s17, v4
	s_delay_alu instid0(VALU_DEP_1) | instskip(NEXT) | instid1(VALU_DEP_1)
	v_mul_lo_u32 v4, v4, s15
	v_sub_nc_u32_e32 v6, v3, v4
	s_delay_alu instid0(VALU_DEP_1) | instskip(SKIP_1) | instid1(VALU_DEP_1)
	v_mad_u64_u32 v[3:4], null, v6, s10, v[0:1]
	v_mad_u64_u32 v[4:5], null, v6, s11, v[1:2]
	v_dual_mov_b32 v0, v3 :: v_dual_mov_b32 v1, v4
.LBB17_151:
	s_waitcnt lgkmcnt(0)
	global_load_b32 v1, v1, s[6:7]
                                        ; implicit-def: $vgpr3
	s_waitcnt vmcnt(0)
	v_cmp_ge_f32_e64 s2, 0x41000000, |v1|
	s_delay_alu instid0(VALU_DEP_1) | instskip(NEXT) | instid1(SALU_CYCLE_1)
	s_and_saveexec_b32 s3, s2
	s_xor_b32 s2, exec_lo, s3
	s_cbranch_execz .LBB17_157
; %bb.152:
	v_fma_f32 v3, |v1|, 0.5, -2.0
	s_mov_b32 s3, 0x224cf950
	s_delay_alu instid0(VALU_DEP_1) | instid1(SALU_CYCLE_1)
	v_fmaak_f32 v4, s3, v3, 0xa3c2be86
	s_mov_b32 s3, exec_lo
	s_delay_alu instid0(VALU_DEP_1) | instskip(NEXT) | instid1(VALU_DEP_1)
	v_fmaak_f32 v5, v3, v4, 0xa24cf950
	v_add_f32_e32 v5, 0x25331f1f, v5
	s_delay_alu instid0(VALU_DEP_1) | instskip(NEXT) | instid1(VALU_DEP_1)
	v_fma_f32 v4, v3, v5, -v4
	v_add_f32_e32 v4, 0xa69f5554, v4
	s_delay_alu instid0(VALU_DEP_1) | instskip(NEXT) | instid1(VALU_DEP_1)
	v_fma_f32 v5, v3, v4, -v5
	;; [unrolled: 3-line block ×26, first 2 shown]
	v_add_f32_e32 v3, 0x3e81531c, v3
	s_delay_alu instid0(VALU_DEP_1)
	v_sub_f32_e32 v4, v3, v5
                                        ; implicit-def: $vgpr3
	v_cmpx_ngt_f32_e32 0, v1
	s_xor_b32 s3, exec_lo, s3
	s_cbranch_execz .LBB17_154
; %bb.153:
	v_mul_f32_e64 v3, 0x3fb8aa3b, |v1|
	v_cmp_ngt_f32_e64 vcc_lo, 0xc2ce8ed0, |v1|
	v_mul_f32_e32 v4, 0.5, v4
	s_delay_alu instid0(VALU_DEP_3) | instskip(SKIP_1) | instid1(VALU_DEP_3)
	v_rndne_f32_e32 v5, v3
	v_fma_f32 v6, 0x3fb8aa3b, |v1|, -v3
	v_mul_f32_e64 v4, |v1|, v4
	s_delay_alu instid0(VALU_DEP_3) | instskip(NEXT) | instid1(VALU_DEP_3)
	v_sub_f32_e32 v3, v3, v5
	v_fma_f32 v6, 0x32a5705f, |v1|, v6
	v_cvt_i32_f32_e32 v5, v5
	s_delay_alu instid0(VALU_DEP_2) | instskip(NEXT) | instid1(VALU_DEP_1)
	v_add_f32_e32 v3, v3, v6
	v_exp_f32_e32 v3, v3
	s_waitcnt_depctr 0xfff
	v_ldexp_f32 v3, v3, v5
	s_delay_alu instid0(VALU_DEP_1) | instskip(SKIP_1) | instid1(VALU_DEP_2)
	v_cndmask_b32_e32 v3, 0, v3, vcc_lo
	v_cmp_nlt_f32_e64 vcc_lo, 0x42b17218, |v1|
	v_cndmask_b32_e32 v1, 0x7f800000, v3, vcc_lo
	s_delay_alu instid0(VALU_DEP_1)
	v_mul_f32_e32 v3, v1, v4
                                        ; implicit-def: $vgpr1
                                        ; implicit-def: $vgpr4
.LBB17_154:
	s_and_not1_saveexec_b32 s3, s3
	s_cbranch_execz .LBB17_156
; %bb.155:
	v_mul_f32_e64 v3, 0x3fb8aa3b, |v1|
	v_cmp_ngt_f32_e64 vcc_lo, 0xc2ce8ed0, |v1|
	v_mul_f32_e32 v4, -0.5, v4
	s_delay_alu instid0(VALU_DEP_3) | instskip(SKIP_1) | instid1(VALU_DEP_2)
	v_rndne_f32_e32 v5, v3
	v_fma_f32 v6, 0x3fb8aa3b, |v1|, -v3
	v_sub_f32_e32 v3, v3, v5
	s_delay_alu instid0(VALU_DEP_2) | instskip(SKIP_1) | instid1(VALU_DEP_2)
	v_fma_f32 v6, 0x32a5705f, |v1|, v6
	v_cvt_i32_f32_e32 v5, v5
	v_add_f32_e32 v3, v3, v6
	s_delay_alu instid0(VALU_DEP_1) | instskip(SKIP_2) | instid1(VALU_DEP_1)
	v_exp_f32_e32 v3, v3
	s_waitcnt_depctr 0xfff
	v_ldexp_f32 v3, v3, v5
	v_cndmask_b32_e32 v3, 0, v3, vcc_lo
	v_cmp_nlt_f32_e64 vcc_lo, 0x42b17218, |v1|
	v_mul_f32_e64 v1, |v1|, v4
	s_delay_alu instid0(VALU_DEP_3) | instskip(NEXT) | instid1(VALU_DEP_1)
	v_cndmask_b32_e32 v3, 0x7f800000, v3, vcc_lo
	v_mul_f32_e32 v3, v3, v1
.LBB17_156:
	s_or_b32 exec_lo, exec_lo, s3
                                        ; implicit-def: $vgpr1
.LBB17_157:
	s_and_not1_saveexec_b32 s3, s2
	s_cbranch_execz .LBB17_163
; %bb.158:
	v_and_b32_e32 v3, 0x7fffffff, v1
	s_mov_b32 s2, 0x230aab6e
	s_delay_alu instid0(VALU_DEP_1) | instskip(SKIP_1) | instid1(VALU_DEP_2)
	v_div_scale_f32 v4, null, v3, v3, 0x42000000
	v_div_scale_f32 v3, vcc_lo, 0x42000000, v3, 0x42000000
	v_rcp_f32_e32 v5, v4
	s_waitcnt_depctr 0xfff
	v_fma_f32 v6, -v4, v5, 1.0
	s_delay_alu instid0(VALU_DEP_1) | instskip(NEXT) | instid1(VALU_DEP_1)
	v_fmac_f32_e32 v5, v6, v5
	v_mul_f32_e32 v6, v3, v5
	s_delay_alu instid0(VALU_DEP_1) | instskip(NEXT) | instid1(VALU_DEP_1)
	v_fma_f32 v7, -v4, v6, v3
	v_fmac_f32_e32 v6, v7, v5
	s_delay_alu instid0(VALU_DEP_1) | instskip(NEXT) | instid1(VALU_DEP_1)
	v_fma_f32 v3, -v4, v6, v3
	v_div_fmas_f32 v3, v3, v5, v6
	v_mul_f32_e64 v6, 0x3fb8aa3b, |v1|
	v_cmp_ngt_f32_e64 vcc_lo, 0xc2ce8ed0, |v1|
	s_delay_alu instid0(VALU_DEP_3) | instskip(NEXT) | instid1(VALU_DEP_3)
	v_div_fixup_f32 v3, v3, |v1|, 0x42000000
	v_rndne_f32_e32 v7, v6
	v_fma_f32 v8, 0x3fb8aa3b, |v1|, -v6
	s_delay_alu instid0(VALU_DEP_3) | instskip(NEXT) | instid1(VALU_DEP_3)
	v_add_f32_e32 v3, -2.0, v3
	v_sub_f32_e32 v6, v6, v7
	s_delay_alu instid0(VALU_DEP_3) | instskip(SKIP_1) | instid1(VALU_DEP_4)
	v_fma_f32 v8, 0x32a5705f, |v1|, v8
	v_cvt_i32_f32_e32 v7, v7
	v_fmaak_f32 v4, s2, v3, 0x22a2dc57
	v_cmp_nlt_f32_e64 s2, 0x42b17218, |v1|
	s_delay_alu instid0(VALU_DEP_4) | instskip(NEXT) | instid1(VALU_DEP_3)
	v_add_f32_e32 v6, v6, v8
	v_fmaak_f32 v5, v3, v4, 0xa30aab6e
	s_delay_alu instid0(VALU_DEP_2) | instskip(NEXT) | instid1(VALU_DEP_1)
	v_exp_f32_e32 v6, v6
	v_add_f32_e32 v5, 0xa456751e, v5
	s_delay_alu instid0(VALU_DEP_1) | instskip(NEXT) | instid1(VALU_DEP_1)
	v_fma_f32 v4, v3, v5, -v4
	v_add_f32_e32 v4, 0xa4140365, v4
	s_delay_alu instid0(VALU_DEP_1) | instskip(NEXT) | instid1(VALU_DEP_1)
	v_fma_f32 v5, v3, v4, -v5
	;; [unrolled: 3-line block ×21, first 2 shown]
	v_add_f32_e32 v4, 0xbc1fed03, v4
	s_delay_alu instid0(VALU_DEP_1) | instskip(SKIP_1) | instid1(VALU_DEP_1)
	v_fma_f32 v3, v3, v4, -v5
	v_ldexp_f32 v4, v6, v7
	v_dual_add_f32 v3, 0x3f4750c6, v3 :: v_dual_cndmask_b32 v4, 0, v4
	s_delay_alu instid0(VALU_DEP_1) | instskip(NEXT) | instid1(VALU_DEP_2)
	v_sub_f32_e32 v3, v3, v5
	v_cndmask_b32_e64 v4, 0x7f800000, v4, s2
	s_mov_b32 s2, exec_lo
	s_delay_alu instid0(VALU_DEP_2)
	v_mul_f32_e32 v5, 0.5, v3
                                        ; implicit-def: $vgpr3
	v_cmpx_ngt_f32_e32 0, v1
	s_xor_b32 s20, exec_lo, s2
	s_cbranch_execz .LBB17_160
; %bb.159:
	v_mul_f32_e64 v3, 0x4f800000, |v1|
	v_cmp_gt_f32_e64 vcc_lo, 0xf800000, |v1|
	v_mul_f32_e32 v4, v4, v5
	s_delay_alu instid0(VALU_DEP_2) | instskip(NEXT) | instid1(VALU_DEP_1)
	v_cndmask_b32_e64 v1, |v1|, v3, vcc_lo
	v_sqrt_f32_e32 v3, v1
	s_waitcnt_depctr 0xfff
	v_add_nc_u32_e32 v6, -1, v3
	v_add_nc_u32_e32 v7, 1, v3
	s_delay_alu instid0(VALU_DEP_2) | instskip(NEXT) | instid1(VALU_DEP_2)
	v_fma_f32 v8, -v6, v3, v1
	v_fma_f32 v9, -v7, v3, v1
	s_delay_alu instid0(VALU_DEP_2) | instskip(NEXT) | instid1(VALU_DEP_1)
	v_cmp_ge_f32_e64 s2, 0, v8
	v_cndmask_b32_e64 v3, v3, v6, s2
	s_delay_alu instid0(VALU_DEP_3) | instskip(NEXT) | instid1(VALU_DEP_1)
	v_cmp_lt_f32_e64 s2, 0, v9
	v_cndmask_b32_e64 v3, v3, v7, s2
	s_delay_alu instid0(VALU_DEP_1) | instskip(NEXT) | instid1(VALU_DEP_1)
	v_mul_f32_e32 v6, 0x37800000, v3
	v_cndmask_b32_e32 v3, v3, v6, vcc_lo
	v_cmp_class_f32_e64 vcc_lo, v1, 0x260
	s_delay_alu instid0(VALU_DEP_2) | instskip(NEXT) | instid1(VALU_DEP_1)
	v_cndmask_b32_e32 v1, v3, v1, vcc_lo
	v_div_scale_f32 v3, null, v1, v1, v4
	s_delay_alu instid0(VALU_DEP_1) | instskip(SKIP_2) | instid1(VALU_DEP_1)
	v_rcp_f32_e32 v5, v3
	s_waitcnt_depctr 0xfff
	v_fma_f32 v6, -v3, v5, 1.0
	v_fmac_f32_e32 v5, v6, v5
	v_div_scale_f32 v6, vcc_lo, v4, v1, v4
	s_delay_alu instid0(VALU_DEP_1) | instskip(NEXT) | instid1(VALU_DEP_1)
	v_mul_f32_e32 v7, v6, v5
	v_fma_f32 v8, -v3, v7, v6
	s_delay_alu instid0(VALU_DEP_1) | instskip(NEXT) | instid1(VALU_DEP_1)
	v_fmac_f32_e32 v7, v8, v5
	v_fma_f32 v3, -v3, v7, v6
	s_delay_alu instid0(VALU_DEP_1) | instskip(NEXT) | instid1(VALU_DEP_1)
	v_div_fmas_f32 v3, v3, v5, v7
                                        ; implicit-def: $vgpr5
	v_div_fixup_f32 v3, v3, v1, v4
                                        ; implicit-def: $vgpr1
                                        ; implicit-def: $vgpr4
.LBB17_160:
	s_and_not1_saveexec_b32 s20, s20
	s_cbranch_execz .LBB17_162
; %bb.161:
	v_mul_f32_e64 v3, 0x4f800000, |v1|
	v_cmp_gt_f32_e64 vcc_lo, 0xf800000, |v1|
	v_mul_f32_e64 v4, v5, -v4
	s_delay_alu instid0(VALU_DEP_2) | instskip(NEXT) | instid1(VALU_DEP_1)
	v_cndmask_b32_e64 v1, |v1|, v3, vcc_lo
	v_sqrt_f32_e32 v3, v1
	s_waitcnt_depctr 0xfff
	v_add_nc_u32_e32 v6, -1, v3
	v_add_nc_u32_e32 v7, 1, v3
	s_delay_alu instid0(VALU_DEP_2) | instskip(NEXT) | instid1(VALU_DEP_2)
	v_fma_f32 v8, -v6, v3, v1
	v_fma_f32 v9, -v7, v3, v1
	s_delay_alu instid0(VALU_DEP_2) | instskip(NEXT) | instid1(VALU_DEP_1)
	v_cmp_ge_f32_e64 s2, 0, v8
	v_cndmask_b32_e64 v3, v3, v6, s2
	s_delay_alu instid0(VALU_DEP_3) | instskip(NEXT) | instid1(VALU_DEP_1)
	v_cmp_lt_f32_e64 s2, 0, v9
	v_cndmask_b32_e64 v3, v3, v7, s2
	s_delay_alu instid0(VALU_DEP_1) | instskip(NEXT) | instid1(VALU_DEP_1)
	v_mul_f32_e32 v6, 0x37800000, v3
	v_cndmask_b32_e32 v3, v3, v6, vcc_lo
	v_cmp_class_f32_e64 vcc_lo, v1, 0x260
	s_delay_alu instid0(VALU_DEP_2) | instskip(NEXT) | instid1(VALU_DEP_1)
	v_cndmask_b32_e32 v1, v3, v1, vcc_lo
	v_div_scale_f32 v3, null, v1, v1, v4
	s_delay_alu instid0(VALU_DEP_1) | instskip(SKIP_2) | instid1(VALU_DEP_1)
	v_rcp_f32_e32 v5, v3
	s_waitcnt_depctr 0xfff
	v_fma_f32 v6, -v3, v5, 1.0
	v_fmac_f32_e32 v5, v6, v5
	v_div_scale_f32 v6, vcc_lo, v4, v1, v4
	s_delay_alu instid0(VALU_DEP_1) | instskip(NEXT) | instid1(VALU_DEP_1)
	v_mul_f32_e32 v7, v6, v5
	v_fma_f32 v8, -v3, v7, v6
	s_delay_alu instid0(VALU_DEP_1) | instskip(NEXT) | instid1(VALU_DEP_1)
	v_fmac_f32_e32 v7, v8, v5
	v_fma_f32 v3, -v3, v7, v6
	s_delay_alu instid0(VALU_DEP_1) | instskip(NEXT) | instid1(VALU_DEP_1)
	v_div_fmas_f32 v3, v3, v5, v7
	v_div_fixup_f32 v3, v3, v1, v4
.LBB17_162:
	s_or_b32 exec_lo, exec_lo, s20
.LBB17_163:
	s_delay_alu instid0(SALU_CYCLE_1) | instskip(SKIP_3) | instid1(SALU_CYCLE_1)
	s_or_b32 exec_lo, exec_lo, s3
	v_add_nc_u32_e32 v2, 0x80, v2
	global_store_b32 v0, v3, s[4:5]
	s_or_b32 exec_lo, exec_lo, s30
	s_mov_b32 s30, exec_lo
	v_cmpx_gt_i32_e64 s27, v2
	s_cbranch_execnz .LBB17_138
.LBB17_164:
	s_or_b32 exec_lo, exec_lo, s30
	s_delay_alu instid0(SALU_CYCLE_1)
	s_mov_b32 s20, exec_lo
	v_cmpx_gt_i32_e64 s27, v2
	s_cbranch_execnz .LBB17_187
.LBB17_165:
	s_or_b32 exec_lo, exec_lo, s20
                                        ; implicit-def: $vgpr8
                                        ; implicit-def: $vgpr2
	s_and_not1_saveexec_b32 s2, s25
	s_cbranch_execnz .LBB17_8
.LBB17_166:
	s_nop 0
	s_sendmsg sendmsg(MSG_DEALLOC_VGPRS)
	s_endpgm
.LBB17_167:
	v_mov_b32_e32 v3, v2
	v_mov_b32_e32 v1, 0
.LBB17_168:
	s_and_b32 s34, s34, 3
	s_delay_alu instid0(SALU_CYCLE_1)
	s_cmp_eq_u32 s34, 0
	s_cbranch_scc1 .LBB17_171
; %bb.169:
	s_lshl_b32 s2, s33, 3
	s_mul_i32 s20, s33, 12
	s_add_u32 s2, s2, s0
	s_addc_u32 s3, s1, 0
	s_add_u32 s2, s2, 0xc4
	s_addc_u32 s3, s3, 0
	;; [unrolled: 2-line block ×3, first 2 shown]
	.p2align	6
.LBB17_170:                             ; =>This Inner Loop Header: Depth=1
	s_clause 0x1
	s_load_b64 s[36:37], s[20:21], 0x4
	s_load_b32 s33, s[20:21], 0xc
	s_load_b64 s[38:39], s[2:3], 0x0
	s_add_u32 s20, s20, 12
	s_addc_u32 s21, s21, 0
	s_add_u32 s2, s2, 8
	s_addc_u32 s3, s3, 0
	s_add_i32 s34, s34, -1
	s_delay_alu instid0(SALU_CYCLE_1) | instskip(SKIP_2) | instid1(VALU_DEP_1)
	s_cmp_lg_u32 s34, 0
	s_waitcnt lgkmcnt(0)
	v_mul_hi_u32 v4, s37, v3
	v_add_nc_u32_e32 v4, v3, v4
	s_delay_alu instid0(VALU_DEP_1) | instskip(NEXT) | instid1(VALU_DEP_1)
	v_lshrrev_b32_e32 v7, s33, v4
	v_mul_lo_u32 v4, v7, s36
	s_delay_alu instid0(VALU_DEP_1) | instskip(NEXT) | instid1(VALU_DEP_1)
	v_sub_nc_u32_e32 v3, v3, v4
	v_mad_u64_u32 v[4:5], null, v3, s38, v[0:1]
	v_mad_u64_u32 v[5:6], null, v3, s39, v[1:2]
	s_delay_alu instid0(VALU_DEP_2) | instskip(NEXT) | instid1(VALU_DEP_2)
	v_dual_mov_b32 v3, v7 :: v_dual_mov_b32 v0, v4
	v_mov_b32_e32 v1, v5
	s_cbranch_scc1 .LBB17_170
.LBB17_171:
	s_and_not1_b32 vcc_lo, exec_lo, s31
	s_cbranch_vccnz .LBB17_174
; %bb.172:
	s_waitcnt lgkmcnt(0)
	v_mul_hi_u32 v0, s13, v2
	s_and_not1_b32 vcc_lo, exec_lo, s26
	s_delay_alu instid0(VALU_DEP_1) | instskip(NEXT) | instid1(VALU_DEP_1)
	v_add_nc_u32_e32 v0, v2, v0
	v_lshrrev_b32_e32 v3, s14, v0
	s_delay_alu instid0(VALU_DEP_1) | instskip(NEXT) | instid1(VALU_DEP_1)
	v_mul_lo_u32 v0, v3, s12
	v_sub_nc_u32_e32 v1, v2, v0
	s_delay_alu instid0(VALU_DEP_1)
	v_mul_lo_u32 v0, v1, s8
	v_mul_lo_u32 v1, v1, s9
	s_cbranch_vccnz .LBB17_174
; %bb.173:
	v_mul_hi_u32 v4, s16, v3
	s_delay_alu instid0(VALU_DEP_1) | instskip(NEXT) | instid1(VALU_DEP_1)
	v_add_nc_u32_e32 v4, v3, v4
	v_lshrrev_b32_e32 v4, s17, v4
	s_delay_alu instid0(VALU_DEP_1) | instskip(NEXT) | instid1(VALU_DEP_1)
	v_mul_lo_u32 v4, v4, s15
	v_sub_nc_u32_e32 v6, v3, v4
	s_delay_alu instid0(VALU_DEP_1) | instskip(SKIP_1) | instid1(VALU_DEP_1)
	v_mad_u64_u32 v[3:4], null, v6, s10, v[0:1]
	v_mad_u64_u32 v[4:5], null, v6, s11, v[1:2]
	v_dual_mov_b32 v0, v3 :: v_dual_mov_b32 v1, v4
.LBB17_174:
	s_waitcnt lgkmcnt(0)
	global_load_b32 v1, v1, s[6:7]
                                        ; implicit-def: $vgpr3
	s_waitcnt vmcnt(0)
	v_cmp_ge_f32_e64 s2, 0x41000000, |v1|
	s_delay_alu instid0(VALU_DEP_1) | instskip(NEXT) | instid1(SALU_CYCLE_1)
	s_and_saveexec_b32 s3, s2
	s_xor_b32 s2, exec_lo, s3
	s_cbranch_execz .LBB17_180
; %bb.175:
	v_fma_f32 v3, |v1|, 0.5, -2.0
	s_mov_b32 s3, 0x224cf950
	s_delay_alu instid0(VALU_DEP_1) | instid1(SALU_CYCLE_1)
	v_fmaak_f32 v4, s3, v3, 0xa3c2be86
	s_mov_b32 s3, exec_lo
	s_delay_alu instid0(VALU_DEP_1) | instskip(NEXT) | instid1(VALU_DEP_1)
	v_fmaak_f32 v5, v3, v4, 0xa24cf950
	v_add_f32_e32 v5, 0x25331f1f, v5
	s_delay_alu instid0(VALU_DEP_1) | instskip(NEXT) | instid1(VALU_DEP_1)
	v_fma_f32 v4, v3, v5, -v4
	v_add_f32_e32 v4, 0xa69f5554, v4
	s_delay_alu instid0(VALU_DEP_1) | instskip(NEXT) | instid1(VALU_DEP_1)
	v_fma_f32 v5, v3, v4, -v5
	;; [unrolled: 3-line block ×26, first 2 shown]
	v_add_f32_e32 v3, 0x3e81531c, v3
	s_delay_alu instid0(VALU_DEP_1)
	v_sub_f32_e32 v4, v3, v5
                                        ; implicit-def: $vgpr3
	v_cmpx_ngt_f32_e32 0, v1
	s_xor_b32 s3, exec_lo, s3
	s_cbranch_execz .LBB17_177
; %bb.176:
	v_mul_f32_e64 v3, 0x3fb8aa3b, |v1|
	v_cmp_ngt_f32_e64 vcc_lo, 0xc2ce8ed0, |v1|
	v_mul_f32_e32 v4, 0.5, v4
	s_delay_alu instid0(VALU_DEP_3) | instskip(SKIP_1) | instid1(VALU_DEP_3)
	v_rndne_f32_e32 v5, v3
	v_fma_f32 v6, 0x3fb8aa3b, |v1|, -v3
	v_mul_f32_e64 v4, |v1|, v4
	s_delay_alu instid0(VALU_DEP_3) | instskip(NEXT) | instid1(VALU_DEP_3)
	v_sub_f32_e32 v3, v3, v5
	v_fma_f32 v6, 0x32a5705f, |v1|, v6
	v_cvt_i32_f32_e32 v5, v5
	s_delay_alu instid0(VALU_DEP_2) | instskip(NEXT) | instid1(VALU_DEP_1)
	v_add_f32_e32 v3, v3, v6
	v_exp_f32_e32 v3, v3
	s_waitcnt_depctr 0xfff
	v_ldexp_f32 v3, v3, v5
	s_delay_alu instid0(VALU_DEP_1) | instskip(SKIP_1) | instid1(VALU_DEP_2)
	v_cndmask_b32_e32 v3, 0, v3, vcc_lo
	v_cmp_nlt_f32_e64 vcc_lo, 0x42b17218, |v1|
	v_cndmask_b32_e32 v1, 0x7f800000, v3, vcc_lo
	s_delay_alu instid0(VALU_DEP_1)
	v_mul_f32_e32 v3, v1, v4
                                        ; implicit-def: $vgpr1
                                        ; implicit-def: $vgpr4
.LBB17_177:
	s_and_not1_saveexec_b32 s3, s3
	s_cbranch_execz .LBB17_179
; %bb.178:
	v_mul_f32_e64 v3, 0x3fb8aa3b, |v1|
	v_cmp_ngt_f32_e64 vcc_lo, 0xc2ce8ed0, |v1|
	v_mul_f32_e32 v4, -0.5, v4
	s_delay_alu instid0(VALU_DEP_3) | instskip(SKIP_1) | instid1(VALU_DEP_2)
	v_rndne_f32_e32 v5, v3
	v_fma_f32 v6, 0x3fb8aa3b, |v1|, -v3
	v_sub_f32_e32 v3, v3, v5
	s_delay_alu instid0(VALU_DEP_2) | instskip(SKIP_1) | instid1(VALU_DEP_2)
	v_fma_f32 v6, 0x32a5705f, |v1|, v6
	v_cvt_i32_f32_e32 v5, v5
	v_add_f32_e32 v3, v3, v6
	s_delay_alu instid0(VALU_DEP_1) | instskip(SKIP_2) | instid1(VALU_DEP_1)
	v_exp_f32_e32 v3, v3
	s_waitcnt_depctr 0xfff
	v_ldexp_f32 v3, v3, v5
	v_cndmask_b32_e32 v3, 0, v3, vcc_lo
	v_cmp_nlt_f32_e64 vcc_lo, 0x42b17218, |v1|
	v_mul_f32_e64 v1, |v1|, v4
	s_delay_alu instid0(VALU_DEP_3) | instskip(NEXT) | instid1(VALU_DEP_1)
	v_cndmask_b32_e32 v3, 0x7f800000, v3, vcc_lo
	v_mul_f32_e32 v3, v3, v1
.LBB17_179:
	s_or_b32 exec_lo, exec_lo, s3
                                        ; implicit-def: $vgpr1
.LBB17_180:
	s_and_not1_saveexec_b32 s3, s2
	s_cbranch_execz .LBB17_186
; %bb.181:
	v_and_b32_e32 v3, 0x7fffffff, v1
	s_mov_b32 s2, 0x230aab6e
	s_delay_alu instid0(VALU_DEP_1) | instskip(SKIP_1) | instid1(VALU_DEP_2)
	v_div_scale_f32 v4, null, v3, v3, 0x42000000
	v_div_scale_f32 v3, vcc_lo, 0x42000000, v3, 0x42000000
	v_rcp_f32_e32 v5, v4
	s_waitcnt_depctr 0xfff
	v_fma_f32 v6, -v4, v5, 1.0
	s_delay_alu instid0(VALU_DEP_1) | instskip(NEXT) | instid1(VALU_DEP_1)
	v_fmac_f32_e32 v5, v6, v5
	v_mul_f32_e32 v6, v3, v5
	s_delay_alu instid0(VALU_DEP_1) | instskip(NEXT) | instid1(VALU_DEP_1)
	v_fma_f32 v7, -v4, v6, v3
	v_fmac_f32_e32 v6, v7, v5
	s_delay_alu instid0(VALU_DEP_1) | instskip(NEXT) | instid1(VALU_DEP_1)
	v_fma_f32 v3, -v4, v6, v3
	v_div_fmas_f32 v3, v3, v5, v6
	v_mul_f32_e64 v6, 0x3fb8aa3b, |v1|
	v_cmp_ngt_f32_e64 vcc_lo, 0xc2ce8ed0, |v1|
	s_delay_alu instid0(VALU_DEP_3) | instskip(NEXT) | instid1(VALU_DEP_3)
	v_div_fixup_f32 v3, v3, |v1|, 0x42000000
	v_rndne_f32_e32 v7, v6
	v_fma_f32 v8, 0x3fb8aa3b, |v1|, -v6
	s_delay_alu instid0(VALU_DEP_3) | instskip(NEXT) | instid1(VALU_DEP_3)
	v_add_f32_e32 v3, -2.0, v3
	v_sub_f32_e32 v6, v6, v7
	s_delay_alu instid0(VALU_DEP_3) | instskip(SKIP_1) | instid1(VALU_DEP_4)
	v_fma_f32 v8, 0x32a5705f, |v1|, v8
	v_cvt_i32_f32_e32 v7, v7
	v_fmaak_f32 v4, s2, v3, 0x22a2dc57
	v_cmp_nlt_f32_e64 s2, 0x42b17218, |v1|
	s_delay_alu instid0(VALU_DEP_4) | instskip(NEXT) | instid1(VALU_DEP_3)
	v_add_f32_e32 v6, v6, v8
	v_fmaak_f32 v5, v3, v4, 0xa30aab6e
	s_delay_alu instid0(VALU_DEP_2) | instskip(NEXT) | instid1(VALU_DEP_1)
	v_exp_f32_e32 v6, v6
	v_add_f32_e32 v5, 0xa456751e, v5
	s_delay_alu instid0(VALU_DEP_1) | instskip(NEXT) | instid1(VALU_DEP_1)
	v_fma_f32 v4, v3, v5, -v4
	v_add_f32_e32 v4, 0xa4140365, v4
	s_delay_alu instid0(VALU_DEP_1) | instskip(NEXT) | instid1(VALU_DEP_1)
	v_fma_f32 v5, v3, v4, -v5
	;; [unrolled: 3-line block ×21, first 2 shown]
	v_add_f32_e32 v4, 0xbc1fed03, v4
	s_delay_alu instid0(VALU_DEP_1) | instskip(SKIP_1) | instid1(VALU_DEP_1)
	v_fma_f32 v3, v3, v4, -v5
	v_ldexp_f32 v4, v6, v7
	v_dual_add_f32 v3, 0x3f4750c6, v3 :: v_dual_cndmask_b32 v4, 0, v4
	s_delay_alu instid0(VALU_DEP_1) | instskip(NEXT) | instid1(VALU_DEP_2)
	v_sub_f32_e32 v3, v3, v5
	v_cndmask_b32_e64 v4, 0x7f800000, v4, s2
	s_mov_b32 s2, exec_lo
	s_delay_alu instid0(VALU_DEP_2)
	v_mul_f32_e32 v5, 0.5, v3
                                        ; implicit-def: $vgpr3
	v_cmpx_ngt_f32_e32 0, v1
	s_xor_b32 s20, exec_lo, s2
	s_cbranch_execz .LBB17_183
; %bb.182:
	v_mul_f32_e64 v3, 0x4f800000, |v1|
	v_cmp_gt_f32_e64 vcc_lo, 0xf800000, |v1|
	v_mul_f32_e32 v4, v4, v5
	s_delay_alu instid0(VALU_DEP_2) | instskip(NEXT) | instid1(VALU_DEP_1)
	v_cndmask_b32_e64 v1, |v1|, v3, vcc_lo
	v_sqrt_f32_e32 v3, v1
	s_waitcnt_depctr 0xfff
	v_add_nc_u32_e32 v6, -1, v3
	v_add_nc_u32_e32 v7, 1, v3
	s_delay_alu instid0(VALU_DEP_2) | instskip(NEXT) | instid1(VALU_DEP_2)
	v_fma_f32 v8, -v6, v3, v1
	v_fma_f32 v9, -v7, v3, v1
	s_delay_alu instid0(VALU_DEP_2) | instskip(NEXT) | instid1(VALU_DEP_1)
	v_cmp_ge_f32_e64 s2, 0, v8
	v_cndmask_b32_e64 v3, v3, v6, s2
	s_delay_alu instid0(VALU_DEP_3) | instskip(NEXT) | instid1(VALU_DEP_1)
	v_cmp_lt_f32_e64 s2, 0, v9
	v_cndmask_b32_e64 v3, v3, v7, s2
	s_delay_alu instid0(VALU_DEP_1) | instskip(NEXT) | instid1(VALU_DEP_1)
	v_mul_f32_e32 v6, 0x37800000, v3
	v_cndmask_b32_e32 v3, v3, v6, vcc_lo
	v_cmp_class_f32_e64 vcc_lo, v1, 0x260
	s_delay_alu instid0(VALU_DEP_2) | instskip(NEXT) | instid1(VALU_DEP_1)
	v_cndmask_b32_e32 v1, v3, v1, vcc_lo
	v_div_scale_f32 v3, null, v1, v1, v4
	s_delay_alu instid0(VALU_DEP_1) | instskip(SKIP_2) | instid1(VALU_DEP_1)
	v_rcp_f32_e32 v5, v3
	s_waitcnt_depctr 0xfff
	v_fma_f32 v6, -v3, v5, 1.0
	v_fmac_f32_e32 v5, v6, v5
	v_div_scale_f32 v6, vcc_lo, v4, v1, v4
	s_delay_alu instid0(VALU_DEP_1) | instskip(NEXT) | instid1(VALU_DEP_1)
	v_mul_f32_e32 v7, v6, v5
	v_fma_f32 v8, -v3, v7, v6
	s_delay_alu instid0(VALU_DEP_1) | instskip(NEXT) | instid1(VALU_DEP_1)
	v_fmac_f32_e32 v7, v8, v5
	v_fma_f32 v3, -v3, v7, v6
	s_delay_alu instid0(VALU_DEP_1) | instskip(NEXT) | instid1(VALU_DEP_1)
	v_div_fmas_f32 v3, v3, v5, v7
                                        ; implicit-def: $vgpr5
	v_div_fixup_f32 v3, v3, v1, v4
                                        ; implicit-def: $vgpr1
                                        ; implicit-def: $vgpr4
.LBB17_183:
	s_and_not1_saveexec_b32 s20, s20
	s_cbranch_execz .LBB17_185
; %bb.184:
	v_mul_f32_e64 v3, 0x4f800000, |v1|
	v_cmp_gt_f32_e64 vcc_lo, 0xf800000, |v1|
	v_mul_f32_e64 v4, v5, -v4
	s_delay_alu instid0(VALU_DEP_2) | instskip(NEXT) | instid1(VALU_DEP_1)
	v_cndmask_b32_e64 v1, |v1|, v3, vcc_lo
	v_sqrt_f32_e32 v3, v1
	s_waitcnt_depctr 0xfff
	v_add_nc_u32_e32 v6, -1, v3
	v_add_nc_u32_e32 v7, 1, v3
	s_delay_alu instid0(VALU_DEP_2) | instskip(NEXT) | instid1(VALU_DEP_2)
	v_fma_f32 v8, -v6, v3, v1
	v_fma_f32 v9, -v7, v3, v1
	s_delay_alu instid0(VALU_DEP_2) | instskip(NEXT) | instid1(VALU_DEP_1)
	v_cmp_ge_f32_e64 s2, 0, v8
	v_cndmask_b32_e64 v3, v3, v6, s2
	s_delay_alu instid0(VALU_DEP_3) | instskip(NEXT) | instid1(VALU_DEP_1)
	v_cmp_lt_f32_e64 s2, 0, v9
	v_cndmask_b32_e64 v3, v3, v7, s2
	s_delay_alu instid0(VALU_DEP_1) | instskip(NEXT) | instid1(VALU_DEP_1)
	v_mul_f32_e32 v6, 0x37800000, v3
	v_cndmask_b32_e32 v3, v3, v6, vcc_lo
	v_cmp_class_f32_e64 vcc_lo, v1, 0x260
	s_delay_alu instid0(VALU_DEP_2) | instskip(NEXT) | instid1(VALU_DEP_1)
	v_cndmask_b32_e32 v1, v3, v1, vcc_lo
	v_div_scale_f32 v3, null, v1, v1, v4
	s_delay_alu instid0(VALU_DEP_1) | instskip(SKIP_2) | instid1(VALU_DEP_1)
	v_rcp_f32_e32 v5, v3
	s_waitcnt_depctr 0xfff
	v_fma_f32 v6, -v3, v5, 1.0
	v_fmac_f32_e32 v5, v6, v5
	v_div_scale_f32 v6, vcc_lo, v4, v1, v4
	s_delay_alu instid0(VALU_DEP_1) | instskip(NEXT) | instid1(VALU_DEP_1)
	v_mul_f32_e32 v7, v6, v5
	v_fma_f32 v8, -v3, v7, v6
	s_delay_alu instid0(VALU_DEP_1) | instskip(NEXT) | instid1(VALU_DEP_1)
	v_fmac_f32_e32 v7, v8, v5
	v_fma_f32 v3, -v3, v7, v6
	s_delay_alu instid0(VALU_DEP_1) | instskip(NEXT) | instid1(VALU_DEP_1)
	v_div_fmas_f32 v3, v3, v5, v7
	v_div_fixup_f32 v3, v3, v1, v4
.LBB17_185:
	s_or_b32 exec_lo, exec_lo, s20
.LBB17_186:
	s_delay_alu instid0(SALU_CYCLE_1) | instskip(SKIP_3) | instid1(SALU_CYCLE_1)
	s_or_b32 exec_lo, exec_lo, s3
	v_add_nc_u32_e32 v2, 0x80, v2
	global_store_b32 v0, v3, s[4:5]
	s_or_b32 exec_lo, exec_lo, s30
	s_mov_b32 s20, exec_lo
	v_cmpx_gt_i32_e64 s27, v2
	s_cbranch_execz .LBB17_165
.LBB17_187:
	s_and_not1_b32 vcc_lo, exec_lo, s24
	s_cbranch_vccnz .LBB17_192
; %bb.188:
	v_dual_mov_b32 v0, 0 :: v_dual_mov_b32 v1, 0
	s_and_not1_b32 vcc_lo, exec_lo, s29
	s_mov_b32 s21, 0
	s_cbranch_vccnz .LBB17_197
; %bb.189:
	v_mov_b32_e32 v0, 0
	s_add_i32 s28, s28, 1
	s_cmp_eq_u32 s23, 2
	s_mov_b32 s27, 0
	s_cbranch_scc1 .LBB17_193
; %bb.190:
	v_dual_mov_b32 v1, 0 :: v_dual_mov_b32 v0, 0
	v_mov_b32_e32 v3, v2
	s_and_b32 s27, s28, 28
	s_mov_b32 s29, 0
	s_mov_b64 s[2:3], s[0:1]
.LBB17_191:                             ; =>This Inner Loop Header: Depth=1
	s_clause 0x1
	s_load_b256 s[36:43], s[2:3], 0x4
	s_load_b128 s[52:55], s[2:3], 0x24
	s_load_b256 s[44:51], s[18:19], 0x0
	s_add_u32 s2, s2, 48
	s_addc_u32 s3, s3, 0
	s_add_i32 s29, s29, 4
	s_add_u32 s18, s18, 32
	s_addc_u32 s19, s19, 0
	s_cmp_eq_u32 s27, s29
	s_waitcnt lgkmcnt(0)
	v_mul_hi_u32 v4, s37, v3
	s_delay_alu instid0(VALU_DEP_1) | instskip(NEXT) | instid1(VALU_DEP_1)
	v_add_nc_u32_e32 v4, v3, v4
	v_lshrrev_b32_e32 v4, s38, v4
	s_delay_alu instid0(VALU_DEP_1) | instskip(SKIP_1) | instid1(VALU_DEP_2)
	v_mul_hi_u32 v5, s40, v4
	v_mul_lo_u32 v7, v4, s36
	v_add_nc_u32_e32 v5, v4, v5
	s_delay_alu instid0(VALU_DEP_2) | instskip(NEXT) | instid1(VALU_DEP_2)
	v_sub_nc_u32_e32 v3, v3, v7
	v_lshrrev_b32_e32 v5, s41, v5
	s_delay_alu instid0(VALU_DEP_2) | instskip(SKIP_1) | instid1(VALU_DEP_3)
	v_mul_lo_u32 v7, v3, s44
	v_mul_lo_u32 v9, v3, s45
	v_mul_hi_u32 v6, s43, v5
	s_delay_alu instid0(VALU_DEP_1) | instskip(NEXT) | instid1(VALU_DEP_1)
	v_add_nc_u32_e32 v6, v5, v6
	v_lshrrev_b32_e32 v6, s52, v6
	s_delay_alu instid0(VALU_DEP_1) | instskip(SKIP_1) | instid1(VALU_DEP_2)
	v_mul_hi_u32 v8, s54, v6
	v_mul_lo_u32 v10, v6, s42
	v_add_nc_u32_e32 v3, v6, v8
	v_mul_lo_u32 v8, v5, s39
	s_delay_alu instid0(VALU_DEP_3) | instskip(NEXT) | instid1(VALU_DEP_3)
	v_sub_nc_u32_e32 v5, v5, v10
	v_lshrrev_b32_e32 v3, s55, v3
	s_delay_alu instid0(VALU_DEP_2) | instskip(SKIP_2) | instid1(VALU_DEP_4)
	v_mul_lo_u32 v10, v5, s48
	v_mul_lo_u32 v5, v5, s49
	v_sub_nc_u32_e32 v4, v4, v8
	v_mul_lo_u32 v11, v3, s53
	s_delay_alu instid0(VALU_DEP_2) | instskip(SKIP_1) | instid1(VALU_DEP_3)
	v_mul_lo_u32 v8, v4, s46
	v_mul_lo_u32 v4, v4, s47
	v_sub_nc_u32_e32 v6, v6, v11
	s_delay_alu instid0(VALU_DEP_3) | instskip(NEXT) | instid1(VALU_DEP_2)
	v_add3_u32 v0, v7, v0, v8
	v_mul_lo_u32 v11, v6, s50
	v_mul_lo_u32 v6, v6, s51
	v_add3_u32 v1, v9, v1, v4
	s_delay_alu instid0(VALU_DEP_3) | instskip(NEXT) | instid1(VALU_DEP_2)
	v_add3_u32 v0, v10, v0, v11
	v_add3_u32 v1, v5, v1, v6
	s_cbranch_scc0 .LBB17_191
	s_branch .LBB17_194
.LBB17_192:
	s_mov_b32 s21, -1
                                        ; implicit-def: $vgpr0
                                        ; implicit-def: $vgpr1
	s_branch .LBB17_197
.LBB17_193:
	v_mov_b32_e32 v3, v2
	v_mov_b32_e32 v1, 0
.LBB17_194:
	s_and_b32 s28, s28, 3
	s_delay_alu instid0(SALU_CYCLE_1)
	s_cmp_eq_u32 s28, 0
	s_cbranch_scc1 .LBB17_197
; %bb.195:
	s_lshl_b32 s2, s27, 3
	s_mul_i32 s18, s27, 12
	s_add_u32 s2, s2, s0
	s_addc_u32 s3, s1, 0
	s_add_u32 s2, s2, 0xc4
	s_addc_u32 s3, s3, 0
	;; [unrolled: 2-line block ×3, first 2 shown]
	.p2align	6
.LBB17_196:                             ; =>This Inner Loop Header: Depth=1
	s_clause 0x1
	s_load_b64 s[30:31], s[18:19], 0x4
	s_load_b32 s27, s[18:19], 0xc
	s_load_b64 s[34:35], s[2:3], 0x0
	s_add_u32 s18, s18, 12
	s_addc_u32 s19, s19, 0
	s_add_u32 s2, s2, 8
	s_addc_u32 s3, s3, 0
	s_add_i32 s28, s28, -1
	s_delay_alu instid0(SALU_CYCLE_1) | instskip(SKIP_2) | instid1(VALU_DEP_1)
	s_cmp_lg_u32 s28, 0
	s_waitcnt lgkmcnt(0)
	v_mul_hi_u32 v4, s31, v3
	v_add_nc_u32_e32 v4, v3, v4
	s_delay_alu instid0(VALU_DEP_1) | instskip(NEXT) | instid1(VALU_DEP_1)
	v_lshrrev_b32_e32 v7, s27, v4
	v_mul_lo_u32 v4, v7, s30
	s_delay_alu instid0(VALU_DEP_1) | instskip(NEXT) | instid1(VALU_DEP_1)
	v_sub_nc_u32_e32 v3, v3, v4
	v_mad_u64_u32 v[4:5], null, v3, s34, v[0:1]
	v_mad_u64_u32 v[5:6], null, v3, s35, v[1:2]
	s_delay_alu instid0(VALU_DEP_2) | instskip(NEXT) | instid1(VALU_DEP_2)
	v_dual_mov_b32 v3, v7 :: v_dual_mov_b32 v0, v4
	v_mov_b32_e32 v1, v5
	s_cbranch_scc1 .LBB17_196
.LBB17_197:
	s_and_not1_b32 vcc_lo, exec_lo, s21
	s_cbranch_vccnz .LBB17_200
; %bb.198:
	s_waitcnt lgkmcnt(0)
	v_mul_hi_u32 v0, s13, v2
	s_and_not1_b32 vcc_lo, exec_lo, s26
	s_delay_alu instid0(VALU_DEP_1) | instskip(NEXT) | instid1(VALU_DEP_1)
	v_add_nc_u32_e32 v0, v2, v0
	v_lshrrev_b32_e32 v3, s14, v0
	s_delay_alu instid0(VALU_DEP_1) | instskip(NEXT) | instid1(VALU_DEP_1)
	v_mul_lo_u32 v0, v3, s12
	v_sub_nc_u32_e32 v1, v2, v0
	s_delay_alu instid0(VALU_DEP_1)
	v_mul_lo_u32 v0, v1, s8
	v_mul_lo_u32 v1, v1, s9
	s_cbranch_vccnz .LBB17_200
; %bb.199:
	v_mul_hi_u32 v2, s16, v3
	s_delay_alu instid0(VALU_DEP_1) | instskip(NEXT) | instid1(VALU_DEP_1)
	v_add_nc_u32_e32 v2, v3, v2
	v_lshrrev_b32_e32 v2, s17, v2
	s_delay_alu instid0(VALU_DEP_1) | instskip(NEXT) | instid1(VALU_DEP_1)
	v_mul_lo_u32 v2, v2, s15
	v_sub_nc_u32_e32 v5, v3, v2
	s_delay_alu instid0(VALU_DEP_1) | instskip(NEXT) | instid1(VALU_DEP_1)
	v_mad_u64_u32 v[2:3], null, v5, s10, v[0:1]
	v_mad_u64_u32 v[3:4], null, v5, s11, v[1:2]
	s_delay_alu instid0(VALU_DEP_1)
	v_dual_mov_b32 v0, v2 :: v_dual_mov_b32 v1, v3
.LBB17_200:
	s_waitcnt lgkmcnt(0)
	global_load_b32 v1, v1, s[6:7]
                                        ; implicit-def: $vgpr2
	s_waitcnt vmcnt(0)
	v_cmp_ge_f32_e64 s2, 0x41000000, |v1|
	s_delay_alu instid0(VALU_DEP_1) | instskip(NEXT) | instid1(SALU_CYCLE_1)
	s_and_saveexec_b32 s3, s2
	s_xor_b32 s2, exec_lo, s3
	s_cbranch_execz .LBB17_206
; %bb.201:
	v_fma_f32 v2, |v1|, 0.5, -2.0
	s_mov_b32 s3, 0x224cf950
	s_delay_alu instid0(VALU_DEP_1) | instid1(SALU_CYCLE_1)
	v_fmaak_f32 v3, s3, v2, 0xa3c2be86
	s_mov_b32 s3, exec_lo
	s_delay_alu instid0(VALU_DEP_1) | instskip(NEXT) | instid1(VALU_DEP_1)
	v_fmaak_f32 v4, v2, v3, 0xa24cf950
	v_add_f32_e32 v4, 0x25331f1f, v4
	s_delay_alu instid0(VALU_DEP_1) | instskip(NEXT) | instid1(VALU_DEP_1)
	v_fma_f32 v3, v2, v4, -v3
	v_add_f32_e32 v3, 0xa69f5554, v3
	s_delay_alu instid0(VALU_DEP_1) | instskip(NEXT) | instid1(VALU_DEP_1)
	v_fma_f32 v4, v2, v3, -v4
	;; [unrolled: 3-line block ×26, first 2 shown]
	v_add_f32_e32 v2, 0x3e81531c, v2
	s_delay_alu instid0(VALU_DEP_1)
	v_sub_f32_e32 v3, v2, v4
                                        ; implicit-def: $vgpr2
	v_cmpx_ngt_f32_e32 0, v1
	s_xor_b32 s3, exec_lo, s3
	s_cbranch_execz .LBB17_203
; %bb.202:
	v_mul_f32_e64 v2, 0x3fb8aa3b, |v1|
	v_cmp_ngt_f32_e64 vcc_lo, 0xc2ce8ed0, |v1|
	v_mul_f32_e32 v3, 0.5, v3
	s_delay_alu instid0(VALU_DEP_3) | instskip(SKIP_1) | instid1(VALU_DEP_3)
	v_rndne_f32_e32 v4, v2
	v_fma_f32 v5, 0x3fb8aa3b, |v1|, -v2
	v_mul_f32_e64 v3, |v1|, v3
	s_delay_alu instid0(VALU_DEP_3) | instskip(NEXT) | instid1(VALU_DEP_3)
	v_sub_f32_e32 v2, v2, v4
	v_fma_f32 v5, 0x32a5705f, |v1|, v5
	v_cvt_i32_f32_e32 v4, v4
	s_delay_alu instid0(VALU_DEP_2) | instskip(NEXT) | instid1(VALU_DEP_1)
	v_add_f32_e32 v2, v2, v5
	v_exp_f32_e32 v2, v2
	s_waitcnt_depctr 0xfff
	v_ldexp_f32 v2, v2, v4
	s_delay_alu instid0(VALU_DEP_1) | instskip(SKIP_1) | instid1(VALU_DEP_2)
	v_cndmask_b32_e32 v2, 0, v2, vcc_lo
	v_cmp_nlt_f32_e64 vcc_lo, 0x42b17218, |v1|
	v_cndmask_b32_e32 v1, 0x7f800000, v2, vcc_lo
	s_delay_alu instid0(VALU_DEP_1)
	v_mul_f32_e32 v2, v1, v3
                                        ; implicit-def: $vgpr1
                                        ; implicit-def: $vgpr3
.LBB17_203:
	s_and_not1_saveexec_b32 s3, s3
	s_cbranch_execz .LBB17_205
; %bb.204:
	v_mul_f32_e64 v2, 0x3fb8aa3b, |v1|
	v_cmp_ngt_f32_e64 vcc_lo, 0xc2ce8ed0, |v1|
	v_mul_f32_e32 v3, -0.5, v3
	s_delay_alu instid0(VALU_DEP_3) | instskip(SKIP_1) | instid1(VALU_DEP_2)
	v_rndne_f32_e32 v4, v2
	v_fma_f32 v5, 0x3fb8aa3b, |v1|, -v2
	v_sub_f32_e32 v2, v2, v4
	s_delay_alu instid0(VALU_DEP_2) | instskip(SKIP_1) | instid1(VALU_DEP_2)
	v_fma_f32 v5, 0x32a5705f, |v1|, v5
	v_cvt_i32_f32_e32 v4, v4
	v_add_f32_e32 v2, v2, v5
	s_delay_alu instid0(VALU_DEP_1) | instskip(SKIP_2) | instid1(VALU_DEP_1)
	v_exp_f32_e32 v2, v2
	s_waitcnt_depctr 0xfff
	v_ldexp_f32 v2, v2, v4
	v_cndmask_b32_e32 v2, 0, v2, vcc_lo
	v_cmp_nlt_f32_e64 vcc_lo, 0x42b17218, |v1|
	v_mul_f32_e64 v1, |v1|, v3
	s_delay_alu instid0(VALU_DEP_3) | instskip(NEXT) | instid1(VALU_DEP_1)
	v_cndmask_b32_e32 v2, 0x7f800000, v2, vcc_lo
	v_mul_f32_e32 v2, v2, v1
.LBB17_205:
	s_or_b32 exec_lo, exec_lo, s3
                                        ; implicit-def: $vgpr1
.LBB17_206:
	s_and_not1_saveexec_b32 s3, s2
	s_cbranch_execz .LBB17_212
; %bb.207:
	v_and_b32_e32 v2, 0x7fffffff, v1
	s_mov_b32 s2, 0x230aab6e
	s_delay_alu instid0(VALU_DEP_1) | instskip(SKIP_1) | instid1(VALU_DEP_2)
	v_div_scale_f32 v3, null, v2, v2, 0x42000000
	v_div_scale_f32 v2, vcc_lo, 0x42000000, v2, 0x42000000
	v_rcp_f32_e32 v4, v3
	s_waitcnt_depctr 0xfff
	v_fma_f32 v5, -v3, v4, 1.0
	s_delay_alu instid0(VALU_DEP_1) | instskip(NEXT) | instid1(VALU_DEP_1)
	v_fmac_f32_e32 v4, v5, v4
	v_mul_f32_e32 v5, v2, v4
	s_delay_alu instid0(VALU_DEP_1) | instskip(NEXT) | instid1(VALU_DEP_1)
	v_fma_f32 v6, -v3, v5, v2
	v_fmac_f32_e32 v5, v6, v4
	s_delay_alu instid0(VALU_DEP_1) | instskip(NEXT) | instid1(VALU_DEP_1)
	v_fma_f32 v2, -v3, v5, v2
	v_div_fmas_f32 v2, v2, v4, v5
	v_mul_f32_e64 v5, 0x3fb8aa3b, |v1|
	v_cmp_ngt_f32_e64 vcc_lo, 0xc2ce8ed0, |v1|
	s_delay_alu instid0(VALU_DEP_3) | instskip(NEXT) | instid1(VALU_DEP_3)
	v_div_fixup_f32 v2, v2, |v1|, 0x42000000
	v_rndne_f32_e32 v6, v5
	v_fma_f32 v7, 0x3fb8aa3b, |v1|, -v5
	s_delay_alu instid0(VALU_DEP_3) | instskip(NEXT) | instid1(VALU_DEP_3)
	v_add_f32_e32 v2, -2.0, v2
	v_sub_f32_e32 v5, v5, v6
	s_delay_alu instid0(VALU_DEP_3) | instskip(SKIP_1) | instid1(VALU_DEP_4)
	v_fma_f32 v7, 0x32a5705f, |v1|, v7
	v_cvt_i32_f32_e32 v6, v6
	v_fmaak_f32 v3, s2, v2, 0x22a2dc57
	v_cmp_nlt_f32_e64 s2, 0x42b17218, |v1|
	s_delay_alu instid0(VALU_DEP_4) | instskip(NEXT) | instid1(VALU_DEP_3)
	v_add_f32_e32 v5, v5, v7
	v_fmaak_f32 v4, v2, v3, 0xa30aab6e
	s_delay_alu instid0(VALU_DEP_2) | instskip(NEXT) | instid1(VALU_DEP_1)
	v_exp_f32_e32 v5, v5
	v_add_f32_e32 v4, 0xa456751e, v4
	s_delay_alu instid0(VALU_DEP_1) | instskip(NEXT) | instid1(VALU_DEP_1)
	v_fma_f32 v3, v2, v4, -v3
	v_add_f32_e32 v3, 0xa4140365, v3
	s_delay_alu instid0(VALU_DEP_1) | instskip(NEXT) | instid1(VALU_DEP_1)
	v_fma_f32 v4, v2, v3, -v4
	;; [unrolled: 3-line block ×21, first 2 shown]
	v_add_f32_e32 v3, 0xbc1fed03, v3
	s_delay_alu instid0(VALU_DEP_1) | instskip(SKIP_1) | instid1(VALU_DEP_1)
	v_fma_f32 v2, v2, v3, -v4
	v_ldexp_f32 v3, v5, v6
	v_dual_add_f32 v2, 0x3f4750c6, v2 :: v_dual_cndmask_b32 v3, 0, v3
	s_delay_alu instid0(VALU_DEP_1) | instskip(NEXT) | instid1(VALU_DEP_2)
	v_sub_f32_e32 v2, v2, v4
	v_cndmask_b32_e64 v3, 0x7f800000, v3, s2
	s_mov_b32 s2, exec_lo
	s_delay_alu instid0(VALU_DEP_2)
	v_mul_f32_e32 v4, 0.5, v2
                                        ; implicit-def: $vgpr2
	v_cmpx_ngt_f32_e32 0, v1
	s_xor_b32 s6, exec_lo, s2
	s_cbranch_execz .LBB17_209
; %bb.208:
	v_mul_f32_e64 v2, 0x4f800000, |v1|
	v_cmp_gt_f32_e64 vcc_lo, 0xf800000, |v1|
	v_mul_f32_e32 v3, v3, v4
	s_delay_alu instid0(VALU_DEP_2) | instskip(NEXT) | instid1(VALU_DEP_1)
	v_cndmask_b32_e64 v1, |v1|, v2, vcc_lo
	v_sqrt_f32_e32 v2, v1
	s_waitcnt_depctr 0xfff
	v_add_nc_u32_e32 v5, -1, v2
	v_add_nc_u32_e32 v6, 1, v2
	s_delay_alu instid0(VALU_DEP_2) | instskip(NEXT) | instid1(VALU_DEP_2)
	v_fma_f32 v7, -v5, v2, v1
	v_fma_f32 v8, -v6, v2, v1
	s_delay_alu instid0(VALU_DEP_2) | instskip(NEXT) | instid1(VALU_DEP_1)
	v_cmp_ge_f32_e64 s2, 0, v7
	v_cndmask_b32_e64 v2, v2, v5, s2
	s_delay_alu instid0(VALU_DEP_3) | instskip(NEXT) | instid1(VALU_DEP_1)
	v_cmp_lt_f32_e64 s2, 0, v8
	v_cndmask_b32_e64 v2, v2, v6, s2
	s_delay_alu instid0(VALU_DEP_1) | instskip(NEXT) | instid1(VALU_DEP_1)
	v_mul_f32_e32 v5, 0x37800000, v2
	v_cndmask_b32_e32 v2, v2, v5, vcc_lo
	v_cmp_class_f32_e64 vcc_lo, v1, 0x260
	s_delay_alu instid0(VALU_DEP_2) | instskip(NEXT) | instid1(VALU_DEP_1)
	v_cndmask_b32_e32 v1, v2, v1, vcc_lo
	v_div_scale_f32 v2, null, v1, v1, v3
	s_delay_alu instid0(VALU_DEP_1) | instskip(SKIP_2) | instid1(VALU_DEP_1)
	v_rcp_f32_e32 v4, v2
	s_waitcnt_depctr 0xfff
	v_fma_f32 v5, -v2, v4, 1.0
	v_fmac_f32_e32 v4, v5, v4
	v_div_scale_f32 v5, vcc_lo, v3, v1, v3
	s_delay_alu instid0(VALU_DEP_1) | instskip(NEXT) | instid1(VALU_DEP_1)
	v_mul_f32_e32 v6, v5, v4
	v_fma_f32 v7, -v2, v6, v5
	s_delay_alu instid0(VALU_DEP_1) | instskip(NEXT) | instid1(VALU_DEP_1)
	v_fmac_f32_e32 v6, v7, v4
	v_fma_f32 v2, -v2, v6, v5
	s_delay_alu instid0(VALU_DEP_1) | instskip(NEXT) | instid1(VALU_DEP_1)
	v_div_fmas_f32 v2, v2, v4, v6
                                        ; implicit-def: $vgpr4
	v_div_fixup_f32 v2, v2, v1, v3
                                        ; implicit-def: $vgpr1
                                        ; implicit-def: $vgpr3
.LBB17_209:
	s_and_not1_saveexec_b32 s6, s6
	s_cbranch_execz .LBB17_211
; %bb.210:
	v_mul_f32_e64 v2, 0x4f800000, |v1|
	v_cmp_gt_f32_e64 vcc_lo, 0xf800000, |v1|
	v_mul_f32_e64 v3, v4, -v3
	s_delay_alu instid0(VALU_DEP_2) | instskip(NEXT) | instid1(VALU_DEP_1)
	v_cndmask_b32_e64 v1, |v1|, v2, vcc_lo
	v_sqrt_f32_e32 v2, v1
	s_waitcnt_depctr 0xfff
	v_add_nc_u32_e32 v5, -1, v2
	v_add_nc_u32_e32 v6, 1, v2
	s_delay_alu instid0(VALU_DEP_2) | instskip(NEXT) | instid1(VALU_DEP_2)
	v_fma_f32 v7, -v5, v2, v1
	v_fma_f32 v8, -v6, v2, v1
	s_delay_alu instid0(VALU_DEP_2) | instskip(NEXT) | instid1(VALU_DEP_1)
	v_cmp_ge_f32_e64 s2, 0, v7
	v_cndmask_b32_e64 v2, v2, v5, s2
	s_delay_alu instid0(VALU_DEP_3) | instskip(NEXT) | instid1(VALU_DEP_1)
	v_cmp_lt_f32_e64 s2, 0, v8
	v_cndmask_b32_e64 v2, v2, v6, s2
	s_delay_alu instid0(VALU_DEP_1) | instskip(NEXT) | instid1(VALU_DEP_1)
	v_mul_f32_e32 v5, 0x37800000, v2
	v_cndmask_b32_e32 v2, v2, v5, vcc_lo
	v_cmp_class_f32_e64 vcc_lo, v1, 0x260
	s_delay_alu instid0(VALU_DEP_2) | instskip(NEXT) | instid1(VALU_DEP_1)
	v_cndmask_b32_e32 v1, v2, v1, vcc_lo
	v_div_scale_f32 v2, null, v1, v1, v3
	s_delay_alu instid0(VALU_DEP_1) | instskip(SKIP_2) | instid1(VALU_DEP_1)
	v_rcp_f32_e32 v4, v2
	s_waitcnt_depctr 0xfff
	v_fma_f32 v5, -v2, v4, 1.0
	v_fmac_f32_e32 v4, v5, v4
	v_div_scale_f32 v5, vcc_lo, v3, v1, v3
	s_delay_alu instid0(VALU_DEP_1) | instskip(NEXT) | instid1(VALU_DEP_1)
	v_mul_f32_e32 v6, v5, v4
	v_fma_f32 v7, -v2, v6, v5
	s_delay_alu instid0(VALU_DEP_1) | instskip(NEXT) | instid1(VALU_DEP_1)
	v_fmac_f32_e32 v6, v7, v4
	v_fma_f32 v2, -v2, v6, v5
	s_delay_alu instid0(VALU_DEP_1) | instskip(NEXT) | instid1(VALU_DEP_1)
	v_div_fmas_f32 v2, v2, v4, v6
	v_div_fixup_f32 v2, v2, v1, v3
.LBB17_211:
	s_or_b32 exec_lo, exec_lo, s6
.LBB17_212:
	s_delay_alu instid0(SALU_CYCLE_1)
	s_or_b32 exec_lo, exec_lo, s3
	global_store_b32 v0, v2, s[4:5]
	s_or_b32 exec_lo, exec_lo, s20
                                        ; implicit-def: $vgpr8
                                        ; implicit-def: $vgpr2
	s_and_not1_saveexec_b32 s2, s25
	s_cbranch_execz .LBB17_166
	s_branch .LBB17_8
	.section	.rodata,"a",@progbits
	.p2align	6, 0x0
	.amdhsa_kernel _ZN2at6native32elementwise_kernel_manual_unrollILi128ELi4EZNS0_22gpu_kernel_impl_nocastIZZZNS0_12_GLOBAL__N_130modified_bessel_i1_kernel_cudaERNS_18TensorIteratorBaseEENKUlvE_clEvENKUlvE0_clEvEUlfE_EEvS5_RKT_EUlibE_EEviT1_
		.amdhsa_group_segment_fixed_size 0
		.amdhsa_private_segment_fixed_size 0
		.amdhsa_kernarg_size 360
		.amdhsa_user_sgpr_count 15
		.amdhsa_user_sgpr_dispatch_ptr 0
		.amdhsa_user_sgpr_queue_ptr 0
		.amdhsa_user_sgpr_kernarg_segment_ptr 1
		.amdhsa_user_sgpr_dispatch_id 0
		.amdhsa_user_sgpr_private_segment_size 0
		.amdhsa_wavefront_size32 1
		.amdhsa_uses_dynamic_stack 0
		.amdhsa_enable_private_segment 0
		.amdhsa_system_sgpr_workgroup_id_x 1
		.amdhsa_system_sgpr_workgroup_id_y 0
		.amdhsa_system_sgpr_workgroup_id_z 0
		.amdhsa_system_sgpr_workgroup_info 0
		.amdhsa_system_vgpr_workitem_id 0
		.amdhsa_next_free_vgpr 18
		.amdhsa_next_free_sgpr 56
		.amdhsa_reserve_vcc 1
		.amdhsa_float_round_mode_32 0
		.amdhsa_float_round_mode_16_64 0
		.amdhsa_float_denorm_mode_32 3
		.amdhsa_float_denorm_mode_16_64 3
		.amdhsa_dx10_clamp 1
		.amdhsa_ieee_mode 1
		.amdhsa_fp16_overflow 0
		.amdhsa_workgroup_processor_mode 1
		.amdhsa_memory_ordered 1
		.amdhsa_forward_progress 0
		.amdhsa_shared_vgpr_count 0
		.amdhsa_exception_fp_ieee_invalid_op 0
		.amdhsa_exception_fp_denorm_src 0
		.amdhsa_exception_fp_ieee_div_zero 0
		.amdhsa_exception_fp_ieee_overflow 0
		.amdhsa_exception_fp_ieee_underflow 0
		.amdhsa_exception_fp_ieee_inexact 0
		.amdhsa_exception_int_div_zero 0
	.end_amdhsa_kernel
	.section	.text._ZN2at6native32elementwise_kernel_manual_unrollILi128ELi4EZNS0_22gpu_kernel_impl_nocastIZZZNS0_12_GLOBAL__N_130modified_bessel_i1_kernel_cudaERNS_18TensorIteratorBaseEENKUlvE_clEvENKUlvE0_clEvEUlfE_EEvS5_RKT_EUlibE_EEviT1_,"axG",@progbits,_ZN2at6native32elementwise_kernel_manual_unrollILi128ELi4EZNS0_22gpu_kernel_impl_nocastIZZZNS0_12_GLOBAL__N_130modified_bessel_i1_kernel_cudaERNS_18TensorIteratorBaseEENKUlvE_clEvENKUlvE0_clEvEUlfE_EEvS5_RKT_EUlibE_EEviT1_,comdat
.Lfunc_end17:
	.size	_ZN2at6native32elementwise_kernel_manual_unrollILi128ELi4EZNS0_22gpu_kernel_impl_nocastIZZZNS0_12_GLOBAL__N_130modified_bessel_i1_kernel_cudaERNS_18TensorIteratorBaseEENKUlvE_clEvENKUlvE0_clEvEUlfE_EEvS5_RKT_EUlibE_EEviT1_, .Lfunc_end17-_ZN2at6native32elementwise_kernel_manual_unrollILi128ELi4EZNS0_22gpu_kernel_impl_nocastIZZZNS0_12_GLOBAL__N_130modified_bessel_i1_kernel_cudaERNS_18TensorIteratorBaseEENKUlvE_clEvENKUlvE0_clEvEUlfE_EEvS5_RKT_EUlibE_EEviT1_
                                        ; -- End function
	.section	.AMDGPU.csdata,"",@progbits
; Kernel info:
; codeLenInByte = 24072
; NumSgprs: 58
; NumVgprs: 18
; ScratchSize: 0
; MemoryBound: 0
; FloatMode: 240
; IeeeMode: 1
; LDSByteSize: 0 bytes/workgroup (compile time only)
; SGPRBlocks: 7
; VGPRBlocks: 2
; NumSGPRsForWavesPerEU: 58
; NumVGPRsForWavesPerEU: 18
; Occupancy: 16
; WaveLimiterHint : 1
; COMPUTE_PGM_RSRC2:SCRATCH_EN: 0
; COMPUTE_PGM_RSRC2:USER_SGPR: 15
; COMPUTE_PGM_RSRC2:TRAP_HANDLER: 0
; COMPUTE_PGM_RSRC2:TGID_X_EN: 1
; COMPUTE_PGM_RSRC2:TGID_Y_EN: 0
; COMPUTE_PGM_RSRC2:TGID_Z_EN: 0
; COMPUTE_PGM_RSRC2:TIDIG_COMP_CNT: 0
	.section	.text._ZN2at6native32elementwise_kernel_manual_unrollILi128ELi4EZNS0_15gpu_kernel_implIZZZNS0_12_GLOBAL__N_130modified_bessel_i1_kernel_cudaERNS_18TensorIteratorBaseEENKUlvE_clEvENKUlvE0_clEvEUlfE_EEvS5_RKT_EUlibE_EEviT1_,"axG",@progbits,_ZN2at6native32elementwise_kernel_manual_unrollILi128ELi4EZNS0_15gpu_kernel_implIZZZNS0_12_GLOBAL__N_130modified_bessel_i1_kernel_cudaERNS_18TensorIteratorBaseEENKUlvE_clEvENKUlvE0_clEvEUlfE_EEvS5_RKT_EUlibE_EEviT1_,comdat
	.globl	_ZN2at6native32elementwise_kernel_manual_unrollILi128ELi4EZNS0_15gpu_kernel_implIZZZNS0_12_GLOBAL__N_130modified_bessel_i1_kernel_cudaERNS_18TensorIteratorBaseEENKUlvE_clEvENKUlvE0_clEvEUlfE_EEvS5_RKT_EUlibE_EEviT1_ ; -- Begin function _ZN2at6native32elementwise_kernel_manual_unrollILi128ELi4EZNS0_15gpu_kernel_implIZZZNS0_12_GLOBAL__N_130modified_bessel_i1_kernel_cudaERNS_18TensorIteratorBaseEENKUlvE_clEvENKUlvE0_clEvEUlfE_EEvS5_RKT_EUlibE_EEviT1_
	.p2align	8
	.type	_ZN2at6native32elementwise_kernel_manual_unrollILi128ELi4EZNS0_15gpu_kernel_implIZZZNS0_12_GLOBAL__N_130modified_bessel_i1_kernel_cudaERNS_18TensorIteratorBaseEENKUlvE_clEvENKUlvE0_clEvEUlfE_EEvS5_RKT_EUlibE_EEviT1_,@function
_ZN2at6native32elementwise_kernel_manual_unrollILi128ELi4EZNS0_15gpu_kernel_implIZZZNS0_12_GLOBAL__N_130modified_bessel_i1_kernel_cudaERNS_18TensorIteratorBaseEENKUlvE_clEvENKUlvE0_clEvEUlfE_EEvS5_RKT_EUlibE_EEviT1_: ; @_ZN2at6native32elementwise_kernel_manual_unrollILi128ELi4EZNS0_15gpu_kernel_implIZZZNS0_12_GLOBAL__N_130modified_bessel_i1_kernel_cudaERNS_18TensorIteratorBaseEENKUlvE_clEvENKUlvE0_clEvEUlfE_EEvS5_RKT_EUlibE_EEviT1_
; %bb.0:
	v_mov_b32_e32 v1, 0
	s_clause 0x2
	s_load_b32 s10, s[0:1], 0x0
	s_load_b64 s[2:3], s[0:1], 0x18
	s_load_b128 s[4:7], s[0:1], 0x8
	v_lshl_or_b32 v8, s15, 9, v0
	s_mov_b32 s9, 0
	global_load_u16 v7, v1, s[0:1] offset:33
	s_mov_b32 s1, 0
	v_or_b32_e32 v0, 0x180, v8
	s_mov_b32 s0, exec_lo
	s_waitcnt vmcnt(0)
	v_lshrrev_b16 v9, 8, v7
	s_waitcnt lgkmcnt(0)
	v_cmpx_le_i32_e64 s10, v0
	s_xor_b32 s8, exec_lo, s0
	s_cbranch_execz .LBB18_1081
; %bb.1:
	s_mov_b32 s15, -1
	s_mov_b32 s13, 0
	s_mov_b32 s11, 0
	s_mov_b32 s12, exec_lo
	v_cmpx_gt_i32_e64 s10, v8
	s_cbranch_execz .LBB18_264
; %bb.2:
	v_mul_lo_u32 v0, v8, s3
	v_cmp_gt_i16_e32 vcc_lo, 11, v9
	s_delay_alu instid0(VALU_DEP_2) | instskip(SKIP_1) | instid1(VALU_DEP_1)
	v_ashrrev_i32_e32 v1, 31, v0
	v_add_co_u32 v0, s0, s6, v0
	v_add_co_ci_u32_e64 v1, s0, s7, v1, s0
	s_cbranch_vccnz .LBB18_9
; %bb.3:
	v_cmp_lt_i16_e32 vcc_lo, 25, v9
	s_cbranch_vccz .LBB18_30
; %bb.4:
	v_cmp_lt_i16_e32 vcc_lo, 28, v9
	s_cbranch_vccz .LBB18_33
; %bb.5:
	v_cmp_lt_i16_e32 vcc_lo, 43, v9
	s_cbranch_vccz .LBB18_35
; %bb.6:
	v_cmp_lt_i16_e32 vcc_lo, 45, v9
	s_cbranch_vccz .LBB18_37
; %bb.7:
	v_cmp_eq_u16_e32 vcc_lo, 46, v9
	s_cbranch_vccz .LBB18_39
; %bb.8:
	global_load_b32 v2, v[0:1], off
	s_mov_b32 s0, -1
	s_waitcnt vmcnt(0)
	v_lshlrev_b32_e32 v2, 16, v2
	s_branch .LBB18_41
.LBB18_9:
	s_mov_b32 s0, 0
                                        ; implicit-def: $vgpr2
	s_cbranch_execnz .LBB18_214
.LBB18_10:
	s_and_not1_b32 vcc_lo, exec_lo, s0
	s_cbranch_vccnz .LBB18_261
.LBB18_11:
	s_waitcnt vmcnt(0)
	s_delay_alu instid0(VALU_DEP_1) | instskip(NEXT) | instid1(VALU_DEP_1)
	v_cmp_ge_f32_e64 s0, 0x41000000, |v2|
                                        ; implicit-def: $vgpr0
	s_and_saveexec_b32 s9, s0
	s_delay_alu instid0(SALU_CYCLE_1)
	s_xor_b32 s0, exec_lo, s9
	s_cbranch_execz .LBB18_17
; %bb.12:
	v_fma_f32 v0, |v2|, 0.5, -2.0
	s_mov_b32 s9, 0x224cf950
	s_delay_alu instid0(VALU_DEP_1) | instid1(SALU_CYCLE_1)
	v_fmaak_f32 v1, s9, v0, 0xa3c2be86
	s_mov_b32 s9, exec_lo
	s_delay_alu instid0(VALU_DEP_1) | instskip(NEXT) | instid1(VALU_DEP_1)
	v_fmaak_f32 v3, v0, v1, 0xa24cf950
	v_add_f32_e32 v3, 0x25331f1f, v3
	s_delay_alu instid0(VALU_DEP_1) | instskip(NEXT) | instid1(VALU_DEP_1)
	v_fma_f32 v1, v0, v3, -v1
	v_add_f32_e32 v1, 0xa69f5554, v1
	s_delay_alu instid0(VALU_DEP_1) | instskip(NEXT) | instid1(VALU_DEP_1)
	v_fma_f32 v3, v0, v1, -v3
	;; [unrolled: 3-line block ×26, first 2 shown]
	v_add_f32_e32 v0, 0x3e81531c, v0
	s_delay_alu instid0(VALU_DEP_1)
	v_sub_f32_e32 v1, v0, v3
                                        ; implicit-def: $vgpr0
	v_cmpx_ngt_f32_e32 0, v2
	s_xor_b32 s9, exec_lo, s9
	s_cbranch_execz .LBB18_14
; %bb.13:
	v_mul_f32_e64 v0, 0x3fb8aa3b, |v2|
	v_cmp_ngt_f32_e64 vcc_lo, 0xc2ce8ed0, |v2|
	v_mul_f32_e32 v1, 0.5, v1
	s_delay_alu instid0(VALU_DEP_3) | instskip(SKIP_1) | instid1(VALU_DEP_3)
	v_rndne_f32_e32 v3, v0
	v_fma_f32 v4, 0x3fb8aa3b, |v2|, -v0
	v_mul_f32_e64 v1, |v2|, v1
	s_delay_alu instid0(VALU_DEP_3) | instskip(NEXT) | instid1(VALU_DEP_3)
	v_sub_f32_e32 v0, v0, v3
	v_fma_f32 v4, 0x32a5705f, |v2|, v4
	v_cvt_i32_f32_e32 v3, v3
	s_delay_alu instid0(VALU_DEP_2) | instskip(NEXT) | instid1(VALU_DEP_1)
	v_add_f32_e32 v0, v0, v4
	v_exp_f32_e32 v0, v0
	s_waitcnt_depctr 0xfff
	v_ldexp_f32 v0, v0, v3
	s_delay_alu instid0(VALU_DEP_1) | instskip(SKIP_1) | instid1(VALU_DEP_2)
	v_cndmask_b32_e32 v0, 0, v0, vcc_lo
	v_cmp_nlt_f32_e64 vcc_lo, 0x42b17218, |v2|
                                        ; implicit-def: $vgpr2
	v_cndmask_b32_e32 v0, 0x7f800000, v0, vcc_lo
	s_delay_alu instid0(VALU_DEP_1)
	v_mul_f32_e32 v0, v0, v1
                                        ; implicit-def: $vgpr1
.LBB18_14:
	s_and_not1_saveexec_b32 s9, s9
	s_cbranch_execz .LBB18_16
; %bb.15:
	v_mul_f32_e64 v0, 0x3fb8aa3b, |v2|
	v_cmp_ngt_f32_e64 vcc_lo, 0xc2ce8ed0, |v2|
	v_mul_f32_e32 v1, -0.5, v1
	s_delay_alu instid0(VALU_DEP_3) | instskip(SKIP_1) | instid1(VALU_DEP_3)
	v_rndne_f32_e32 v3, v0
	v_fma_f32 v4, 0x3fb8aa3b, |v2|, -v0
	v_mul_f32_e64 v1, |v2|, v1
	s_delay_alu instid0(VALU_DEP_3) | instskip(NEXT) | instid1(VALU_DEP_3)
	v_sub_f32_e32 v0, v0, v3
	v_fma_f32 v4, 0x32a5705f, |v2|, v4
	v_cvt_i32_f32_e32 v3, v3
	s_delay_alu instid0(VALU_DEP_2) | instskip(NEXT) | instid1(VALU_DEP_1)
	v_add_f32_e32 v0, v0, v4
	v_exp_f32_e32 v0, v0
	s_waitcnt_depctr 0xfff
	v_ldexp_f32 v0, v0, v3
	s_delay_alu instid0(VALU_DEP_1) | instskip(SKIP_1) | instid1(VALU_DEP_2)
	v_cndmask_b32_e32 v0, 0, v0, vcc_lo
	v_cmp_nlt_f32_e64 vcc_lo, 0x42b17218, |v2|
	v_cndmask_b32_e32 v0, 0x7f800000, v0, vcc_lo
	s_delay_alu instid0(VALU_DEP_1)
	v_mul_f32_e32 v0, v0, v1
.LBB18_16:
	s_or_b32 exec_lo, exec_lo, s9
                                        ; implicit-def: $vgpr2
.LBB18_17:
	s_and_not1_saveexec_b32 s9, s0
	s_cbranch_execz .LBB18_23
; %bb.18:
	v_and_b32_e32 v0, 0x7fffffff, v2
	s_mov_b32 s0, 0x230aab6e
	s_delay_alu instid0(VALU_DEP_1) | instskip(NEXT) | instid1(VALU_DEP_1)
	v_div_scale_f32 v1, null, v0, v0, 0x42000000
	v_rcp_f32_e32 v3, v1
	s_waitcnt_depctr 0xfff
	v_fma_f32 v4, -v1, v3, 1.0
	s_delay_alu instid0(VALU_DEP_1) | instskip(SKIP_1) | instid1(VALU_DEP_1)
	v_fmac_f32_e32 v3, v4, v3
	v_div_scale_f32 v0, vcc_lo, 0x42000000, v0, 0x42000000
	v_mul_f32_e32 v4, v0, v3
	s_delay_alu instid0(VALU_DEP_1) | instskip(NEXT) | instid1(VALU_DEP_1)
	v_fma_f32 v5, -v1, v4, v0
	v_fmac_f32_e32 v4, v5, v3
	s_delay_alu instid0(VALU_DEP_1) | instskip(NEXT) | instid1(VALU_DEP_1)
	v_fma_f32 v0, -v1, v4, v0
	v_div_fmas_f32 v0, v0, v3, v4
	v_mul_f32_e64 v4, 0x3fb8aa3b, |v2|
	v_cmp_ngt_f32_e64 vcc_lo, 0xc2ce8ed0, |v2|
	s_delay_alu instid0(VALU_DEP_3) | instskip(NEXT) | instid1(VALU_DEP_3)
	v_div_fixup_f32 v0, v0, |v2|, 0x42000000
	v_rndne_f32_e32 v5, v4
	v_fma_f32 v6, 0x3fb8aa3b, |v2|, -v4
	s_delay_alu instid0(VALU_DEP_3) | instskip(NEXT) | instid1(VALU_DEP_3)
	v_add_f32_e32 v0, -2.0, v0
	v_sub_f32_e32 v4, v4, v5
	s_delay_alu instid0(VALU_DEP_3) | instskip(SKIP_1) | instid1(VALU_DEP_4)
	v_fma_f32 v6, 0x32a5705f, |v2|, v6
	v_cvt_i32_f32_e32 v5, v5
	v_fmaak_f32 v1, s0, v0, 0x22a2dc57
	v_cmp_nlt_f32_e64 s0, 0x42b17218, |v2|
	s_delay_alu instid0(VALU_DEP_4) | instskip(NEXT) | instid1(VALU_DEP_3)
	v_add_f32_e32 v4, v4, v6
	v_fmaak_f32 v3, v0, v1, 0xa30aab6e
	s_delay_alu instid0(VALU_DEP_2) | instskip(NEXT) | instid1(VALU_DEP_1)
	v_exp_f32_e32 v4, v4
	v_add_f32_e32 v3, 0xa456751e, v3
	s_delay_alu instid0(VALU_DEP_1) | instskip(NEXT) | instid1(VALU_DEP_1)
	v_fma_f32 v1, v0, v3, -v1
	v_add_f32_e32 v1, 0xa4140365, v1
	s_delay_alu instid0(VALU_DEP_1) | instskip(NEXT) | instid1(VALU_DEP_1)
	v_fma_f32 v3, v0, v1, -v3
	;; [unrolled: 3-line block ×21, first 2 shown]
	v_add_f32_e32 v1, 0xbc1fed03, v1
	s_delay_alu instid0(VALU_DEP_1) | instskip(SKIP_1) | instid1(VALU_DEP_1)
	v_fma_f32 v0, v0, v1, -v3
	v_ldexp_f32 v1, v4, v5
	v_dual_add_f32 v0, 0x3f4750c6, v0 :: v_dual_cndmask_b32 v1, 0, v1
	s_delay_alu instid0(VALU_DEP_1) | instskip(NEXT) | instid1(VALU_DEP_2)
	v_sub_f32_e32 v0, v0, v3
	v_cndmask_b32_e64 v1, 0x7f800000, v1, s0
	s_mov_b32 s0, exec_lo
	s_delay_alu instid0(VALU_DEP_2)
	v_mul_f32_e32 v3, 0.5, v0
                                        ; implicit-def: $vgpr0
	v_cmpx_ngt_f32_e32 0, v2
	s_xor_b32 s14, exec_lo, s0
	s_cbranch_execz .LBB18_20
; %bb.19:
	v_mul_f32_e64 v0, 0x4f800000, |v2|
	v_cmp_gt_f32_e64 vcc_lo, 0xf800000, |v2|
	v_mul_f32_e32 v1, v1, v3
	s_delay_alu instid0(VALU_DEP_2) | instskip(NEXT) | instid1(VALU_DEP_1)
	v_cndmask_b32_e64 v0, |v2|, v0, vcc_lo
	v_sqrt_f32_e32 v2, v0
	s_waitcnt_depctr 0xfff
	v_add_nc_u32_e32 v4, -1, v2
	v_add_nc_u32_e32 v5, 1, v2
	s_delay_alu instid0(VALU_DEP_2) | instskip(NEXT) | instid1(VALU_DEP_2)
	v_fma_f32 v6, -v4, v2, v0
	v_fma_f32 v10, -v5, v2, v0
	s_delay_alu instid0(VALU_DEP_2) | instskip(NEXT) | instid1(VALU_DEP_1)
	v_cmp_ge_f32_e64 s0, 0, v6
	v_cndmask_b32_e64 v2, v2, v4, s0
	s_delay_alu instid0(VALU_DEP_3) | instskip(NEXT) | instid1(VALU_DEP_1)
	v_cmp_lt_f32_e64 s0, 0, v10
	v_cndmask_b32_e64 v2, v2, v5, s0
	s_delay_alu instid0(VALU_DEP_1) | instskip(NEXT) | instid1(VALU_DEP_1)
	v_mul_f32_e32 v4, 0x37800000, v2
	v_cndmask_b32_e32 v2, v2, v4, vcc_lo
	v_cmp_class_f32_e64 vcc_lo, v0, 0x260
	s_delay_alu instid0(VALU_DEP_2) | instskip(NEXT) | instid1(VALU_DEP_1)
	v_cndmask_b32_e32 v0, v2, v0, vcc_lo
	v_div_scale_f32 v2, null, v0, v0, v1
	s_delay_alu instid0(VALU_DEP_1) | instskip(SKIP_2) | instid1(VALU_DEP_1)
	v_rcp_f32_e32 v3, v2
	s_waitcnt_depctr 0xfff
	v_fma_f32 v4, -v2, v3, 1.0
	v_fmac_f32_e32 v3, v4, v3
	v_div_scale_f32 v4, vcc_lo, v1, v0, v1
	s_delay_alu instid0(VALU_DEP_1) | instskip(NEXT) | instid1(VALU_DEP_1)
	v_mul_f32_e32 v5, v4, v3
	v_fma_f32 v6, -v2, v5, v4
	s_delay_alu instid0(VALU_DEP_1) | instskip(NEXT) | instid1(VALU_DEP_1)
	v_fmac_f32_e32 v5, v6, v3
	v_fma_f32 v2, -v2, v5, v4
	s_delay_alu instid0(VALU_DEP_1) | instskip(NEXT) | instid1(VALU_DEP_1)
	v_div_fmas_f32 v2, v2, v3, v5
                                        ; implicit-def: $vgpr3
	v_div_fixup_f32 v0, v2, v0, v1
                                        ; implicit-def: $vgpr2
                                        ; implicit-def: $vgpr1
.LBB18_20:
	s_and_not1_saveexec_b32 s14, s14
	s_cbranch_execz .LBB18_22
; %bb.21:
	v_mul_f32_e64 v0, 0x4f800000, |v2|
	v_cmp_gt_f32_e64 vcc_lo, 0xf800000, |v2|
	v_mul_f32_e64 v1, v3, -v1
	s_delay_alu instid0(VALU_DEP_2) | instskip(NEXT) | instid1(VALU_DEP_1)
	v_cndmask_b32_e64 v0, |v2|, v0, vcc_lo
	v_sqrt_f32_e32 v2, v0
	s_waitcnt_depctr 0xfff
	v_add_nc_u32_e32 v4, -1, v2
	v_add_nc_u32_e32 v5, 1, v2
	s_delay_alu instid0(VALU_DEP_2) | instskip(NEXT) | instid1(VALU_DEP_2)
	v_fma_f32 v6, -v4, v2, v0
	v_fma_f32 v10, -v5, v2, v0
	s_delay_alu instid0(VALU_DEP_2) | instskip(NEXT) | instid1(VALU_DEP_1)
	v_cmp_ge_f32_e64 s0, 0, v6
	v_cndmask_b32_e64 v2, v2, v4, s0
	s_delay_alu instid0(VALU_DEP_3) | instskip(NEXT) | instid1(VALU_DEP_1)
	v_cmp_lt_f32_e64 s0, 0, v10
	v_cndmask_b32_e64 v2, v2, v5, s0
	s_delay_alu instid0(VALU_DEP_1) | instskip(NEXT) | instid1(VALU_DEP_1)
	v_mul_f32_e32 v4, 0x37800000, v2
	v_cndmask_b32_e32 v2, v2, v4, vcc_lo
	v_cmp_class_f32_e64 vcc_lo, v0, 0x260
	s_delay_alu instid0(VALU_DEP_2) | instskip(NEXT) | instid1(VALU_DEP_1)
	v_cndmask_b32_e32 v0, v2, v0, vcc_lo
	v_div_scale_f32 v2, null, v0, v0, v1
	s_delay_alu instid0(VALU_DEP_1) | instskip(SKIP_2) | instid1(VALU_DEP_1)
	v_rcp_f32_e32 v3, v2
	s_waitcnt_depctr 0xfff
	v_fma_f32 v4, -v2, v3, 1.0
	v_fmac_f32_e32 v3, v4, v3
	v_div_scale_f32 v4, vcc_lo, v1, v0, v1
	s_delay_alu instid0(VALU_DEP_1) | instskip(NEXT) | instid1(VALU_DEP_1)
	v_mul_f32_e32 v5, v4, v3
	v_fma_f32 v6, -v2, v5, v4
	s_delay_alu instid0(VALU_DEP_1) | instskip(NEXT) | instid1(VALU_DEP_1)
	v_fmac_f32_e32 v5, v6, v3
	v_fma_f32 v2, -v2, v5, v4
	s_delay_alu instid0(VALU_DEP_1) | instskip(NEXT) | instid1(VALU_DEP_1)
	v_div_fmas_f32 v2, v2, v3, v5
	v_div_fixup_f32 v0, v2, v0, v1
.LBB18_22:
	s_or_b32 exec_lo, exec_lo, s14
.LBB18_23:
	s_delay_alu instid0(SALU_CYCLE_1) | instskip(SKIP_2) | instid1(VALU_DEP_1)
	s_or_b32 exec_lo, exec_lo, s9
	v_mul_lo_u32 v1, v8, s2
	v_and_b32_e32 v4, 0xff, v7
	v_cmp_gt_i16_e32 vcc_lo, 11, v4
	s_delay_alu instid0(VALU_DEP_3) | instskip(SKIP_1) | instid1(VALU_DEP_1)
	v_ashrrev_i32_e32 v3, 31, v1
	v_add_co_u32 v2, s0, s4, v1
	v_add_co_ci_u32_e64 v3, s0, s5, v3, s0
	s_cbranch_vccnz .LBB18_31
; %bb.24:
	v_cmp_lt_i16_e32 vcc_lo, 25, v4
	s_cbranch_vccz .LBB18_34
; %bb.25:
	v_cmp_lt_i16_e32 vcc_lo, 28, v4
	s_cbranch_vccz .LBB18_36
	;; [unrolled: 3-line block ×4, first 2 shown]
; %bb.28:
	v_cmp_eq_u16_e32 vcc_lo, 46, v4
	s_mov_b32 s14, 0
	s_mov_b32 s0, -1
	s_mov_b32 s9, 0
	s_cbranch_vccz .LBB18_45
; %bb.29:
	v_bfe_u32 v1, v0, 16, 1
	v_cmp_o_f32_e32 vcc_lo, v0, v0
	s_mov_b32 s9, -1
	s_mov_b32 s0, 0
	s_delay_alu instid0(VALU_DEP_2) | instskip(NEXT) | instid1(VALU_DEP_1)
	v_add3_u32 v1, v0, v1, 0x7fff
	v_lshrrev_b32_e32 v1, 16, v1
	s_delay_alu instid0(VALU_DEP_1)
	v_cndmask_b32_e32 v1, 0x7fc0, v1, vcc_lo
	global_store_b32 v[2:3], v1, off
	s_branch .LBB18_45
.LBB18_30:
	s_mov_b32 s0, 0
                                        ; implicit-def: $vgpr2
	s_cbranch_execnz .LBB18_179
	s_branch .LBB18_213
.LBB18_31:
	s_mov_b32 s0, 0
	s_mov_b32 s9, 0
	s_cbranch_execnz .LBB18_114
.LBB18_32:
	s_and_not1_b32 vcc_lo, exec_lo, s9
	s_cbranch_vccnz .LBB18_262
	s_branch .LBB18_152
.LBB18_33:
	s_mov_b32 s9, -1
	s_mov_b32 s0, 0
                                        ; implicit-def: $vgpr2
	s_branch .LBB18_160
.LBB18_34:
	s_mov_b32 s14, -1
	s_mov_b32 s0, 0
	s_mov_b32 s9, 0
	s_branch .LBB18_72
.LBB18_35:
	s_mov_b32 s9, -1
	s_mov_b32 s0, 0
                                        ; implicit-def: $vgpr2
	s_branch .LBB18_155
.LBB18_36:
	s_mov_b32 s14, -1
	s_mov_b32 s0, 0
	s_mov_b32 s9, 0
	s_branch .LBB18_55
.LBB18_37:
	s_mov_b32 s9, -1
	s_branch .LBB18_40
.LBB18_38:
	s_mov_b32 s14, -1
	s_mov_b32 s0, 0
	s_mov_b32 s9, 0
	s_branch .LBB18_51
.LBB18_39:
	s_mov_b32 s11, -1
.LBB18_40:
	s_mov_b32 s0, 0
                                        ; implicit-def: $vgpr2
.LBB18_41:
	s_and_b32 vcc_lo, exec_lo, s9
	s_cbranch_vccz .LBB18_154
; %bb.42:
	v_cmp_eq_u16_e32 vcc_lo, 44, v9
	s_cbranch_vccz .LBB18_153
; %bb.43:
	global_load_u8 v2, v[0:1], off
	s_mov_b32 s11, 0
	s_mov_b32 s0, -1
	s_waitcnt vmcnt(0)
	v_lshlrev_b32_e32 v3, 23, v2
	v_cmp_ne_u32_e32 vcc_lo, 0xff, v2
	s_delay_alu instid0(VALU_DEP_2) | instskip(SKIP_1) | instid1(VALU_DEP_2)
	v_cndmask_b32_e32 v3, 0x7f800001, v3, vcc_lo
	v_cmp_ne_u32_e32 vcc_lo, 0, v2
	v_cndmask_b32_e32 v2, 0x400000, v3, vcc_lo
	s_branch .LBB18_154
.LBB18_44:
	s_mov_b32 s14, -1
	s_mov_b32 s0, 0
	s_mov_b32 s9, 0
.LBB18_45:
	s_and_b32 vcc_lo, exec_lo, s14
	s_cbranch_vccz .LBB18_50
; %bb.46:
	v_cmp_eq_u16_e32 vcc_lo, 44, v4
	s_mov_b32 s0, -1
	s_cbranch_vccz .LBB18_50
; %bb.47:
	v_bfe_u32 v5, v0, 23, 8
	v_mov_b32_e32 v1, 0xff
	s_mov_b32 s9, exec_lo
	s_delay_alu instid0(VALU_DEP_2)
	v_cmpx_ne_u32_e32 0xff, v5
; %bb.48:
	v_and_b32_e32 v1, 0x400000, v0
	v_and_or_b32 v5, 0x3fffff, v0, v5
	s_delay_alu instid0(VALU_DEP_2) | instskip(NEXT) | instid1(VALU_DEP_2)
	v_cmp_ne_u32_e32 vcc_lo, 0, v1
	v_cmp_ne_u32_e64 s0, 0, v5
	v_lshrrev_b32_e32 v1, 23, v0
	s_delay_alu instid0(VALU_DEP_2) | instskip(NEXT) | instid1(SALU_CYCLE_1)
	s_and_b32 s0, vcc_lo, s0
	v_cndmask_b32_e64 v5, 0, 1, s0
	s_delay_alu instid0(VALU_DEP_1)
	v_add_nc_u32_e32 v1, v1, v5
; %bb.49:
	s_or_b32 exec_lo, exec_lo, s9
	s_mov_b32 s9, -1
	s_mov_b32 s0, 0
	global_store_b8 v[2:3], v1, off
.LBB18_50:
	s_mov_b32 s14, 0
.LBB18_51:
	s_delay_alu instid0(SALU_CYCLE_1)
	s_and_b32 vcc_lo, exec_lo, s14
	s_cbranch_vccz .LBB18_54
; %bb.52:
	v_cmp_eq_u16_e32 vcc_lo, 29, v4
	s_mov_b32 s0, -1
	s_cbranch_vccz .LBB18_54
; %bb.53:
	v_trunc_f32_e32 v1, v0
	s_mov_b32 s9, -1
	s_mov_b32 s0, 0
	s_mov_b32 s14, 0
	s_delay_alu instid0(VALU_DEP_1) | instskip(NEXT) | instid1(VALU_DEP_1)
	v_mul_f32_e32 v5, 0x2f800000, v1
	v_floor_f32_e32 v5, v5
	s_delay_alu instid0(VALU_DEP_1) | instskip(SKIP_1) | instid1(VALU_DEP_2)
	v_fmamk_f32 v1, v5, 0xcf800000, v1
	v_cvt_u32_f32_e32 v6, v5
	v_cvt_u32_f32_e32 v5, v1
	global_store_b64 v[2:3], v[5:6], off
	s_branch .LBB18_55
.LBB18_54:
	s_mov_b32 s14, 0
.LBB18_55:
	s_delay_alu instid0(SALU_CYCLE_1)
	s_and_b32 vcc_lo, exec_lo, s14
	s_cbranch_vccz .LBB18_71
; %bb.56:
	v_cmp_gt_i16_e32 vcc_lo, 27, v4
	s_mov_b32 s9, -1
	s_cbranch_vccnz .LBB18_62
; %bb.57:
	v_cmp_lt_i16_e32 vcc_lo, 27, v4
	s_cbranch_vccz .LBB18_59
; %bb.58:
	v_cvt_u32_f32_e32 v1, v0
	s_mov_b32 s9, 0
	global_store_b32 v[2:3], v1, off
.LBB18_59:
	s_and_not1_b32 vcc_lo, exec_lo, s9
	s_cbranch_vccnz .LBB18_61
; %bb.60:
	v_cvt_u32_f32_e32 v1, v0
	global_store_b16 v[2:3], v1, off
.LBB18_61:
	s_mov_b32 s9, 0
.LBB18_62:
	s_delay_alu instid0(SALU_CYCLE_1)
	s_and_not1_b32 vcc_lo, exec_lo, s9
	s_cbranch_vccnz .LBB18_70
; %bb.63:
	v_and_b32_e32 v1, 0x7fffffff, v0
	v_mov_b32_e32 v5, 0x80
	s_mov_b32 s9, exec_lo
	s_delay_alu instid0(VALU_DEP_2)
	v_cmpx_gt_u32_e32 0x43800000, v1
	s_cbranch_execz .LBB18_69
; %bb.64:
	v_cmp_lt_u32_e32 vcc_lo, 0x3bffffff, v1
	s_mov_b32 s14, 0
                                        ; implicit-def: $vgpr1
	s_and_saveexec_b32 s15, vcc_lo
	s_delay_alu instid0(SALU_CYCLE_1)
	s_xor_b32 s15, exec_lo, s15
	s_cbranch_execz .LBB18_300
; %bb.65:
	v_bfe_u32 v1, v0, 20, 1
	s_mov_b32 s14, exec_lo
	s_delay_alu instid0(VALU_DEP_1) | instskip(NEXT) | instid1(VALU_DEP_1)
	v_add3_u32 v1, v0, v1, 0x487ffff
	v_lshrrev_b32_e32 v1, 20, v1
	s_or_saveexec_b32 s15, s15
                                        ; implicit-def: $sgpr16
	s_delay_alu instid0(SALU_CYCLE_1)
	s_xor_b32 exec_lo, exec_lo, s15
	s_cbranch_execnz .LBB18_301
.LBB18_66:
	s_or_b32 exec_lo, exec_lo, s15
	v_mov_b32_e32 v5, s16
	s_and_saveexec_b32 s15, s14
.LBB18_67:
	v_lshrrev_b32_e32 v5, 24, v0
	s_delay_alu instid0(VALU_DEP_1)
	v_and_or_b32 v5, 0x80, v5, v1
.LBB18_68:
	s_or_b32 exec_lo, exec_lo, s15
.LBB18_69:
	s_delay_alu instid0(SALU_CYCLE_1)
	s_or_b32 exec_lo, exec_lo, s9
	global_store_b8 v[2:3], v5, off
.LBB18_70:
	s_mov_b32 s9, -1
.LBB18_71:
	s_mov_b32 s14, 0
.LBB18_72:
	s_delay_alu instid0(SALU_CYCLE_1)
	s_and_b32 vcc_lo, exec_lo, s14
	s_cbranch_vccz .LBB18_113
; %bb.73:
	v_cmp_lt_i16_e32 vcc_lo, 22, v4
	s_mov_b32 s14, -1
	s_cbranch_vccz .LBB18_105
; %bb.74:
	v_cmp_gt_i16_e32 vcc_lo, 24, v4
	s_mov_b32 s9, -1
	s_cbranch_vccnz .LBB18_94
; %bb.75:
	v_cmp_lt_i16_e32 vcc_lo, 24, v4
	s_cbranch_vccz .LBB18_83
; %bb.76:
	v_and_b32_e32 v1, 0x7fffffff, v0
	v_mov_b32_e32 v5, 0x80
	s_mov_b32 s9, exec_lo
	s_delay_alu instid0(VALU_DEP_2)
	v_cmpx_gt_u32_e32 0x47800000, v1
	s_cbranch_execz .LBB18_82
; %bb.77:
	v_cmp_lt_u32_e32 vcc_lo, 0x37ffffff, v1
	s_mov_b32 s14, 0
                                        ; implicit-def: $vgpr1
	s_and_saveexec_b32 s15, vcc_lo
	s_delay_alu instid0(SALU_CYCLE_1)
	s_xor_b32 s15, exec_lo, s15
	s_cbranch_execz .LBB18_304
; %bb.78:
	v_bfe_u32 v1, v0, 21, 1
	s_mov_b32 s14, exec_lo
	s_delay_alu instid0(VALU_DEP_1) | instskip(NEXT) | instid1(VALU_DEP_1)
	v_add3_u32 v1, v0, v1, 0x88fffff
	v_lshrrev_b32_e32 v1, 21, v1
	s_or_saveexec_b32 s15, s15
                                        ; implicit-def: $sgpr16
	s_delay_alu instid0(SALU_CYCLE_1)
	s_xor_b32 exec_lo, exec_lo, s15
	s_cbranch_execnz .LBB18_305
.LBB18_79:
	s_or_b32 exec_lo, exec_lo, s15
	v_mov_b32_e32 v5, s16
	s_and_saveexec_b32 s15, s14
.LBB18_80:
	v_lshrrev_b32_e32 v5, 24, v0
	s_delay_alu instid0(VALU_DEP_1)
	v_and_or_b32 v5, 0x80, v5, v1
.LBB18_81:
	s_or_b32 exec_lo, exec_lo, s15
.LBB18_82:
	s_delay_alu instid0(SALU_CYCLE_1)
	s_or_b32 exec_lo, exec_lo, s9
	s_mov_b32 s9, 0
	global_store_b8 v[2:3], v5, off
.LBB18_83:
	s_and_b32 vcc_lo, exec_lo, s9
	s_cbranch_vccz .LBB18_93
; %bb.84:
	v_and_b32_e32 v5, 0x7fffffff, v0
	s_mov_b32 s9, exec_lo
                                        ; implicit-def: $vgpr1
	s_delay_alu instid0(VALU_DEP_1)
	v_cmpx_gt_u32_e32 0x43f00000, v5
	s_xor_b32 s9, exec_lo, s9
	s_cbranch_execz .LBB18_90
; %bb.85:
	s_mov_b32 s14, exec_lo
                                        ; implicit-def: $vgpr1
	v_cmpx_lt_u32_e32 0x3c7fffff, v5
	s_xor_b32 s14, exec_lo, s14
; %bb.86:
	v_bfe_u32 v1, v0, 20, 1
	s_delay_alu instid0(VALU_DEP_1) | instskip(NEXT) | instid1(VALU_DEP_1)
	v_add3_u32 v1, v0, v1, 0x407ffff
	v_and_b32_e32 v5, 0xff00000, v1
	v_lshrrev_b32_e32 v1, 20, v1
	s_delay_alu instid0(VALU_DEP_2) | instskip(NEXT) | instid1(VALU_DEP_2)
	v_cmp_ne_u32_e32 vcc_lo, 0x7f00000, v5
	v_cndmask_b32_e32 v1, 0x7e, v1, vcc_lo
; %bb.87:
	s_and_not1_saveexec_b32 s14, s14
; %bb.88:
	v_add_f32_e64 v1, 0x46800000, |v0|
; %bb.89:
	s_or_b32 exec_lo, exec_lo, s14
                                        ; implicit-def: $vgpr5
.LBB18_90:
	s_and_not1_saveexec_b32 s9, s9
; %bb.91:
	v_mov_b32_e32 v1, 0x7f
	v_cmp_lt_u32_e32 vcc_lo, 0x7f800000, v5
	s_delay_alu instid0(VALU_DEP_2)
	v_cndmask_b32_e32 v1, 0x7e, v1, vcc_lo
; %bb.92:
	s_or_b32 exec_lo, exec_lo, s9
	v_lshrrev_b32_e32 v5, 24, v0
	s_delay_alu instid0(VALU_DEP_1)
	v_and_or_b32 v1, 0x80, v5, v1
	global_store_b8 v[2:3], v1, off
.LBB18_93:
	s_mov_b32 s9, 0
.LBB18_94:
	s_delay_alu instid0(SALU_CYCLE_1)
	s_and_not1_b32 vcc_lo, exec_lo, s9
	s_cbranch_vccnz .LBB18_104
; %bb.95:
	v_and_b32_e32 v5, 0x7fffffff, v0
	s_mov_b32 s9, exec_lo
                                        ; implicit-def: $vgpr1
	s_delay_alu instid0(VALU_DEP_1)
	v_cmpx_gt_u32_e32 0x47800000, v5
	s_xor_b32 s9, exec_lo, s9
	s_cbranch_execz .LBB18_101
; %bb.96:
	s_mov_b32 s14, exec_lo
                                        ; implicit-def: $vgpr1
	v_cmpx_lt_u32_e32 0x387fffff, v5
	s_xor_b32 s14, exec_lo, s14
; %bb.97:
	v_bfe_u32 v1, v0, 21, 1
	s_delay_alu instid0(VALU_DEP_1) | instskip(NEXT) | instid1(VALU_DEP_1)
	v_add3_u32 v1, v0, v1, 0x80fffff
	v_lshrrev_b32_e32 v1, 21, v1
; %bb.98:
	s_and_not1_saveexec_b32 s14, s14
; %bb.99:
	v_add_f32_e64 v1, 0x43000000, |v0|
; %bb.100:
	s_or_b32 exec_lo, exec_lo, s14
                                        ; implicit-def: $vgpr5
.LBB18_101:
	s_and_not1_saveexec_b32 s9, s9
; %bb.102:
	v_mov_b32_e32 v1, 0x7f
	v_cmp_lt_u32_e32 vcc_lo, 0x7f800000, v5
	s_delay_alu instid0(VALU_DEP_2)
	v_cndmask_b32_e32 v1, 0x7c, v1, vcc_lo
; %bb.103:
	s_or_b32 exec_lo, exec_lo, s9
	v_lshrrev_b32_e32 v5, 24, v0
	s_delay_alu instid0(VALU_DEP_1)
	v_and_or_b32 v1, 0x80, v5, v1
	global_store_b8 v[2:3], v1, off
.LBB18_104:
	s_mov_b32 s14, 0
	s_mov_b32 s9, -1
.LBB18_105:
	s_and_not1_b32 vcc_lo, exec_lo, s14
	s_cbranch_vccnz .LBB18_113
; %bb.106:
	v_cmp_lt_i16_e32 vcc_lo, 14, v4
	s_mov_b32 s14, -1
	s_cbranch_vccz .LBB18_110
; %bb.107:
	v_cmp_eq_u16_e32 vcc_lo, 15, v4
	s_mov_b32 s0, -1
	s_cbranch_vccz .LBB18_109
; %bb.108:
	v_bfe_u32 v1, v0, 16, 1
	v_cmp_o_f32_e32 vcc_lo, v0, v0
	s_mov_b32 s9, -1
	s_mov_b32 s0, 0
	s_delay_alu instid0(VALU_DEP_2) | instskip(NEXT) | instid1(VALU_DEP_1)
	v_add3_u32 v1, v0, v1, 0x7fff
	v_lshrrev_b32_e32 v1, 16, v1
	s_delay_alu instid0(VALU_DEP_1)
	v_cndmask_b32_e32 v1, 0x7fc0, v1, vcc_lo
	global_store_b16 v[2:3], v1, off
.LBB18_109:
	s_mov_b32 s14, 0
.LBB18_110:
	s_delay_alu instid0(SALU_CYCLE_1)
	s_and_b32 vcc_lo, exec_lo, s14
	s_cbranch_vccz .LBB18_113
; %bb.111:
	v_cmp_eq_u16_e32 vcc_lo, 11, v4
	s_mov_b32 s0, -1
	s_cbranch_vccz .LBB18_113
; %bb.112:
	v_cmp_neq_f32_e32 vcc_lo, 0, v0
	s_mov_b32 s0, 0
	s_mov_b32 s9, -1
	v_cndmask_b32_e64 v1, 0, 1, vcc_lo
	global_store_b8 v[2:3], v1, off
.LBB18_113:
	s_branch .LBB18_32
.LBB18_114:
	v_cmp_gt_i16_e32 vcc_lo, 5, v4
	s_mov_b32 s9, -1
	s_cbranch_vccnz .LBB18_135
; %bb.115:
	v_cmp_gt_i16_e32 vcc_lo, 8, v4
	s_cbranch_vccnz .LBB18_125
; %bb.116:
	v_cmp_gt_i16_e32 vcc_lo, 9, v4
	s_cbranch_vccnz .LBB18_122
; %bb.117:
	v_cmp_lt_i16_e32 vcc_lo, 9, v4
	s_cbranch_vccz .LBB18_119
; %bb.118:
	v_cvt_f64_f32_e32 v[10:11], v0
	v_mov_b32_e32 v12, 0
	s_mov_b32 s9, 0
	s_delay_alu instid0(VALU_DEP_1)
	v_mov_b32_e32 v13, v12
	global_store_b128 v[2:3], v[10:13], off
.LBB18_119:
	s_and_not1_b32 vcc_lo, exec_lo, s9
	s_cbranch_vccnz .LBB18_121
; %bb.120:
	v_mov_b32_e32 v1, 0
	global_store_b64 v[2:3], v[0:1], off
.LBB18_121:
	s_mov_b32 s9, 0
.LBB18_122:
	s_delay_alu instid0(SALU_CYCLE_1)
	s_and_not1_b32 vcc_lo, exec_lo, s9
	s_cbranch_vccnz .LBB18_124
; %bb.123:
	v_cvt_f16_f32_e32 v1, v0
	s_delay_alu instid0(VALU_DEP_1)
	v_and_b32_e32 v1, 0xffff, v1
	global_store_b32 v[2:3], v1, off
.LBB18_124:
	s_mov_b32 s9, 0
.LBB18_125:
	s_delay_alu instid0(SALU_CYCLE_1)
	s_and_not1_b32 vcc_lo, exec_lo, s9
	s_cbranch_vccnz .LBB18_134
; %bb.126:
	v_cmp_gt_i16_e32 vcc_lo, 6, v4
	s_mov_b32 s9, -1
	s_cbranch_vccnz .LBB18_132
; %bb.127:
	v_cmp_lt_i16_e32 vcc_lo, 6, v4
	s_cbranch_vccz .LBB18_129
; %bb.128:
	v_cvt_f64_f32_e32 v[5:6], v0
	s_mov_b32 s9, 0
	global_store_b64 v[2:3], v[5:6], off
.LBB18_129:
	s_and_not1_b32 vcc_lo, exec_lo, s9
	s_cbranch_vccnz .LBB18_131
; %bb.130:
	global_store_b32 v[2:3], v0, off
.LBB18_131:
	s_mov_b32 s9, 0
.LBB18_132:
	s_delay_alu instid0(SALU_CYCLE_1)
	s_and_not1_b32 vcc_lo, exec_lo, s9
	s_cbranch_vccnz .LBB18_134
; %bb.133:
	v_cvt_f16_f32_e32 v1, v0
	global_store_b16 v[2:3], v1, off
.LBB18_134:
	s_mov_b32 s9, 0
.LBB18_135:
	s_delay_alu instid0(SALU_CYCLE_1)
	s_and_not1_b32 vcc_lo, exec_lo, s9
	s_cbranch_vccnz .LBB18_151
; %bb.136:
	v_cmp_gt_i16_e32 vcc_lo, 2, v4
	s_mov_b32 s9, -1
	s_cbranch_vccnz .LBB18_146
; %bb.137:
	v_cmp_gt_i16_e32 vcc_lo, 3, v4
	s_cbranch_vccnz .LBB18_143
; %bb.138:
	v_cmp_lt_i16_e32 vcc_lo, 3, v4
	s_cbranch_vccz .LBB18_140
; %bb.139:
	v_trunc_f32_e32 v1, v0
	s_mov_b32 s9, 0
	s_delay_alu instid0(VALU_DEP_1) | instskip(NEXT) | instid1(VALU_DEP_1)
	v_mul_f32_e64 v5, 0x2f800000, |v1|
	v_floor_f32_e32 v5, v5
	s_delay_alu instid0(VALU_DEP_1) | instskip(SKIP_2) | instid1(VALU_DEP_3)
	v_fma_f32 v6, 0xcf800000, v5, |v1|
	v_ashrrev_i32_e32 v1, 31, v1
	v_cvt_u32_f32_e32 v5, v5
	v_cvt_u32_f32_e32 v6, v6
	s_delay_alu instid0(VALU_DEP_2) | instskip(NEXT) | instid1(VALU_DEP_2)
	v_xor_b32_e32 v10, v5, v1
	v_xor_b32_e32 v6, v6, v1
	s_delay_alu instid0(VALU_DEP_1) | instskip(NEXT) | instid1(VALU_DEP_3)
	v_sub_co_u32 v5, vcc_lo, v6, v1
	v_sub_co_ci_u32_e32 v6, vcc_lo, v10, v1, vcc_lo
	global_store_b64 v[2:3], v[5:6], off
.LBB18_140:
	s_and_not1_b32 vcc_lo, exec_lo, s9
	s_cbranch_vccnz .LBB18_142
; %bb.141:
	v_cvt_i32_f32_e32 v1, v0
	global_store_b32 v[2:3], v1, off
.LBB18_142:
	s_mov_b32 s9, 0
.LBB18_143:
	s_delay_alu instid0(SALU_CYCLE_1)
	s_and_not1_b32 vcc_lo, exec_lo, s9
	s_cbranch_vccnz .LBB18_145
; %bb.144:
	v_cvt_i32_f32_e32 v1, v0
	global_store_b16 v[2:3], v1, off
.LBB18_145:
	s_mov_b32 s9, 0
.LBB18_146:
	s_delay_alu instid0(SALU_CYCLE_1)
	s_and_not1_b32 vcc_lo, exec_lo, s9
	s_cbranch_vccnz .LBB18_151
; %bb.147:
	v_cmp_lt_i16_e32 vcc_lo, 0, v4
	s_mov_b32 s9, -1
	s_cbranch_vccz .LBB18_149
; %bb.148:
	v_cvt_i32_f32_e32 v1, v0
	s_mov_b32 s9, 0
	global_store_b8 v[2:3], v1, off
.LBB18_149:
	s_and_not1_b32 vcc_lo, exec_lo, s9
	s_cbranch_vccnz .LBB18_151
; %bb.150:
	v_trunc_f32_e32 v0, v0
	s_delay_alu instid0(VALU_DEP_1) | instskip(NEXT) | instid1(VALU_DEP_1)
	v_mul_f32_e64 v1, 0x2f800000, |v0|
	v_floor_f32_e32 v1, v1
	s_delay_alu instid0(VALU_DEP_1) | instskip(SKIP_1) | instid1(VALU_DEP_2)
	v_fma_f32 v1, 0xcf800000, v1, |v0|
	v_ashrrev_i32_e32 v0, 31, v0
	v_cvt_u32_f32_e32 v1, v1
	s_delay_alu instid0(VALU_DEP_1) | instskip(NEXT) | instid1(VALU_DEP_1)
	v_xor_b32_e32 v1, v1, v0
	v_sub_nc_u32_e32 v0, v1, v0
	global_store_b8 v[2:3], v0, off
.LBB18_151:
.LBB18_152:
	v_add_nc_u32_e32 v8, 0x80, v8
	s_mov_b32 s14, -1
	s_branch .LBB18_263
.LBB18_153:
	s_mov_b32 s11, -1
                                        ; implicit-def: $vgpr2
.LBB18_154:
	s_mov_b32 s9, 0
.LBB18_155:
	s_delay_alu instid0(SALU_CYCLE_1)
	s_and_b32 vcc_lo, exec_lo, s9
	s_cbranch_vccz .LBB18_159
; %bb.156:
	v_cmp_eq_u16_e32 vcc_lo, 29, v9
	s_cbranch_vccz .LBB18_158
; %bb.157:
	global_load_b64 v[2:3], v[0:1], off
	s_mov_b32 s0, -1
	s_mov_b32 s11, 0
	s_mov_b32 s9, 0
	s_waitcnt vmcnt(0)
	v_clz_i32_u32_e32 v4, v3
	s_delay_alu instid0(VALU_DEP_1) | instskip(NEXT) | instid1(VALU_DEP_1)
	v_min_u32_e32 v4, 32, v4
	v_lshlrev_b64 v[2:3], v4, v[2:3]
	s_delay_alu instid0(VALU_DEP_1) | instskip(NEXT) | instid1(VALU_DEP_1)
	v_min_u32_e32 v2, 1, v2
	v_or_b32_e32 v2, v3, v2
	v_sub_nc_u32_e32 v3, 32, v4
	s_delay_alu instid0(VALU_DEP_2) | instskip(NEXT) | instid1(VALU_DEP_1)
	v_cvt_f32_u32_e32 v2, v2
	v_ldexp_f32 v2, v2, v3
	s_branch .LBB18_160
.LBB18_158:
	s_mov_b32 s11, -1
                                        ; implicit-def: $vgpr2
.LBB18_159:
	s_mov_b32 s9, 0
.LBB18_160:
	s_delay_alu instid0(SALU_CYCLE_1)
	s_and_b32 vcc_lo, exec_lo, s9
	s_cbranch_vccz .LBB18_178
; %bb.161:
	v_cmp_gt_i16_e32 vcc_lo, 27, v9
	s_cbranch_vccnz .LBB18_164
; %bb.162:
	v_cmp_lt_i16_e32 vcc_lo, 27, v9
	s_cbranch_vccz .LBB18_165
; %bb.163:
	global_load_b32 v2, v[0:1], off
	s_mov_b32 s0, 0
	s_waitcnt vmcnt(0)
	v_cvt_f32_u32_e32 v2, v2
	s_branch .LBB18_166
.LBB18_164:
	s_mov_b32 s0, -1
                                        ; implicit-def: $vgpr2
	s_branch .LBB18_169
.LBB18_165:
	s_mov_b32 s0, -1
                                        ; implicit-def: $vgpr2
.LBB18_166:
	s_delay_alu instid0(SALU_CYCLE_1)
	s_and_not1_b32 vcc_lo, exec_lo, s0
	s_cbranch_vccnz .LBB18_168
; %bb.167:
	global_load_u16 v2, v[0:1], off
	s_waitcnt vmcnt(0)
	v_cvt_f32_u32_e32 v2, v2
.LBB18_168:
	s_mov_b32 s0, 0
.LBB18_169:
	s_delay_alu instid0(SALU_CYCLE_1)
	s_and_not1_b32 vcc_lo, exec_lo, s0
	s_cbranch_vccnz .LBB18_177
; %bb.170:
	global_load_u8 v3, v[0:1], off
	s_mov_b32 s0, 0
	s_mov_b32 s14, exec_lo
                                        ; implicit-def: $sgpr9
	s_waitcnt vmcnt(0)
	v_cmpx_lt_i16_e32 0x7f, v3
	s_xor_b32 s14, exec_lo, s14
	s_cbranch_execz .LBB18_190
; %bb.171:
	s_mov_b32 s0, -1
	s_mov_b32 s15, exec_lo
                                        ; implicit-def: $sgpr9
	v_cmpx_eq_u16_e32 0x80, v3
; %bb.172:
	s_mov_b32 s9, 0x7f800001
	s_xor_b32 s0, exec_lo, -1
; %bb.173:
	s_or_b32 exec_lo, exec_lo, s15
	s_delay_alu instid0(SALU_CYCLE_1)
	s_and_b32 s0, s0, exec_lo
	s_or_saveexec_b32 s14, s14
	v_mov_b32_e32 v2, s9
	s_xor_b32 exec_lo, exec_lo, s14
	s_cbranch_execnz .LBB18_191
.LBB18_174:
	s_or_b32 exec_lo, exec_lo, s14
	s_and_saveexec_b32 s9, s0
	s_cbranch_execz .LBB18_176
.LBB18_175:
	v_and_b32_e32 v2, 0xffff, v3
	s_delay_alu instid0(VALU_DEP_1) | instskip(NEXT) | instid1(VALU_DEP_1)
	v_and_b32_e32 v4, 7, v2
	v_clz_i32_u32_e32 v5, v4
	s_delay_alu instid0(VALU_DEP_1) | instskip(NEXT) | instid1(VALU_DEP_1)
	v_min_u32_e32 v5, 32, v5
	v_subrev_nc_u32_e32 v6, 28, v5
	v_sub_nc_u32_e32 v5, 29, v5
	s_delay_alu instid0(VALU_DEP_2) | instskip(SKIP_1) | instid1(VALU_DEP_2)
	v_lshlrev_b32_e32 v6, v6, v2
	v_bfe_u32 v2, v2, 3, 4
	v_and_b32_e32 v6, 7, v6
	s_delay_alu instid0(VALU_DEP_2) | instskip(SKIP_1) | instid1(VALU_DEP_1)
	v_cmp_eq_u32_e32 vcc_lo, 0, v2
	v_dual_cndmask_b32 v2, v2, v5 :: v_dual_lshlrev_b32 v3, 24, v3
	v_dual_cndmask_b32 v4, v4, v6 :: v_dual_and_b32 v3, 0x80000000, v3
	s_delay_alu instid0(VALU_DEP_2) | instskip(NEXT) | instid1(VALU_DEP_2)
	v_lshl_add_u32 v2, v2, 23, 0x3b800000
	v_lshlrev_b32_e32 v4, 20, v4
	s_delay_alu instid0(VALU_DEP_1)
	v_or3_b32 v2, v3, v2, v4
.LBB18_176:
	s_or_b32 exec_lo, exec_lo, s9
.LBB18_177:
	s_mov_b32 s0, -1
.LBB18_178:
	s_branch .LBB18_213
.LBB18_179:
	v_cmp_lt_i16_e32 vcc_lo, 22, v9
	s_cbranch_vccz .LBB18_189
; %bb.180:
	v_cmp_gt_i16_e32 vcc_lo, 24, v9
	s_cbranch_vccnz .LBB18_192
; %bb.181:
	v_cmp_lt_i16_e32 vcc_lo, 24, v9
	s_cbranch_vccz .LBB18_193
; %bb.182:
	global_load_u8 v3, v[0:1], off
	s_mov_b32 s0, 0
	s_mov_b32 s14, exec_lo
                                        ; implicit-def: $sgpr9
	s_waitcnt vmcnt(0)
	v_cmpx_lt_i16_e32 0x7f, v3
	s_xor_b32 s14, exec_lo, s14
	s_cbranch_execz .LBB18_205
; %bb.183:
	s_mov_b32 s0, -1
	s_mov_b32 s15, exec_lo
                                        ; implicit-def: $sgpr9
	v_cmpx_eq_u16_e32 0x80, v3
; %bb.184:
	s_mov_b32 s9, 0x7f800001
	s_xor_b32 s0, exec_lo, -1
; %bb.185:
	s_or_b32 exec_lo, exec_lo, s15
	s_delay_alu instid0(SALU_CYCLE_1)
	s_and_b32 s0, s0, exec_lo
	s_or_saveexec_b32 s14, s14
	v_mov_b32_e32 v2, s9
	s_xor_b32 exec_lo, exec_lo, s14
	s_cbranch_execnz .LBB18_206
.LBB18_186:
	s_or_b32 exec_lo, exec_lo, s14
	s_and_saveexec_b32 s9, s0
	s_cbranch_execz .LBB18_188
.LBB18_187:
	v_and_b32_e32 v2, 0xffff, v3
	s_delay_alu instid0(VALU_DEP_1) | instskip(NEXT) | instid1(VALU_DEP_1)
	v_and_b32_e32 v4, 3, v2
	v_clz_i32_u32_e32 v5, v4
	s_delay_alu instid0(VALU_DEP_1) | instskip(NEXT) | instid1(VALU_DEP_1)
	v_min_u32_e32 v5, 32, v5
	v_subrev_nc_u32_e32 v6, 29, v5
	v_sub_nc_u32_e32 v5, 30, v5
	s_delay_alu instid0(VALU_DEP_2) | instskip(SKIP_1) | instid1(VALU_DEP_2)
	v_lshlrev_b32_e32 v6, v6, v2
	v_bfe_u32 v2, v2, 2, 5
	v_and_b32_e32 v6, 3, v6
	s_delay_alu instid0(VALU_DEP_2) | instskip(SKIP_1) | instid1(VALU_DEP_1)
	v_cmp_eq_u32_e32 vcc_lo, 0, v2
	v_dual_cndmask_b32 v2, v2, v5 :: v_dual_lshlrev_b32 v3, 24, v3
	v_dual_cndmask_b32 v4, v4, v6 :: v_dual_and_b32 v3, 0x80000000, v3
	s_delay_alu instid0(VALU_DEP_2) | instskip(NEXT) | instid1(VALU_DEP_2)
	v_lshl_add_u32 v2, v2, 23, 0x37800000
	v_lshlrev_b32_e32 v4, 21, v4
	s_delay_alu instid0(VALU_DEP_1)
	v_or3_b32 v2, v3, v2, v4
.LBB18_188:
	s_or_b32 exec_lo, exec_lo, s9
	s_mov_b32 s0, 0
	s_branch .LBB18_194
.LBB18_189:
	s_mov_b32 s9, -1
                                        ; implicit-def: $vgpr2
	s_branch .LBB18_200
.LBB18_190:
	s_or_saveexec_b32 s14, s14
	v_mov_b32_e32 v2, s9
	s_xor_b32 exec_lo, exec_lo, s14
	s_cbranch_execz .LBB18_174
.LBB18_191:
	v_cmp_ne_u16_e32 vcc_lo, 0, v3
	v_mov_b32_e32 v2, 0
	s_and_not1_b32 s0, s0, exec_lo
	s_and_b32 s9, vcc_lo, exec_lo
	s_delay_alu instid0(SALU_CYCLE_1)
	s_or_b32 s0, s0, s9
	s_or_b32 exec_lo, exec_lo, s14
	s_and_saveexec_b32 s9, s0
	s_cbranch_execnz .LBB18_175
	s_branch .LBB18_176
.LBB18_192:
	s_mov_b32 s0, -1
                                        ; implicit-def: $vgpr2
	s_branch .LBB18_197
.LBB18_193:
	s_mov_b32 s0, -1
                                        ; implicit-def: $vgpr2
.LBB18_194:
	s_delay_alu instid0(SALU_CYCLE_1)
	s_and_b32 vcc_lo, exec_lo, s0
	s_cbranch_vccz .LBB18_196
; %bb.195:
	global_load_u8 v2, v[0:1], off
	s_waitcnt vmcnt(0)
	v_lshlrev_b32_e32 v2, 24, v2
	s_delay_alu instid0(VALU_DEP_1) | instskip(NEXT) | instid1(VALU_DEP_1)
	v_and_b32_e32 v3, 0x7f000000, v2
	v_clz_i32_u32_e32 v4, v3
	v_add_nc_u32_e32 v6, 0x1000000, v3
	v_cmp_ne_u32_e32 vcc_lo, 0, v3
	s_delay_alu instid0(VALU_DEP_3) | instskip(NEXT) | instid1(VALU_DEP_1)
	v_min_u32_e32 v4, 32, v4
	v_sub_nc_u32_e64 v4, v4, 4 clamp
	s_delay_alu instid0(VALU_DEP_1) | instskip(SKIP_1) | instid1(VALU_DEP_2)
	v_lshlrev_b32_e32 v5, v4, v3
	v_lshlrev_b32_e32 v4, 23, v4
	v_lshrrev_b32_e32 v5, 4, v5
	s_delay_alu instid0(VALU_DEP_1) | instskip(SKIP_1) | instid1(VALU_DEP_2)
	v_sub_nc_u32_e32 v4, v5, v4
	v_ashrrev_i32_e32 v5, 8, v6
	v_add_nc_u32_e32 v4, 0x3c000000, v4
	s_delay_alu instid0(VALU_DEP_1) | instskip(NEXT) | instid1(VALU_DEP_1)
	v_and_or_b32 v4, 0x7f800000, v5, v4
	v_cndmask_b32_e32 v3, 0, v4, vcc_lo
	s_delay_alu instid0(VALU_DEP_1)
	v_and_or_b32 v2, 0x80000000, v2, v3
.LBB18_196:
	s_mov_b32 s0, 0
.LBB18_197:
	s_delay_alu instid0(SALU_CYCLE_1)
	s_and_not1_b32 vcc_lo, exec_lo, s0
	s_cbranch_vccnz .LBB18_199
; %bb.198:
	global_load_u8 v2, v[0:1], off
	s_waitcnt vmcnt(0)
	v_lshlrev_b32_e32 v3, 25, v2
	v_lshlrev_b16 v2, 8, v2
	s_delay_alu instid0(VALU_DEP_2) | instskip(NEXT) | instid1(VALU_DEP_2)
	v_lshrrev_b32_e32 v4, 4, v3
	v_and_or_b32 v5, 0x7f00, v2, 0.5
	v_bfe_i32 v2, v2, 0, 16
	s_delay_alu instid0(VALU_DEP_3) | instskip(NEXT) | instid1(VALU_DEP_1)
	v_or_b32_e32 v4, 0x70000000, v4
	v_dual_add_f32 v5, -0.5, v5 :: v_dual_mul_f32 v4, 0x7800000, v4
	v_cmp_gt_u32_e32 vcc_lo, 0x8000000, v3
	s_delay_alu instid0(VALU_DEP_2) | instskip(NEXT) | instid1(VALU_DEP_1)
	v_cndmask_b32_e32 v3, v4, v5, vcc_lo
	v_and_or_b32 v2, 0x80000000, v2, v3
.LBB18_199:
	s_mov_b32 s9, 0
	s_mov_b32 s0, -1
.LBB18_200:
	s_and_not1_b32 vcc_lo, exec_lo, s9
	s_cbranch_vccnz .LBB18_213
; %bb.201:
	v_cmp_lt_i16_e32 vcc_lo, 14, v9
	s_cbranch_vccz .LBB18_204
; %bb.202:
	v_cmp_eq_u16_e32 vcc_lo, 15, v9
	s_cbranch_vccz .LBB18_207
; %bb.203:
	global_load_u16 v2, v[0:1], off
	s_mov_b32 s0, -1
	s_mov_b32 s11, 0
	s_waitcnt vmcnt(0)
	v_lshlrev_b32_e32 v2, 16, v2
	s_branch .LBB18_208
.LBB18_204:
	s_mov_b32 s9, -1
                                        ; implicit-def: $vgpr2
	s_branch .LBB18_209
.LBB18_205:
	s_or_saveexec_b32 s14, s14
	v_mov_b32_e32 v2, s9
	s_xor_b32 exec_lo, exec_lo, s14
	s_cbranch_execz .LBB18_186
.LBB18_206:
	v_cmp_ne_u16_e32 vcc_lo, 0, v3
	v_mov_b32_e32 v2, 0
	s_and_not1_b32 s0, s0, exec_lo
	s_and_b32 s9, vcc_lo, exec_lo
	s_delay_alu instid0(SALU_CYCLE_1)
	s_or_b32 s0, s0, s9
	s_or_b32 exec_lo, exec_lo, s14
	s_and_saveexec_b32 s9, s0
	s_cbranch_execnz .LBB18_187
	s_branch .LBB18_188
.LBB18_207:
	s_mov_b32 s11, -1
                                        ; implicit-def: $vgpr2
.LBB18_208:
	s_mov_b32 s9, 0
.LBB18_209:
	s_delay_alu instid0(SALU_CYCLE_1)
	s_and_b32 vcc_lo, exec_lo, s9
	s_cbranch_vccz .LBB18_213
; %bb.210:
	v_cmp_eq_u16_e32 vcc_lo, 11, v9
	s_cbranch_vccz .LBB18_212
; %bb.211:
	global_load_u8 v2, v[0:1], off
	s_mov_b32 s11, 0
	s_mov_b32 s0, -1
	s_waitcnt vmcnt(0)
	v_cmp_ne_u16_e32 vcc_lo, 0, v2
	v_cndmask_b32_e64 v2, 0, 1.0, vcc_lo
	s_branch .LBB18_213
.LBB18_212:
	s_mov_b32 s11, -1
                                        ; implicit-def: $vgpr2
.LBB18_213:
	s_branch .LBB18_10
.LBB18_214:
	v_cmp_gt_i16_e32 vcc_lo, 5, v9
	s_cbranch_vccnz .LBB18_219
; %bb.215:
	v_cmp_gt_i16_e32 vcc_lo, 8, v9
	s_cbranch_vccnz .LBB18_220
; %bb.216:
	;; [unrolled: 3-line block ×3, first 2 shown]
	v_cmp_lt_i16_e32 vcc_lo, 9, v9
	s_cbranch_vccz .LBB18_222
; %bb.218:
	global_load_b64 v[2:3], v[0:1], off
	s_mov_b32 s0, 0
	s_waitcnt vmcnt(0)
	v_cvt_f32_f64_e32 v2, v[2:3]
	s_branch .LBB18_223
.LBB18_219:
                                        ; implicit-def: $vgpr2
	s_branch .LBB18_241
.LBB18_220:
	s_mov_b32 s0, -1
                                        ; implicit-def: $vgpr2
	s_branch .LBB18_229
.LBB18_221:
	s_mov_b32 s0, -1
                                        ; implicit-def: $vgpr2
	s_branch .LBB18_226
.LBB18_222:
	s_mov_b32 s0, -1
                                        ; implicit-def: $vgpr2
.LBB18_223:
	s_delay_alu instid0(SALU_CYCLE_1)
	s_and_not1_b32 vcc_lo, exec_lo, s0
	s_cbranch_vccnz .LBB18_225
; %bb.224:
	global_load_b32 v2, v[0:1], off
.LBB18_225:
	s_mov_b32 s0, 0
.LBB18_226:
	s_delay_alu instid0(SALU_CYCLE_1)
	s_and_not1_b32 vcc_lo, exec_lo, s0
	s_cbranch_vccnz .LBB18_228
; %bb.227:
	global_load_b32 v2, v[0:1], off
	s_waitcnt vmcnt(0)
	v_cvt_f32_f16_e32 v2, v2
.LBB18_228:
	s_mov_b32 s0, 0
.LBB18_229:
	s_delay_alu instid0(SALU_CYCLE_1)
	s_and_not1_b32 vcc_lo, exec_lo, s0
	s_cbranch_vccnz .LBB18_240
; %bb.230:
	v_cmp_gt_i16_e32 vcc_lo, 6, v9
	s_cbranch_vccnz .LBB18_233
; %bb.231:
	v_cmp_lt_i16_e32 vcc_lo, 6, v9
	s_cbranch_vccz .LBB18_234
; %bb.232:
	global_load_b64 v[2:3], v[0:1], off
	s_mov_b32 s0, 0
	s_waitcnt vmcnt(0)
	v_cvt_f32_f64_e32 v2, v[2:3]
	s_branch .LBB18_235
.LBB18_233:
	s_mov_b32 s0, -1
                                        ; implicit-def: $vgpr2
	s_branch .LBB18_238
.LBB18_234:
	s_mov_b32 s0, -1
                                        ; implicit-def: $vgpr2
.LBB18_235:
	s_delay_alu instid0(SALU_CYCLE_1)
	s_and_not1_b32 vcc_lo, exec_lo, s0
	s_cbranch_vccnz .LBB18_237
; %bb.236:
	global_load_b32 v2, v[0:1], off
.LBB18_237:
	s_mov_b32 s0, 0
.LBB18_238:
	s_delay_alu instid0(SALU_CYCLE_1)
	s_and_not1_b32 vcc_lo, exec_lo, s0
	s_cbranch_vccnz .LBB18_240
; %bb.239:
	global_load_u16 v2, v[0:1], off
	s_waitcnt vmcnt(0)
	v_cvt_f32_f16_e32 v2, v2
.LBB18_240:
	s_cbranch_execnz .LBB18_260
.LBB18_241:
	v_cmp_gt_i16_e32 vcc_lo, 2, v9
	s_cbranch_vccnz .LBB18_245
; %bb.242:
	v_cmp_gt_i16_e32 vcc_lo, 3, v9
	s_cbranch_vccnz .LBB18_246
; %bb.243:
	v_cmp_lt_i16_e32 vcc_lo, 3, v9
	s_cbranch_vccz .LBB18_247
; %bb.244:
	global_load_b64 v[2:3], v[0:1], off
	s_mov_b32 s0, 0
	s_waitcnt vmcnt(0)
	v_xor_b32_e32 v4, v2, v3
	v_cls_i32_e32 v5, v3
	s_delay_alu instid0(VALU_DEP_2) | instskip(NEXT) | instid1(VALU_DEP_2)
	v_ashrrev_i32_e32 v4, 31, v4
	v_add_nc_u32_e32 v5, -1, v5
	s_delay_alu instid0(VALU_DEP_2) | instskip(NEXT) | instid1(VALU_DEP_1)
	v_add_nc_u32_e32 v4, 32, v4
	v_min_u32_e32 v4, v5, v4
	s_delay_alu instid0(VALU_DEP_1) | instskip(NEXT) | instid1(VALU_DEP_1)
	v_lshlrev_b64 v[2:3], v4, v[2:3]
	v_min_u32_e32 v2, 1, v2
	s_delay_alu instid0(VALU_DEP_1) | instskip(SKIP_1) | instid1(VALU_DEP_2)
	v_or_b32_e32 v2, v3, v2
	v_sub_nc_u32_e32 v3, 32, v4
	v_cvt_f32_i32_e32 v2, v2
	s_delay_alu instid0(VALU_DEP_1)
	v_ldexp_f32 v2, v2, v3
	s_branch .LBB18_248
.LBB18_245:
	s_mov_b32 s0, -1
                                        ; implicit-def: $vgpr2
	s_branch .LBB18_254
.LBB18_246:
	s_mov_b32 s0, -1
                                        ; implicit-def: $vgpr2
	s_branch .LBB18_251
.LBB18_247:
	s_mov_b32 s0, -1
                                        ; implicit-def: $vgpr2
.LBB18_248:
	s_delay_alu instid0(SALU_CYCLE_1)
	s_and_not1_b32 vcc_lo, exec_lo, s0
	s_cbranch_vccnz .LBB18_250
; %bb.249:
	global_load_b32 v2, v[0:1], off
	s_waitcnt vmcnt(0)
	v_cvt_f32_i32_e32 v2, v2
.LBB18_250:
	s_mov_b32 s0, 0
.LBB18_251:
	s_delay_alu instid0(SALU_CYCLE_1)
	s_and_not1_b32 vcc_lo, exec_lo, s0
	s_cbranch_vccnz .LBB18_253
; %bb.252:
	global_load_i16 v2, v[0:1], off
	s_waitcnt vmcnt(0)
	v_cvt_f32_i32_e32 v2, v2
.LBB18_253:
	s_mov_b32 s0, 0
.LBB18_254:
	s_delay_alu instid0(SALU_CYCLE_1)
	s_and_not1_b32 vcc_lo, exec_lo, s0
	s_cbranch_vccnz .LBB18_260
; %bb.255:
	v_cmp_lt_i16_e32 vcc_lo, 0, v9
	s_mov_b32 s0, 0
	s_cbranch_vccz .LBB18_257
; %bb.256:
	global_load_i8 v2, v[0:1], off
	s_waitcnt vmcnt(0)
	v_cvt_f32_i32_e32 v2, v2
	s_branch .LBB18_258
.LBB18_257:
	s_mov_b32 s0, -1
                                        ; implicit-def: $vgpr2
.LBB18_258:
	s_delay_alu instid0(SALU_CYCLE_1)
	s_and_not1_b32 vcc_lo, exec_lo, s0
	s_cbranch_vccnz .LBB18_260
; %bb.259:
	global_load_u8 v0, v[0:1], off
	s_waitcnt vmcnt(0)
	v_cvt_f32_ubyte0_e32 v2, v0
.LBB18_260:
	s_branch .LBB18_11
.LBB18_261:
	s_mov_b32 s0, 0
.LBB18_262:
	s_mov_b32 s14, 0
                                        ; implicit-def: $vgpr8
.LBB18_263:
	s_and_b32 s9, s0, exec_lo
	s_and_b32 s11, s11, exec_lo
	s_or_not1_b32 s15, s14, exec_lo
.LBB18_264:
	s_or_b32 exec_lo, exec_lo, s12
	s_mov_b32 s14, 0
	s_mov_b32 s0, 0
                                        ; implicit-def: $vgpr0_vgpr1
                                        ; implicit-def: $vgpr4
	s_and_saveexec_b32 s12, s15
	s_cbranch_execz .LBB18_896
; %bb.265:
	s_mov_b32 s17, -1
	s_mov_b32 s13, s11
	s_mov_b32 s14, s9
	s_mov_b32 s15, exec_lo
	v_cmpx_gt_i32_e64 s10, v8
	s_cbranch_execz .LBB18_536
; %bb.266:
	v_mul_lo_u32 v0, v8, s3
	v_cmp_gt_i16_e32 vcc_lo, 11, v9
	s_delay_alu instid0(VALU_DEP_2) | instskip(SKIP_1) | instid1(VALU_DEP_1)
	v_ashrrev_i32_e32 v1, 31, v0
	v_add_co_u32 v0, s0, s6, v0
	v_add_co_ci_u32_e64 v1, s0, s7, v1, s0
	s_cbranch_vccnz .LBB18_273
; %bb.267:
	v_cmp_lt_i16_e32 vcc_lo, 25, v9
	s_cbranch_vccz .LBB18_294
; %bb.268:
	v_cmp_lt_i16_e32 vcc_lo, 28, v9
	s_cbranch_vccz .LBB18_296
	;; [unrolled: 3-line block ×4, first 2 shown]
; %bb.271:
	v_cmp_eq_u16_e32 vcc_lo, 46, v9
	s_mov_b32 s14, 0
	s_cbranch_vccz .LBB18_306
; %bb.272:
	global_load_b32 v2, v[0:1], off
	s_mov_b32 s0, -1
	s_mov_b32 s13, 0
	s_waitcnt vmcnt(0)
	v_lshlrev_b32_e32 v2, 16, v2
	s_branch .LBB18_308
.LBB18_273:
	s_mov_b32 s0, 0
	s_mov_b32 s13, s11
                                        ; implicit-def: $vgpr2
	s_cbranch_execnz .LBB18_485
.LBB18_274:
	s_and_not1_b32 vcc_lo, exec_lo, s0
	s_cbranch_vccnz .LBB18_533
.LBB18_275:
	s_waitcnt vmcnt(0)
	s_delay_alu instid0(VALU_DEP_1) | instskip(NEXT) | instid1(VALU_DEP_1)
	v_cmp_ge_f32_e64 s0, 0x41000000, |v2|
                                        ; implicit-def: $vgpr0
	s_and_saveexec_b32 s14, s0
	s_delay_alu instid0(SALU_CYCLE_1)
	s_xor_b32 s0, exec_lo, s14
	s_cbranch_execz .LBB18_281
; %bb.276:
	v_fma_f32 v0, |v2|, 0.5, -2.0
	s_mov_b32 s14, 0x224cf950
	s_delay_alu instid0(VALU_DEP_1) | instid1(SALU_CYCLE_1)
	v_fmaak_f32 v1, s14, v0, 0xa3c2be86
	s_mov_b32 s14, exec_lo
	s_delay_alu instid0(VALU_DEP_1) | instskip(NEXT) | instid1(VALU_DEP_1)
	v_fmaak_f32 v3, v0, v1, 0xa24cf950
	v_add_f32_e32 v3, 0x25331f1f, v3
	s_delay_alu instid0(VALU_DEP_1) | instskip(NEXT) | instid1(VALU_DEP_1)
	v_fma_f32 v1, v0, v3, -v1
	v_add_f32_e32 v1, 0xa69f5554, v1
	s_delay_alu instid0(VALU_DEP_1) | instskip(NEXT) | instid1(VALU_DEP_1)
	v_fma_f32 v3, v0, v1, -v3
	;; [unrolled: 3-line block ×26, first 2 shown]
	v_add_f32_e32 v0, 0x3e81531c, v0
	s_delay_alu instid0(VALU_DEP_1)
	v_sub_f32_e32 v1, v0, v3
                                        ; implicit-def: $vgpr0
	v_cmpx_ngt_f32_e32 0, v2
	s_xor_b32 s14, exec_lo, s14
	s_cbranch_execz .LBB18_278
; %bb.277:
	v_mul_f32_e64 v0, 0x3fb8aa3b, |v2|
	v_cmp_ngt_f32_e64 vcc_lo, 0xc2ce8ed0, |v2|
	v_mul_f32_e32 v1, 0.5, v1
	s_delay_alu instid0(VALU_DEP_3) | instskip(SKIP_1) | instid1(VALU_DEP_3)
	v_rndne_f32_e32 v3, v0
	v_fma_f32 v4, 0x3fb8aa3b, |v2|, -v0
	v_mul_f32_e64 v1, |v2|, v1
	s_delay_alu instid0(VALU_DEP_3) | instskip(NEXT) | instid1(VALU_DEP_3)
	v_sub_f32_e32 v0, v0, v3
	v_fma_f32 v4, 0x32a5705f, |v2|, v4
	v_cvt_i32_f32_e32 v3, v3
	s_delay_alu instid0(VALU_DEP_2) | instskip(NEXT) | instid1(VALU_DEP_1)
	v_add_f32_e32 v0, v0, v4
	v_exp_f32_e32 v0, v0
	s_waitcnt_depctr 0xfff
	v_ldexp_f32 v0, v0, v3
	s_delay_alu instid0(VALU_DEP_1) | instskip(SKIP_1) | instid1(VALU_DEP_2)
	v_cndmask_b32_e32 v0, 0, v0, vcc_lo
	v_cmp_nlt_f32_e64 vcc_lo, 0x42b17218, |v2|
                                        ; implicit-def: $vgpr2
	v_cndmask_b32_e32 v0, 0x7f800000, v0, vcc_lo
	s_delay_alu instid0(VALU_DEP_1)
	v_mul_f32_e32 v0, v0, v1
                                        ; implicit-def: $vgpr1
.LBB18_278:
	s_and_not1_saveexec_b32 s14, s14
	s_cbranch_execz .LBB18_280
; %bb.279:
	v_mul_f32_e64 v0, 0x3fb8aa3b, |v2|
	v_cmp_ngt_f32_e64 vcc_lo, 0xc2ce8ed0, |v2|
	v_mul_f32_e32 v1, -0.5, v1
	s_delay_alu instid0(VALU_DEP_3) | instskip(SKIP_1) | instid1(VALU_DEP_3)
	v_rndne_f32_e32 v3, v0
	v_fma_f32 v4, 0x3fb8aa3b, |v2|, -v0
	v_mul_f32_e64 v1, |v2|, v1
	s_delay_alu instid0(VALU_DEP_3) | instskip(NEXT) | instid1(VALU_DEP_3)
	v_sub_f32_e32 v0, v0, v3
	v_fma_f32 v4, 0x32a5705f, |v2|, v4
	v_cvt_i32_f32_e32 v3, v3
	s_delay_alu instid0(VALU_DEP_2) | instskip(NEXT) | instid1(VALU_DEP_1)
	v_add_f32_e32 v0, v0, v4
	v_exp_f32_e32 v0, v0
	s_waitcnt_depctr 0xfff
	v_ldexp_f32 v0, v0, v3
	s_delay_alu instid0(VALU_DEP_1) | instskip(SKIP_1) | instid1(VALU_DEP_2)
	v_cndmask_b32_e32 v0, 0, v0, vcc_lo
	v_cmp_nlt_f32_e64 vcc_lo, 0x42b17218, |v2|
	v_cndmask_b32_e32 v0, 0x7f800000, v0, vcc_lo
	s_delay_alu instid0(VALU_DEP_1)
	v_mul_f32_e32 v0, v0, v1
.LBB18_280:
	s_or_b32 exec_lo, exec_lo, s14
                                        ; implicit-def: $vgpr2
.LBB18_281:
	s_and_not1_saveexec_b32 s14, s0
	s_cbranch_execz .LBB18_287
; %bb.282:
	v_and_b32_e32 v0, 0x7fffffff, v2
	s_mov_b32 s0, 0x230aab6e
	s_delay_alu instid0(VALU_DEP_1) | instskip(NEXT) | instid1(VALU_DEP_1)
	v_div_scale_f32 v1, null, v0, v0, 0x42000000
	v_rcp_f32_e32 v3, v1
	s_waitcnt_depctr 0xfff
	v_fma_f32 v4, -v1, v3, 1.0
	s_delay_alu instid0(VALU_DEP_1) | instskip(SKIP_1) | instid1(VALU_DEP_1)
	v_fmac_f32_e32 v3, v4, v3
	v_div_scale_f32 v0, vcc_lo, 0x42000000, v0, 0x42000000
	v_mul_f32_e32 v4, v0, v3
	s_delay_alu instid0(VALU_DEP_1) | instskip(NEXT) | instid1(VALU_DEP_1)
	v_fma_f32 v5, -v1, v4, v0
	v_fmac_f32_e32 v4, v5, v3
	s_delay_alu instid0(VALU_DEP_1) | instskip(NEXT) | instid1(VALU_DEP_1)
	v_fma_f32 v0, -v1, v4, v0
	v_div_fmas_f32 v0, v0, v3, v4
	v_mul_f32_e64 v4, 0x3fb8aa3b, |v2|
	v_cmp_ngt_f32_e64 vcc_lo, 0xc2ce8ed0, |v2|
	s_delay_alu instid0(VALU_DEP_3) | instskip(NEXT) | instid1(VALU_DEP_3)
	v_div_fixup_f32 v0, v0, |v2|, 0x42000000
	v_rndne_f32_e32 v5, v4
	v_fma_f32 v6, 0x3fb8aa3b, |v2|, -v4
	s_delay_alu instid0(VALU_DEP_3) | instskip(NEXT) | instid1(VALU_DEP_3)
	v_add_f32_e32 v0, -2.0, v0
	v_sub_f32_e32 v4, v4, v5
	s_delay_alu instid0(VALU_DEP_3) | instskip(SKIP_1) | instid1(VALU_DEP_4)
	v_fma_f32 v6, 0x32a5705f, |v2|, v6
	v_cvt_i32_f32_e32 v5, v5
	v_fmaak_f32 v1, s0, v0, 0x22a2dc57
	v_cmp_nlt_f32_e64 s0, 0x42b17218, |v2|
	s_delay_alu instid0(VALU_DEP_4) | instskip(NEXT) | instid1(VALU_DEP_3)
	v_add_f32_e32 v4, v4, v6
	v_fmaak_f32 v3, v0, v1, 0xa30aab6e
	s_delay_alu instid0(VALU_DEP_2) | instskip(NEXT) | instid1(VALU_DEP_1)
	v_exp_f32_e32 v4, v4
	v_add_f32_e32 v3, 0xa456751e, v3
	s_delay_alu instid0(VALU_DEP_1) | instskip(NEXT) | instid1(VALU_DEP_1)
	v_fma_f32 v1, v0, v3, -v1
	v_add_f32_e32 v1, 0xa4140365, v1
	s_delay_alu instid0(VALU_DEP_1) | instskip(NEXT) | instid1(VALU_DEP_1)
	v_fma_f32 v3, v0, v1, -v3
	;; [unrolled: 3-line block ×21, first 2 shown]
	v_add_f32_e32 v1, 0xbc1fed03, v1
	s_delay_alu instid0(VALU_DEP_1) | instskip(SKIP_1) | instid1(VALU_DEP_1)
	v_fma_f32 v0, v0, v1, -v3
	v_ldexp_f32 v1, v4, v5
	v_dual_add_f32 v0, 0x3f4750c6, v0 :: v_dual_cndmask_b32 v1, 0, v1
	s_delay_alu instid0(VALU_DEP_1) | instskip(NEXT) | instid1(VALU_DEP_2)
	v_sub_f32_e32 v0, v0, v3
	v_cndmask_b32_e64 v1, 0x7f800000, v1, s0
	s_mov_b32 s0, exec_lo
	s_delay_alu instid0(VALU_DEP_2)
	v_mul_f32_e32 v3, 0.5, v0
                                        ; implicit-def: $vgpr0
	v_cmpx_ngt_f32_e32 0, v2
	s_xor_b32 s16, exec_lo, s0
	s_cbranch_execz .LBB18_284
; %bb.283:
	v_mul_f32_e64 v0, 0x4f800000, |v2|
	v_cmp_gt_f32_e64 vcc_lo, 0xf800000, |v2|
	v_mul_f32_e32 v1, v1, v3
	s_delay_alu instid0(VALU_DEP_2) | instskip(NEXT) | instid1(VALU_DEP_1)
	v_cndmask_b32_e64 v0, |v2|, v0, vcc_lo
	v_sqrt_f32_e32 v2, v0
	s_waitcnt_depctr 0xfff
	v_add_nc_u32_e32 v4, -1, v2
	v_add_nc_u32_e32 v5, 1, v2
	s_delay_alu instid0(VALU_DEP_2) | instskip(NEXT) | instid1(VALU_DEP_2)
	v_fma_f32 v6, -v4, v2, v0
	v_fma_f32 v10, -v5, v2, v0
	s_delay_alu instid0(VALU_DEP_2) | instskip(NEXT) | instid1(VALU_DEP_1)
	v_cmp_ge_f32_e64 s0, 0, v6
	v_cndmask_b32_e64 v2, v2, v4, s0
	s_delay_alu instid0(VALU_DEP_3) | instskip(NEXT) | instid1(VALU_DEP_1)
	v_cmp_lt_f32_e64 s0, 0, v10
	v_cndmask_b32_e64 v2, v2, v5, s0
	s_delay_alu instid0(VALU_DEP_1) | instskip(NEXT) | instid1(VALU_DEP_1)
	v_mul_f32_e32 v4, 0x37800000, v2
	v_cndmask_b32_e32 v2, v2, v4, vcc_lo
	v_cmp_class_f32_e64 vcc_lo, v0, 0x260
	s_delay_alu instid0(VALU_DEP_2) | instskip(NEXT) | instid1(VALU_DEP_1)
	v_cndmask_b32_e32 v0, v2, v0, vcc_lo
	v_div_scale_f32 v2, null, v0, v0, v1
	s_delay_alu instid0(VALU_DEP_1) | instskip(SKIP_2) | instid1(VALU_DEP_1)
	v_rcp_f32_e32 v3, v2
	s_waitcnt_depctr 0xfff
	v_fma_f32 v4, -v2, v3, 1.0
	v_fmac_f32_e32 v3, v4, v3
	v_div_scale_f32 v4, vcc_lo, v1, v0, v1
	s_delay_alu instid0(VALU_DEP_1) | instskip(NEXT) | instid1(VALU_DEP_1)
	v_mul_f32_e32 v5, v4, v3
	v_fma_f32 v6, -v2, v5, v4
	s_delay_alu instid0(VALU_DEP_1) | instskip(NEXT) | instid1(VALU_DEP_1)
	v_fmac_f32_e32 v5, v6, v3
	v_fma_f32 v2, -v2, v5, v4
	s_delay_alu instid0(VALU_DEP_1) | instskip(NEXT) | instid1(VALU_DEP_1)
	v_div_fmas_f32 v2, v2, v3, v5
                                        ; implicit-def: $vgpr3
	v_div_fixup_f32 v0, v2, v0, v1
                                        ; implicit-def: $vgpr2
                                        ; implicit-def: $vgpr1
.LBB18_284:
	s_and_not1_saveexec_b32 s16, s16
	s_cbranch_execz .LBB18_286
; %bb.285:
	v_mul_f32_e64 v0, 0x4f800000, |v2|
	v_cmp_gt_f32_e64 vcc_lo, 0xf800000, |v2|
	v_mul_f32_e64 v1, v3, -v1
	s_delay_alu instid0(VALU_DEP_2) | instskip(NEXT) | instid1(VALU_DEP_1)
	v_cndmask_b32_e64 v0, |v2|, v0, vcc_lo
	v_sqrt_f32_e32 v2, v0
	s_waitcnt_depctr 0xfff
	v_add_nc_u32_e32 v4, -1, v2
	v_add_nc_u32_e32 v5, 1, v2
	s_delay_alu instid0(VALU_DEP_2) | instskip(NEXT) | instid1(VALU_DEP_2)
	v_fma_f32 v6, -v4, v2, v0
	v_fma_f32 v10, -v5, v2, v0
	s_delay_alu instid0(VALU_DEP_2) | instskip(NEXT) | instid1(VALU_DEP_1)
	v_cmp_ge_f32_e64 s0, 0, v6
	v_cndmask_b32_e64 v2, v2, v4, s0
	s_delay_alu instid0(VALU_DEP_3) | instskip(NEXT) | instid1(VALU_DEP_1)
	v_cmp_lt_f32_e64 s0, 0, v10
	v_cndmask_b32_e64 v2, v2, v5, s0
	s_delay_alu instid0(VALU_DEP_1) | instskip(NEXT) | instid1(VALU_DEP_1)
	v_mul_f32_e32 v4, 0x37800000, v2
	v_cndmask_b32_e32 v2, v2, v4, vcc_lo
	v_cmp_class_f32_e64 vcc_lo, v0, 0x260
	s_delay_alu instid0(VALU_DEP_2) | instskip(NEXT) | instid1(VALU_DEP_1)
	v_cndmask_b32_e32 v0, v2, v0, vcc_lo
	v_div_scale_f32 v2, null, v0, v0, v1
	s_delay_alu instid0(VALU_DEP_1) | instskip(SKIP_2) | instid1(VALU_DEP_1)
	v_rcp_f32_e32 v3, v2
	s_waitcnt_depctr 0xfff
	v_fma_f32 v4, -v2, v3, 1.0
	v_fmac_f32_e32 v3, v4, v3
	v_div_scale_f32 v4, vcc_lo, v1, v0, v1
	s_delay_alu instid0(VALU_DEP_1) | instskip(NEXT) | instid1(VALU_DEP_1)
	v_mul_f32_e32 v5, v4, v3
	v_fma_f32 v6, -v2, v5, v4
	s_delay_alu instid0(VALU_DEP_1) | instskip(NEXT) | instid1(VALU_DEP_1)
	v_fmac_f32_e32 v5, v6, v3
	v_fma_f32 v2, -v2, v5, v4
	s_delay_alu instid0(VALU_DEP_1) | instskip(NEXT) | instid1(VALU_DEP_1)
	v_div_fmas_f32 v2, v2, v3, v5
	v_div_fixup_f32 v0, v2, v0, v1
.LBB18_286:
	s_or_b32 exec_lo, exec_lo, s16
.LBB18_287:
	s_delay_alu instid0(SALU_CYCLE_1) | instskip(SKIP_2) | instid1(VALU_DEP_1)
	s_or_b32 exec_lo, exec_lo, s14
	v_mul_lo_u32 v1, v8, s2
	v_and_b32_e32 v4, 0xff, v7
	v_cmp_gt_i16_e32 vcc_lo, 11, v4
	s_delay_alu instid0(VALU_DEP_3) | instskip(SKIP_1) | instid1(VALU_DEP_1)
	v_ashrrev_i32_e32 v3, 31, v1
	v_add_co_u32 v2, s0, s4, v1
	v_add_co_ci_u32_e64 v3, s0, s5, v3, s0
	s_cbranch_vccnz .LBB18_295
; %bb.288:
	v_cmp_lt_i16_e32 vcc_lo, 25, v4
	s_cbranch_vccz .LBB18_297
; %bb.289:
	v_cmp_lt_i16_e32 vcc_lo, 28, v4
	s_cbranch_vccz .LBB18_299
; %bb.290:
	v_cmp_lt_i16_e32 vcc_lo, 43, v4
	s_cbranch_vccz .LBB18_303
; %bb.291:
	v_cmp_lt_i16_e32 vcc_lo, 45, v4
	s_cbranch_vccz .LBB18_311
; %bb.292:
	v_cmp_eq_u16_e32 vcc_lo, 46, v4
	s_mov_b32 s16, 0
	s_mov_b32 s0, -1
	s_mov_b32 s14, 0
	s_cbranch_vccz .LBB18_312
; %bb.293:
	v_bfe_u32 v1, v0, 16, 1
	v_cmp_o_f32_e32 vcc_lo, v0, v0
	s_mov_b32 s14, -1
	s_mov_b32 s0, 0
	s_delay_alu instid0(VALU_DEP_2) | instskip(NEXT) | instid1(VALU_DEP_1)
	v_add3_u32 v1, v0, v1, 0x7fff
	v_lshrrev_b32_e32 v1, 16, v1
	s_delay_alu instid0(VALU_DEP_1)
	v_cndmask_b32_e32 v1, 0x7fc0, v1, vcc_lo
	global_store_b32 v[2:3], v1, off
	s_branch .LBB18_312
.LBB18_294:
	s_mov_b32 s14, -1
	s_mov_b32 s0, 0
	s_mov_b32 s13, s11
                                        ; implicit-def: $vgpr2
	s_branch .LBB18_449
.LBB18_295:
	s_mov_b32 s16, -1
	s_mov_b32 s14, 0
	s_mov_b32 s0, s9
	s_branch .LBB18_381
.LBB18_296:
	s_mov_b32 s14, -1
	s_mov_b32 s0, 0
	s_mov_b32 s13, s11
                                        ; implicit-def: $vgpr2
	s_branch .LBB18_430
.LBB18_297:
	s_mov_b32 s16, -1
	s_mov_b32 s14, 0
	s_mov_b32 s0, s9
	s_branch .LBB18_339
.LBB18_298:
	s_mov_b32 s14, -1
	s_mov_b32 s0, 0
	s_mov_b32 s13, s11
                                        ; implicit-def: $vgpr2
	s_branch .LBB18_425
.LBB18_299:
	s_mov_b32 s16, -1
	s_mov_b32 s14, 0
	s_mov_b32 s0, s9
	s_branch .LBB18_322
.LBB18_300:
	s_or_saveexec_b32 s15, s15
                                        ; implicit-def: $sgpr16
	s_delay_alu instid0(SALU_CYCLE_1)
	s_xor_b32 exec_lo, exec_lo, s15
	s_cbranch_execz .LBB18_66
.LBB18_301:
	v_add_f32_e64 v1, 0x46000000, |v0|
	s_and_not1_b32 s14, s14, exec_lo
	s_mov_b32 s16, 0
	s_delay_alu instid0(VALU_DEP_1) | instskip(NEXT) | instid1(VALU_DEP_1)
	v_and_b32_e32 v1, 0xff, v1
	v_cmp_ne_u32_e32 vcc_lo, 0, v1
	s_and_b32 s17, vcc_lo, exec_lo
	s_delay_alu instid0(SALU_CYCLE_1)
	s_or_b32 s14, s14, s17
	s_or_b32 exec_lo, exec_lo, s15
	v_mov_b32_e32 v5, s16
	s_and_saveexec_b32 s15, s14
	s_cbranch_execnz .LBB18_67
	s_branch .LBB18_68
.LBB18_302:
	s_mov_b32 s14, -1
	s_mov_b32 s0, 0
	s_mov_b32 s13, s11
	s_branch .LBB18_307
.LBB18_303:
	s_mov_b32 s16, -1
	s_mov_b32 s14, 0
	s_mov_b32 s0, s9
	s_branch .LBB18_318
.LBB18_304:
	s_or_saveexec_b32 s15, s15
                                        ; implicit-def: $sgpr16
	s_delay_alu instid0(SALU_CYCLE_1)
	s_xor_b32 exec_lo, exec_lo, s15
	s_cbranch_execz .LBB18_79
.LBB18_305:
	v_add_f32_e64 v1, 0x42800000, |v0|
	s_and_not1_b32 s14, s14, exec_lo
	s_mov_b32 s16, 0
	s_delay_alu instid0(VALU_DEP_1) | instskip(NEXT) | instid1(VALU_DEP_1)
	v_and_b32_e32 v1, 0xff, v1
	v_cmp_ne_u32_e32 vcc_lo, 0, v1
	s_and_b32 s17, vcc_lo, exec_lo
	s_delay_alu instid0(SALU_CYCLE_1)
	s_or_b32 s14, s14, s17
	s_or_b32 exec_lo, exec_lo, s15
	v_mov_b32_e32 v5, s16
	s_and_saveexec_b32 s15, s14
	s_cbranch_execnz .LBB18_80
	s_branch .LBB18_81
.LBB18_306:
	s_mov_b32 s13, -1
	s_mov_b32 s0, 0
.LBB18_307:
                                        ; implicit-def: $vgpr2
.LBB18_308:
	s_and_b32 vcc_lo, exec_lo, s14
	s_cbranch_vccz .LBB18_424
; %bb.309:
	v_cmp_eq_u16_e32 vcc_lo, 44, v9
	s_cbranch_vccz .LBB18_423
; %bb.310:
	global_load_u8 v2, v[0:1], off
	s_mov_b32 s13, 0
	s_mov_b32 s0, -1
	s_waitcnt vmcnt(0)
	v_lshlrev_b32_e32 v3, 23, v2
	v_cmp_ne_u32_e32 vcc_lo, 0xff, v2
	s_delay_alu instid0(VALU_DEP_2) | instskip(SKIP_1) | instid1(VALU_DEP_2)
	v_cndmask_b32_e32 v3, 0x7f800001, v3, vcc_lo
	v_cmp_ne_u32_e32 vcc_lo, 0, v2
	v_cndmask_b32_e32 v2, 0x400000, v3, vcc_lo
	s_branch .LBB18_424
.LBB18_311:
	s_mov_b32 s16, -1
	s_mov_b32 s14, 0
	s_mov_b32 s0, s9
.LBB18_312:
	s_and_b32 vcc_lo, exec_lo, s16
	s_cbranch_vccz .LBB18_317
; %bb.313:
	v_cmp_eq_u16_e32 vcc_lo, 44, v4
	s_mov_b32 s0, -1
	s_cbranch_vccz .LBB18_317
; %bb.314:
	v_bfe_u32 v5, v0, 23, 8
	v_mov_b32_e32 v1, 0xff
	s_mov_b32 s14, exec_lo
	s_delay_alu instid0(VALU_DEP_2)
	v_cmpx_ne_u32_e32 0xff, v5
; %bb.315:
	v_and_b32_e32 v1, 0x400000, v0
	v_and_or_b32 v5, 0x3fffff, v0, v5
	s_delay_alu instid0(VALU_DEP_2) | instskip(NEXT) | instid1(VALU_DEP_2)
	v_cmp_ne_u32_e32 vcc_lo, 0, v1
	v_cmp_ne_u32_e64 s0, 0, v5
	v_lshrrev_b32_e32 v1, 23, v0
	s_delay_alu instid0(VALU_DEP_2) | instskip(NEXT) | instid1(SALU_CYCLE_1)
	s_and_b32 s0, vcc_lo, s0
	v_cndmask_b32_e64 v5, 0, 1, s0
	s_delay_alu instid0(VALU_DEP_1)
	v_add_nc_u32_e32 v1, v1, v5
; %bb.316:
	s_or_b32 exec_lo, exec_lo, s14
	s_mov_b32 s14, -1
	s_mov_b32 s0, 0
	global_store_b8 v[2:3], v1, off
.LBB18_317:
	s_mov_b32 s16, 0
.LBB18_318:
	s_delay_alu instid0(SALU_CYCLE_1)
	s_and_b32 vcc_lo, exec_lo, s16
	s_cbranch_vccz .LBB18_321
; %bb.319:
	v_cmp_eq_u16_e32 vcc_lo, 29, v4
	s_mov_b32 s0, -1
	s_cbranch_vccz .LBB18_321
; %bb.320:
	v_trunc_f32_e32 v1, v0
	s_mov_b32 s14, -1
	s_mov_b32 s0, 0
	s_mov_b32 s16, 0
	s_delay_alu instid0(VALU_DEP_1) | instskip(NEXT) | instid1(VALU_DEP_1)
	v_mul_f32_e32 v5, 0x2f800000, v1
	v_floor_f32_e32 v5, v5
	s_delay_alu instid0(VALU_DEP_1) | instskip(SKIP_1) | instid1(VALU_DEP_2)
	v_fmamk_f32 v1, v5, 0xcf800000, v1
	v_cvt_u32_f32_e32 v6, v5
	v_cvt_u32_f32_e32 v5, v1
	global_store_b64 v[2:3], v[5:6], off
	s_branch .LBB18_322
.LBB18_321:
	s_mov_b32 s16, 0
.LBB18_322:
	s_delay_alu instid0(SALU_CYCLE_1)
	s_and_b32 vcc_lo, exec_lo, s16
	s_cbranch_vccz .LBB18_338
; %bb.323:
	v_cmp_gt_i16_e32 vcc_lo, 27, v4
	s_mov_b32 s14, -1
	s_cbranch_vccnz .LBB18_329
; %bb.324:
	v_cmp_lt_i16_e32 vcc_lo, 27, v4
	s_cbranch_vccz .LBB18_326
; %bb.325:
	v_cvt_u32_f32_e32 v1, v0
	s_mov_b32 s14, 0
	global_store_b32 v[2:3], v1, off
.LBB18_326:
	s_and_not1_b32 vcc_lo, exec_lo, s14
	s_cbranch_vccnz .LBB18_328
; %bb.327:
	v_cvt_u32_f32_e32 v1, v0
	global_store_b16 v[2:3], v1, off
.LBB18_328:
	s_mov_b32 s14, 0
.LBB18_329:
	s_delay_alu instid0(SALU_CYCLE_1)
	s_and_not1_b32 vcc_lo, exec_lo, s14
	s_cbranch_vccnz .LBB18_337
; %bb.330:
	v_and_b32_e32 v1, 0x7fffffff, v0
	v_mov_b32_e32 v5, 0x80
	s_mov_b32 s14, exec_lo
	s_delay_alu instid0(VALU_DEP_2)
	v_cmpx_gt_u32_e32 0x43800000, v1
	s_cbranch_execz .LBB18_336
; %bb.331:
	v_cmp_lt_u32_e32 vcc_lo, 0x3bffffff, v1
	s_mov_b32 s16, 0
                                        ; implicit-def: $vgpr1
	s_and_saveexec_b32 s17, vcc_lo
	s_delay_alu instid0(SALU_CYCLE_1)
	s_xor_b32 s17, exec_lo, s17
	s_cbranch_execz .LBB18_549
; %bb.332:
	v_bfe_u32 v1, v0, 20, 1
	s_mov_b32 s16, exec_lo
	s_delay_alu instid0(VALU_DEP_1) | instskip(NEXT) | instid1(VALU_DEP_1)
	v_add3_u32 v1, v0, v1, 0x487ffff
	v_lshrrev_b32_e32 v1, 20, v1
	s_or_saveexec_b32 s17, s17
                                        ; implicit-def: $sgpr18
	s_delay_alu instid0(SALU_CYCLE_1)
	s_xor_b32 exec_lo, exec_lo, s17
	s_cbranch_execnz .LBB18_550
.LBB18_333:
	s_or_b32 exec_lo, exec_lo, s17
	v_mov_b32_e32 v5, s18
	s_and_saveexec_b32 s17, s16
.LBB18_334:
	v_lshrrev_b32_e32 v5, 24, v0
	s_delay_alu instid0(VALU_DEP_1)
	v_and_or_b32 v5, 0x80, v5, v1
.LBB18_335:
	s_or_b32 exec_lo, exec_lo, s17
.LBB18_336:
	s_delay_alu instid0(SALU_CYCLE_1)
	s_or_b32 exec_lo, exec_lo, s14
	global_store_b8 v[2:3], v5, off
.LBB18_337:
	s_mov_b32 s14, -1
.LBB18_338:
	s_mov_b32 s16, 0
.LBB18_339:
	s_delay_alu instid0(SALU_CYCLE_1)
	s_and_b32 vcc_lo, exec_lo, s16
	s_cbranch_vccz .LBB18_380
; %bb.340:
	v_cmp_lt_i16_e32 vcc_lo, 22, v4
	s_mov_b32 s16, -1
	s_cbranch_vccz .LBB18_372
; %bb.341:
	v_cmp_gt_i16_e32 vcc_lo, 24, v4
	s_mov_b32 s14, -1
	s_cbranch_vccnz .LBB18_361
; %bb.342:
	v_cmp_lt_i16_e32 vcc_lo, 24, v4
	s_cbranch_vccz .LBB18_350
; %bb.343:
	v_and_b32_e32 v1, 0x7fffffff, v0
	v_mov_b32_e32 v5, 0x80
	s_mov_b32 s14, exec_lo
	s_delay_alu instid0(VALU_DEP_2)
	v_cmpx_gt_u32_e32 0x47800000, v1
	s_cbranch_execz .LBB18_349
; %bb.344:
	v_cmp_lt_u32_e32 vcc_lo, 0x37ffffff, v1
	s_mov_b32 s16, 0
                                        ; implicit-def: $vgpr1
	s_and_saveexec_b32 s17, vcc_lo
	s_delay_alu instid0(SALU_CYCLE_1)
	s_xor_b32 s17, exec_lo, s17
	s_cbranch_execz .LBB18_552
; %bb.345:
	v_bfe_u32 v1, v0, 21, 1
	s_mov_b32 s16, exec_lo
	s_delay_alu instid0(VALU_DEP_1) | instskip(NEXT) | instid1(VALU_DEP_1)
	v_add3_u32 v1, v0, v1, 0x88fffff
	v_lshrrev_b32_e32 v1, 21, v1
	s_or_saveexec_b32 s17, s17
                                        ; implicit-def: $sgpr18
	s_delay_alu instid0(SALU_CYCLE_1)
	s_xor_b32 exec_lo, exec_lo, s17
	s_cbranch_execnz .LBB18_553
.LBB18_346:
	s_or_b32 exec_lo, exec_lo, s17
	v_mov_b32_e32 v5, s18
	s_and_saveexec_b32 s17, s16
.LBB18_347:
	v_lshrrev_b32_e32 v5, 24, v0
	s_delay_alu instid0(VALU_DEP_1)
	v_and_or_b32 v5, 0x80, v5, v1
.LBB18_348:
	s_or_b32 exec_lo, exec_lo, s17
.LBB18_349:
	s_delay_alu instid0(SALU_CYCLE_1)
	s_or_b32 exec_lo, exec_lo, s14
	s_mov_b32 s14, 0
	global_store_b8 v[2:3], v5, off
.LBB18_350:
	s_and_b32 vcc_lo, exec_lo, s14
	s_cbranch_vccz .LBB18_360
; %bb.351:
	v_and_b32_e32 v5, 0x7fffffff, v0
	s_mov_b32 s14, exec_lo
                                        ; implicit-def: $vgpr1
	s_delay_alu instid0(VALU_DEP_1)
	v_cmpx_gt_u32_e32 0x43f00000, v5
	s_xor_b32 s14, exec_lo, s14
	s_cbranch_execz .LBB18_357
; %bb.352:
	s_mov_b32 s16, exec_lo
                                        ; implicit-def: $vgpr1
	v_cmpx_lt_u32_e32 0x3c7fffff, v5
	s_xor_b32 s16, exec_lo, s16
; %bb.353:
	v_bfe_u32 v1, v0, 20, 1
	s_delay_alu instid0(VALU_DEP_1) | instskip(NEXT) | instid1(VALU_DEP_1)
	v_add3_u32 v1, v0, v1, 0x407ffff
	v_and_b32_e32 v5, 0xff00000, v1
	v_lshrrev_b32_e32 v1, 20, v1
	s_delay_alu instid0(VALU_DEP_2) | instskip(NEXT) | instid1(VALU_DEP_2)
	v_cmp_ne_u32_e32 vcc_lo, 0x7f00000, v5
	v_cndmask_b32_e32 v1, 0x7e, v1, vcc_lo
; %bb.354:
	s_and_not1_saveexec_b32 s16, s16
; %bb.355:
	v_add_f32_e64 v1, 0x46800000, |v0|
; %bb.356:
	s_or_b32 exec_lo, exec_lo, s16
                                        ; implicit-def: $vgpr5
.LBB18_357:
	s_and_not1_saveexec_b32 s14, s14
; %bb.358:
	v_mov_b32_e32 v1, 0x7f
	v_cmp_lt_u32_e32 vcc_lo, 0x7f800000, v5
	s_delay_alu instid0(VALU_DEP_2)
	v_cndmask_b32_e32 v1, 0x7e, v1, vcc_lo
; %bb.359:
	s_or_b32 exec_lo, exec_lo, s14
	v_lshrrev_b32_e32 v5, 24, v0
	s_delay_alu instid0(VALU_DEP_1)
	v_and_or_b32 v1, 0x80, v5, v1
	global_store_b8 v[2:3], v1, off
.LBB18_360:
	s_mov_b32 s14, 0
.LBB18_361:
	s_delay_alu instid0(SALU_CYCLE_1)
	s_and_not1_b32 vcc_lo, exec_lo, s14
	s_cbranch_vccnz .LBB18_371
; %bb.362:
	v_and_b32_e32 v5, 0x7fffffff, v0
	s_mov_b32 s14, exec_lo
                                        ; implicit-def: $vgpr1
	s_delay_alu instid0(VALU_DEP_1)
	v_cmpx_gt_u32_e32 0x47800000, v5
	s_xor_b32 s14, exec_lo, s14
	s_cbranch_execz .LBB18_368
; %bb.363:
	s_mov_b32 s16, exec_lo
                                        ; implicit-def: $vgpr1
	v_cmpx_lt_u32_e32 0x387fffff, v5
	s_xor_b32 s16, exec_lo, s16
; %bb.364:
	v_bfe_u32 v1, v0, 21, 1
	s_delay_alu instid0(VALU_DEP_1) | instskip(NEXT) | instid1(VALU_DEP_1)
	v_add3_u32 v1, v0, v1, 0x80fffff
	v_lshrrev_b32_e32 v1, 21, v1
; %bb.365:
	s_and_not1_saveexec_b32 s16, s16
; %bb.366:
	v_add_f32_e64 v1, 0x43000000, |v0|
; %bb.367:
	s_or_b32 exec_lo, exec_lo, s16
                                        ; implicit-def: $vgpr5
.LBB18_368:
	s_and_not1_saveexec_b32 s14, s14
; %bb.369:
	v_mov_b32_e32 v1, 0x7f
	v_cmp_lt_u32_e32 vcc_lo, 0x7f800000, v5
	s_delay_alu instid0(VALU_DEP_2)
	v_cndmask_b32_e32 v1, 0x7c, v1, vcc_lo
; %bb.370:
	s_or_b32 exec_lo, exec_lo, s14
	v_lshrrev_b32_e32 v5, 24, v0
	s_delay_alu instid0(VALU_DEP_1)
	v_and_or_b32 v1, 0x80, v5, v1
	global_store_b8 v[2:3], v1, off
.LBB18_371:
	s_mov_b32 s16, 0
	s_mov_b32 s14, -1
.LBB18_372:
	s_and_not1_b32 vcc_lo, exec_lo, s16
	s_cbranch_vccnz .LBB18_380
; %bb.373:
	v_cmp_lt_i16_e32 vcc_lo, 14, v4
	s_mov_b32 s16, -1
	s_cbranch_vccz .LBB18_377
; %bb.374:
	v_cmp_eq_u16_e32 vcc_lo, 15, v4
	s_mov_b32 s0, -1
	s_cbranch_vccz .LBB18_376
; %bb.375:
	v_bfe_u32 v1, v0, 16, 1
	v_cmp_o_f32_e32 vcc_lo, v0, v0
	s_mov_b32 s14, -1
	s_mov_b32 s0, 0
	s_delay_alu instid0(VALU_DEP_2) | instskip(NEXT) | instid1(VALU_DEP_1)
	v_add3_u32 v1, v0, v1, 0x7fff
	v_lshrrev_b32_e32 v1, 16, v1
	s_delay_alu instid0(VALU_DEP_1)
	v_cndmask_b32_e32 v1, 0x7fc0, v1, vcc_lo
	global_store_b16 v[2:3], v1, off
.LBB18_376:
	s_mov_b32 s16, 0
.LBB18_377:
	s_delay_alu instid0(SALU_CYCLE_1)
	s_and_b32 vcc_lo, exec_lo, s16
	s_cbranch_vccz .LBB18_380
; %bb.378:
	v_cmp_eq_u16_e32 vcc_lo, 11, v4
	s_mov_b32 s0, -1
	s_cbranch_vccz .LBB18_380
; %bb.379:
	v_cmp_neq_f32_e32 vcc_lo, 0, v0
	s_mov_b32 s0, 0
	s_mov_b32 s14, -1
	v_cndmask_b32_e64 v1, 0, 1, vcc_lo
	global_store_b8 v[2:3], v1, off
.LBB18_380:
	s_mov_b32 s16, 0
.LBB18_381:
	s_delay_alu instid0(SALU_CYCLE_1)
	s_and_b32 vcc_lo, exec_lo, s16
	s_cbranch_vccz .LBB18_420
; %bb.382:
	v_cmp_gt_i16_e32 vcc_lo, 5, v4
	s_mov_b32 s14, -1
	s_cbranch_vccnz .LBB18_403
; %bb.383:
	v_cmp_gt_i16_e32 vcc_lo, 8, v4
	s_cbranch_vccnz .LBB18_393
; %bb.384:
	v_cmp_gt_i16_e32 vcc_lo, 9, v4
	s_cbranch_vccnz .LBB18_390
; %bb.385:
	v_cmp_lt_i16_e32 vcc_lo, 9, v4
	s_cbranch_vccz .LBB18_387
; %bb.386:
	v_cvt_f64_f32_e32 v[10:11], v0
	v_mov_b32_e32 v12, 0
	s_mov_b32 s14, 0
	s_delay_alu instid0(VALU_DEP_1)
	v_mov_b32_e32 v13, v12
	global_store_b128 v[2:3], v[10:13], off
.LBB18_387:
	s_and_not1_b32 vcc_lo, exec_lo, s14
	s_cbranch_vccnz .LBB18_389
; %bb.388:
	v_mov_b32_e32 v1, 0
	global_store_b64 v[2:3], v[0:1], off
.LBB18_389:
	s_mov_b32 s14, 0
.LBB18_390:
	s_delay_alu instid0(SALU_CYCLE_1)
	s_and_not1_b32 vcc_lo, exec_lo, s14
	s_cbranch_vccnz .LBB18_392
; %bb.391:
	v_cvt_f16_f32_e32 v1, v0
	s_delay_alu instid0(VALU_DEP_1)
	v_and_b32_e32 v1, 0xffff, v1
	global_store_b32 v[2:3], v1, off
.LBB18_392:
	s_mov_b32 s14, 0
.LBB18_393:
	s_delay_alu instid0(SALU_CYCLE_1)
	s_and_not1_b32 vcc_lo, exec_lo, s14
	s_cbranch_vccnz .LBB18_402
; %bb.394:
	v_cmp_gt_i16_e32 vcc_lo, 6, v4
	s_mov_b32 s14, -1
	s_cbranch_vccnz .LBB18_400
; %bb.395:
	v_cmp_lt_i16_e32 vcc_lo, 6, v4
	s_cbranch_vccz .LBB18_397
; %bb.396:
	v_cvt_f64_f32_e32 v[5:6], v0
	s_mov_b32 s14, 0
	global_store_b64 v[2:3], v[5:6], off
.LBB18_397:
	s_and_not1_b32 vcc_lo, exec_lo, s14
	s_cbranch_vccnz .LBB18_399
; %bb.398:
	global_store_b32 v[2:3], v0, off
.LBB18_399:
	s_mov_b32 s14, 0
.LBB18_400:
	s_delay_alu instid0(SALU_CYCLE_1)
	s_and_not1_b32 vcc_lo, exec_lo, s14
	s_cbranch_vccnz .LBB18_402
; %bb.401:
	v_cvt_f16_f32_e32 v1, v0
	global_store_b16 v[2:3], v1, off
.LBB18_402:
	s_mov_b32 s14, 0
.LBB18_403:
	s_delay_alu instid0(SALU_CYCLE_1)
	s_and_not1_b32 vcc_lo, exec_lo, s14
	s_cbranch_vccnz .LBB18_419
; %bb.404:
	v_cmp_gt_i16_e32 vcc_lo, 2, v4
	s_mov_b32 s14, -1
	s_cbranch_vccnz .LBB18_414
; %bb.405:
	v_cmp_gt_i16_e32 vcc_lo, 3, v4
	s_cbranch_vccnz .LBB18_411
; %bb.406:
	v_cmp_lt_i16_e32 vcc_lo, 3, v4
	s_cbranch_vccz .LBB18_408
; %bb.407:
	v_trunc_f32_e32 v1, v0
	s_mov_b32 s14, 0
	s_delay_alu instid0(VALU_DEP_1) | instskip(NEXT) | instid1(VALU_DEP_1)
	v_mul_f32_e64 v5, 0x2f800000, |v1|
	v_floor_f32_e32 v5, v5
	s_delay_alu instid0(VALU_DEP_1) | instskip(SKIP_2) | instid1(VALU_DEP_3)
	v_fma_f32 v6, 0xcf800000, v5, |v1|
	v_ashrrev_i32_e32 v1, 31, v1
	v_cvt_u32_f32_e32 v5, v5
	v_cvt_u32_f32_e32 v6, v6
	s_delay_alu instid0(VALU_DEP_2) | instskip(NEXT) | instid1(VALU_DEP_2)
	v_xor_b32_e32 v10, v5, v1
	v_xor_b32_e32 v6, v6, v1
	s_delay_alu instid0(VALU_DEP_1) | instskip(NEXT) | instid1(VALU_DEP_3)
	v_sub_co_u32 v5, vcc_lo, v6, v1
	v_sub_co_ci_u32_e32 v6, vcc_lo, v10, v1, vcc_lo
	global_store_b64 v[2:3], v[5:6], off
.LBB18_408:
	s_and_not1_b32 vcc_lo, exec_lo, s14
	s_cbranch_vccnz .LBB18_410
; %bb.409:
	v_cvt_i32_f32_e32 v1, v0
	global_store_b32 v[2:3], v1, off
.LBB18_410:
	s_mov_b32 s14, 0
.LBB18_411:
	s_delay_alu instid0(SALU_CYCLE_1)
	s_and_not1_b32 vcc_lo, exec_lo, s14
	s_cbranch_vccnz .LBB18_413
; %bb.412:
	v_cvt_i32_f32_e32 v1, v0
	global_store_b16 v[2:3], v1, off
.LBB18_413:
	s_mov_b32 s14, 0
.LBB18_414:
	s_delay_alu instid0(SALU_CYCLE_1)
	s_and_not1_b32 vcc_lo, exec_lo, s14
	s_cbranch_vccnz .LBB18_419
; %bb.415:
	v_cmp_lt_i16_e32 vcc_lo, 0, v4
	s_mov_b32 s14, -1
	s_cbranch_vccz .LBB18_417
; %bb.416:
	v_cvt_i32_f32_e32 v1, v0
	s_mov_b32 s14, 0
	global_store_b8 v[2:3], v1, off
.LBB18_417:
	s_and_not1_b32 vcc_lo, exec_lo, s14
	s_cbranch_vccnz .LBB18_419
; %bb.418:
	v_trunc_f32_e32 v0, v0
	s_delay_alu instid0(VALU_DEP_1) | instskip(NEXT) | instid1(VALU_DEP_1)
	v_mul_f32_e64 v1, 0x2f800000, |v0|
	v_floor_f32_e32 v1, v1
	s_delay_alu instid0(VALU_DEP_1) | instskip(SKIP_1) | instid1(VALU_DEP_2)
	v_fma_f32 v1, 0xcf800000, v1, |v0|
	v_ashrrev_i32_e32 v0, 31, v0
	v_cvt_u32_f32_e32 v1, v1
	s_delay_alu instid0(VALU_DEP_1) | instskip(NEXT) | instid1(VALU_DEP_1)
	v_xor_b32_e32 v1, v1, v0
	v_sub_nc_u32_e32 v0, v1, v0
	global_store_b8 v[2:3], v0, off
.LBB18_419:
	s_mov_b32 s14, -1
.LBB18_420:
	s_delay_alu instid0(SALU_CYCLE_1)
	s_and_not1_b32 vcc_lo, exec_lo, s14
	s_cbranch_vccnz .LBB18_422
; %bb.421:
	v_add_nc_u32_e32 v8, 0x80, v8
	s_mov_b32 s16, -1
	s_branch .LBB18_535
.LBB18_422:
	s_mov_b32 s16, 0
	s_branch .LBB18_534
.LBB18_423:
	s_mov_b32 s13, -1
                                        ; implicit-def: $vgpr2
.LBB18_424:
	s_mov_b32 s14, 0
.LBB18_425:
	s_delay_alu instid0(SALU_CYCLE_1)
	s_and_b32 vcc_lo, exec_lo, s14
	s_cbranch_vccz .LBB18_429
; %bb.426:
	v_cmp_eq_u16_e32 vcc_lo, 29, v9
	s_cbranch_vccz .LBB18_428
; %bb.427:
	global_load_b64 v[2:3], v[0:1], off
	s_mov_b32 s0, -1
	s_mov_b32 s13, 0
	s_mov_b32 s14, 0
	s_waitcnt vmcnt(0)
	v_clz_i32_u32_e32 v4, v3
	s_delay_alu instid0(VALU_DEP_1) | instskip(NEXT) | instid1(VALU_DEP_1)
	v_min_u32_e32 v4, 32, v4
	v_lshlrev_b64 v[2:3], v4, v[2:3]
	s_delay_alu instid0(VALU_DEP_1) | instskip(NEXT) | instid1(VALU_DEP_1)
	v_min_u32_e32 v2, 1, v2
	v_or_b32_e32 v2, v3, v2
	v_sub_nc_u32_e32 v3, 32, v4
	s_delay_alu instid0(VALU_DEP_2) | instskip(NEXT) | instid1(VALU_DEP_1)
	v_cvt_f32_u32_e32 v2, v2
	v_ldexp_f32 v2, v2, v3
	s_branch .LBB18_430
.LBB18_428:
	s_mov_b32 s13, -1
                                        ; implicit-def: $vgpr2
.LBB18_429:
	s_mov_b32 s14, 0
.LBB18_430:
	s_delay_alu instid0(SALU_CYCLE_1)
	s_and_b32 vcc_lo, exec_lo, s14
	s_cbranch_vccz .LBB18_448
; %bb.431:
	v_cmp_gt_i16_e32 vcc_lo, 27, v9
	s_cbranch_vccnz .LBB18_434
; %bb.432:
	v_cmp_lt_i16_e32 vcc_lo, 27, v9
	s_cbranch_vccz .LBB18_435
; %bb.433:
	global_load_b32 v2, v[0:1], off
	s_mov_b32 s0, 0
	s_waitcnt vmcnt(0)
	v_cvt_f32_u32_e32 v2, v2
	s_branch .LBB18_436
.LBB18_434:
	s_mov_b32 s0, -1
                                        ; implicit-def: $vgpr2
	s_branch .LBB18_439
.LBB18_435:
	s_mov_b32 s0, -1
                                        ; implicit-def: $vgpr2
.LBB18_436:
	s_delay_alu instid0(SALU_CYCLE_1)
	s_and_not1_b32 vcc_lo, exec_lo, s0
	s_cbranch_vccnz .LBB18_438
; %bb.437:
	global_load_u16 v2, v[0:1], off
	s_waitcnt vmcnt(0)
	v_cvt_f32_u32_e32 v2, v2
.LBB18_438:
	s_mov_b32 s0, 0
.LBB18_439:
	s_delay_alu instid0(SALU_CYCLE_1)
	s_and_not1_b32 vcc_lo, exec_lo, s0
	s_cbranch_vccnz .LBB18_447
; %bb.440:
	global_load_u8 v3, v[0:1], off
	s_mov_b32 s0, 0
	s_mov_b32 s16, exec_lo
                                        ; implicit-def: $sgpr14
	s_waitcnt vmcnt(0)
	v_cmpx_lt_i16_e32 0x7f, v3
	s_xor_b32 s16, exec_lo, s16
	s_cbranch_execz .LBB18_461
; %bb.441:
	s_mov_b32 s0, -1
	s_mov_b32 s17, exec_lo
                                        ; implicit-def: $sgpr14
	v_cmpx_eq_u16_e32 0x80, v3
; %bb.442:
	s_mov_b32 s14, 0x7f800001
	s_xor_b32 s0, exec_lo, -1
; %bb.443:
	s_or_b32 exec_lo, exec_lo, s17
	s_delay_alu instid0(SALU_CYCLE_1)
	s_and_b32 s0, s0, exec_lo
	s_or_saveexec_b32 s16, s16
	v_mov_b32_e32 v2, s14
	s_xor_b32 exec_lo, exec_lo, s16
	s_cbranch_execnz .LBB18_462
.LBB18_444:
	s_or_b32 exec_lo, exec_lo, s16
	s_and_saveexec_b32 s14, s0
	s_cbranch_execz .LBB18_446
.LBB18_445:
	v_and_b32_e32 v2, 0xffff, v3
	s_delay_alu instid0(VALU_DEP_1) | instskip(NEXT) | instid1(VALU_DEP_1)
	v_and_b32_e32 v4, 7, v2
	v_clz_i32_u32_e32 v5, v4
	s_delay_alu instid0(VALU_DEP_1) | instskip(NEXT) | instid1(VALU_DEP_1)
	v_min_u32_e32 v5, 32, v5
	v_subrev_nc_u32_e32 v6, 28, v5
	v_sub_nc_u32_e32 v5, 29, v5
	s_delay_alu instid0(VALU_DEP_2) | instskip(SKIP_1) | instid1(VALU_DEP_2)
	v_lshlrev_b32_e32 v6, v6, v2
	v_bfe_u32 v2, v2, 3, 4
	v_and_b32_e32 v6, 7, v6
	s_delay_alu instid0(VALU_DEP_2) | instskip(SKIP_1) | instid1(VALU_DEP_1)
	v_cmp_eq_u32_e32 vcc_lo, 0, v2
	v_dual_cndmask_b32 v2, v2, v5 :: v_dual_lshlrev_b32 v3, 24, v3
	v_dual_cndmask_b32 v4, v4, v6 :: v_dual_and_b32 v3, 0x80000000, v3
	s_delay_alu instid0(VALU_DEP_2) | instskip(NEXT) | instid1(VALU_DEP_2)
	v_lshl_add_u32 v2, v2, 23, 0x3b800000
	v_lshlrev_b32_e32 v4, 20, v4
	s_delay_alu instid0(VALU_DEP_1)
	v_or3_b32 v2, v3, v2, v4
.LBB18_446:
	s_or_b32 exec_lo, exec_lo, s14
.LBB18_447:
	s_mov_b32 s0, -1
.LBB18_448:
	s_mov_b32 s14, 0
.LBB18_449:
	s_delay_alu instid0(SALU_CYCLE_1)
	s_and_b32 vcc_lo, exec_lo, s14
	s_cbranch_vccz .LBB18_484
; %bb.450:
	v_cmp_lt_i16_e32 vcc_lo, 22, v9
	s_cbranch_vccz .LBB18_460
; %bb.451:
	v_cmp_gt_i16_e32 vcc_lo, 24, v9
	s_cbranch_vccnz .LBB18_463
; %bb.452:
	v_cmp_lt_i16_e32 vcc_lo, 24, v9
	s_cbranch_vccz .LBB18_464
; %bb.453:
	global_load_u8 v3, v[0:1], off
	s_mov_b32 s0, 0
	s_mov_b32 s16, exec_lo
                                        ; implicit-def: $sgpr14
	s_waitcnt vmcnt(0)
	v_cmpx_lt_i16_e32 0x7f, v3
	s_xor_b32 s16, exec_lo, s16
	s_cbranch_execz .LBB18_476
; %bb.454:
	s_mov_b32 s0, -1
	s_mov_b32 s17, exec_lo
                                        ; implicit-def: $sgpr14
	v_cmpx_eq_u16_e32 0x80, v3
; %bb.455:
	s_mov_b32 s14, 0x7f800001
	s_xor_b32 s0, exec_lo, -1
; %bb.456:
	s_or_b32 exec_lo, exec_lo, s17
	s_delay_alu instid0(SALU_CYCLE_1)
	s_and_b32 s0, s0, exec_lo
	s_or_saveexec_b32 s16, s16
	v_mov_b32_e32 v2, s14
	s_xor_b32 exec_lo, exec_lo, s16
	s_cbranch_execnz .LBB18_477
.LBB18_457:
	s_or_b32 exec_lo, exec_lo, s16
	s_and_saveexec_b32 s14, s0
	s_cbranch_execz .LBB18_459
.LBB18_458:
	v_and_b32_e32 v2, 0xffff, v3
	s_delay_alu instid0(VALU_DEP_1) | instskip(NEXT) | instid1(VALU_DEP_1)
	v_and_b32_e32 v4, 3, v2
	v_clz_i32_u32_e32 v5, v4
	s_delay_alu instid0(VALU_DEP_1) | instskip(NEXT) | instid1(VALU_DEP_1)
	v_min_u32_e32 v5, 32, v5
	v_subrev_nc_u32_e32 v6, 29, v5
	v_sub_nc_u32_e32 v5, 30, v5
	s_delay_alu instid0(VALU_DEP_2) | instskip(SKIP_1) | instid1(VALU_DEP_2)
	v_lshlrev_b32_e32 v6, v6, v2
	v_bfe_u32 v2, v2, 2, 5
	v_and_b32_e32 v6, 3, v6
	s_delay_alu instid0(VALU_DEP_2) | instskip(SKIP_1) | instid1(VALU_DEP_1)
	v_cmp_eq_u32_e32 vcc_lo, 0, v2
	v_dual_cndmask_b32 v2, v2, v5 :: v_dual_lshlrev_b32 v3, 24, v3
	v_dual_cndmask_b32 v4, v4, v6 :: v_dual_and_b32 v3, 0x80000000, v3
	s_delay_alu instid0(VALU_DEP_2) | instskip(NEXT) | instid1(VALU_DEP_2)
	v_lshl_add_u32 v2, v2, 23, 0x37800000
	v_lshlrev_b32_e32 v4, 21, v4
	s_delay_alu instid0(VALU_DEP_1)
	v_or3_b32 v2, v3, v2, v4
.LBB18_459:
	s_or_b32 exec_lo, exec_lo, s14
	s_mov_b32 s0, 0
	s_branch .LBB18_465
.LBB18_460:
	s_mov_b32 s14, -1
                                        ; implicit-def: $vgpr2
	s_branch .LBB18_471
.LBB18_461:
	s_or_saveexec_b32 s16, s16
	v_mov_b32_e32 v2, s14
	s_xor_b32 exec_lo, exec_lo, s16
	s_cbranch_execz .LBB18_444
.LBB18_462:
	v_cmp_ne_u16_e32 vcc_lo, 0, v3
	v_mov_b32_e32 v2, 0
	s_and_not1_b32 s0, s0, exec_lo
	s_and_b32 s14, vcc_lo, exec_lo
	s_delay_alu instid0(SALU_CYCLE_1)
	s_or_b32 s0, s0, s14
	s_or_b32 exec_lo, exec_lo, s16
	s_and_saveexec_b32 s14, s0
	s_cbranch_execnz .LBB18_445
	s_branch .LBB18_446
.LBB18_463:
	s_mov_b32 s0, -1
                                        ; implicit-def: $vgpr2
	s_branch .LBB18_468
.LBB18_464:
	s_mov_b32 s0, -1
                                        ; implicit-def: $vgpr2
.LBB18_465:
	s_delay_alu instid0(SALU_CYCLE_1)
	s_and_b32 vcc_lo, exec_lo, s0
	s_cbranch_vccz .LBB18_467
; %bb.466:
	global_load_u8 v2, v[0:1], off
	s_waitcnt vmcnt(0)
	v_lshlrev_b32_e32 v2, 24, v2
	s_delay_alu instid0(VALU_DEP_1) | instskip(NEXT) | instid1(VALU_DEP_1)
	v_and_b32_e32 v3, 0x7f000000, v2
	v_clz_i32_u32_e32 v4, v3
	v_add_nc_u32_e32 v6, 0x1000000, v3
	v_cmp_ne_u32_e32 vcc_lo, 0, v3
	s_delay_alu instid0(VALU_DEP_3) | instskip(NEXT) | instid1(VALU_DEP_1)
	v_min_u32_e32 v4, 32, v4
	v_sub_nc_u32_e64 v4, v4, 4 clamp
	s_delay_alu instid0(VALU_DEP_1) | instskip(SKIP_1) | instid1(VALU_DEP_2)
	v_lshlrev_b32_e32 v5, v4, v3
	v_lshlrev_b32_e32 v4, 23, v4
	v_lshrrev_b32_e32 v5, 4, v5
	s_delay_alu instid0(VALU_DEP_1) | instskip(SKIP_1) | instid1(VALU_DEP_2)
	v_sub_nc_u32_e32 v4, v5, v4
	v_ashrrev_i32_e32 v5, 8, v6
	v_add_nc_u32_e32 v4, 0x3c000000, v4
	s_delay_alu instid0(VALU_DEP_1) | instskip(NEXT) | instid1(VALU_DEP_1)
	v_and_or_b32 v4, 0x7f800000, v5, v4
	v_cndmask_b32_e32 v3, 0, v4, vcc_lo
	s_delay_alu instid0(VALU_DEP_1)
	v_and_or_b32 v2, 0x80000000, v2, v3
.LBB18_467:
	s_mov_b32 s0, 0
.LBB18_468:
	s_delay_alu instid0(SALU_CYCLE_1)
	s_and_not1_b32 vcc_lo, exec_lo, s0
	s_cbranch_vccnz .LBB18_470
; %bb.469:
	global_load_u8 v2, v[0:1], off
	s_waitcnt vmcnt(0)
	v_lshlrev_b32_e32 v3, 25, v2
	v_lshlrev_b16 v2, 8, v2
	s_delay_alu instid0(VALU_DEP_2) | instskip(NEXT) | instid1(VALU_DEP_2)
	v_lshrrev_b32_e32 v4, 4, v3
	v_and_or_b32 v5, 0x7f00, v2, 0.5
	v_bfe_i32 v2, v2, 0, 16
	s_delay_alu instid0(VALU_DEP_3) | instskip(NEXT) | instid1(VALU_DEP_1)
	v_or_b32_e32 v4, 0x70000000, v4
	v_dual_add_f32 v5, -0.5, v5 :: v_dual_mul_f32 v4, 0x7800000, v4
	v_cmp_gt_u32_e32 vcc_lo, 0x8000000, v3
	s_delay_alu instid0(VALU_DEP_2) | instskip(NEXT) | instid1(VALU_DEP_1)
	v_cndmask_b32_e32 v3, v4, v5, vcc_lo
	v_and_or_b32 v2, 0x80000000, v2, v3
.LBB18_470:
	s_mov_b32 s14, 0
	s_mov_b32 s0, -1
.LBB18_471:
	s_and_not1_b32 vcc_lo, exec_lo, s14
	s_cbranch_vccnz .LBB18_484
; %bb.472:
	v_cmp_lt_i16_e32 vcc_lo, 14, v9
	s_cbranch_vccz .LBB18_475
; %bb.473:
	v_cmp_eq_u16_e32 vcc_lo, 15, v9
	s_cbranch_vccz .LBB18_478
; %bb.474:
	global_load_u16 v2, v[0:1], off
	s_mov_b32 s0, -1
	s_mov_b32 s13, 0
	s_waitcnt vmcnt(0)
	v_lshlrev_b32_e32 v2, 16, v2
	s_branch .LBB18_479
.LBB18_475:
	s_mov_b32 s14, -1
                                        ; implicit-def: $vgpr2
	s_branch .LBB18_480
.LBB18_476:
	s_or_saveexec_b32 s16, s16
	v_mov_b32_e32 v2, s14
	s_xor_b32 exec_lo, exec_lo, s16
	s_cbranch_execz .LBB18_457
.LBB18_477:
	v_cmp_ne_u16_e32 vcc_lo, 0, v3
	v_mov_b32_e32 v2, 0
	s_and_not1_b32 s0, s0, exec_lo
	s_and_b32 s14, vcc_lo, exec_lo
	s_delay_alu instid0(SALU_CYCLE_1)
	s_or_b32 s0, s0, s14
	s_or_b32 exec_lo, exec_lo, s16
	s_and_saveexec_b32 s14, s0
	s_cbranch_execnz .LBB18_458
	s_branch .LBB18_459
.LBB18_478:
	s_mov_b32 s13, -1
                                        ; implicit-def: $vgpr2
.LBB18_479:
	s_mov_b32 s14, 0
.LBB18_480:
	s_delay_alu instid0(SALU_CYCLE_1)
	s_and_b32 vcc_lo, exec_lo, s14
	s_cbranch_vccz .LBB18_484
; %bb.481:
	v_cmp_eq_u16_e32 vcc_lo, 11, v9
	s_cbranch_vccz .LBB18_483
; %bb.482:
	global_load_u8 v2, v[0:1], off
	s_mov_b32 s13, 0
	s_mov_b32 s0, -1
	s_waitcnt vmcnt(0)
	v_cmp_ne_u16_e32 vcc_lo, 0, v2
	v_cndmask_b32_e64 v2, 0, 1.0, vcc_lo
	s_branch .LBB18_484
.LBB18_483:
	s_mov_b32 s13, -1
                                        ; implicit-def: $vgpr2
.LBB18_484:
	s_branch .LBB18_274
.LBB18_485:
	v_cmp_gt_i16_e32 vcc_lo, 5, v9
	s_cbranch_vccnz .LBB18_490
; %bb.486:
	v_cmp_gt_i16_e32 vcc_lo, 8, v9
	s_cbranch_vccnz .LBB18_491
; %bb.487:
	;; [unrolled: 3-line block ×3, first 2 shown]
	v_cmp_lt_i16_e32 vcc_lo, 9, v9
	s_cbranch_vccz .LBB18_493
; %bb.489:
	global_load_b64 v[2:3], v[0:1], off
	s_mov_b32 s0, 0
	s_waitcnt vmcnt(0)
	v_cvt_f32_f64_e32 v2, v[2:3]
	s_branch .LBB18_494
.LBB18_490:
	s_mov_b32 s0, -1
                                        ; implicit-def: $vgpr2
	s_branch .LBB18_512
.LBB18_491:
	s_mov_b32 s0, -1
                                        ; implicit-def: $vgpr2
	s_branch .LBB18_500
.LBB18_492:
	s_mov_b32 s0, -1
                                        ; implicit-def: $vgpr2
	s_branch .LBB18_497
.LBB18_493:
	s_mov_b32 s0, -1
                                        ; implicit-def: $vgpr2
.LBB18_494:
	s_delay_alu instid0(SALU_CYCLE_1)
	s_and_not1_b32 vcc_lo, exec_lo, s0
	s_cbranch_vccnz .LBB18_496
; %bb.495:
	global_load_b32 v2, v[0:1], off
.LBB18_496:
	s_mov_b32 s0, 0
.LBB18_497:
	s_delay_alu instid0(SALU_CYCLE_1)
	s_and_not1_b32 vcc_lo, exec_lo, s0
	s_cbranch_vccnz .LBB18_499
; %bb.498:
	global_load_b32 v2, v[0:1], off
	s_waitcnt vmcnt(0)
	v_cvt_f32_f16_e32 v2, v2
.LBB18_499:
	s_mov_b32 s0, 0
.LBB18_500:
	s_delay_alu instid0(SALU_CYCLE_1)
	s_and_not1_b32 vcc_lo, exec_lo, s0
	s_cbranch_vccnz .LBB18_511
; %bb.501:
	v_cmp_gt_i16_e32 vcc_lo, 6, v9
	s_cbranch_vccnz .LBB18_504
; %bb.502:
	v_cmp_lt_i16_e32 vcc_lo, 6, v9
	s_cbranch_vccz .LBB18_505
; %bb.503:
	global_load_b64 v[2:3], v[0:1], off
	s_mov_b32 s0, 0
	s_waitcnt vmcnt(0)
	v_cvt_f32_f64_e32 v2, v[2:3]
	s_branch .LBB18_506
.LBB18_504:
	s_mov_b32 s0, -1
                                        ; implicit-def: $vgpr2
	s_branch .LBB18_509
.LBB18_505:
	s_mov_b32 s0, -1
                                        ; implicit-def: $vgpr2
.LBB18_506:
	s_delay_alu instid0(SALU_CYCLE_1)
	s_and_not1_b32 vcc_lo, exec_lo, s0
	s_cbranch_vccnz .LBB18_508
; %bb.507:
	global_load_b32 v2, v[0:1], off
.LBB18_508:
	s_mov_b32 s0, 0
.LBB18_509:
	s_delay_alu instid0(SALU_CYCLE_1)
	s_and_not1_b32 vcc_lo, exec_lo, s0
	s_cbranch_vccnz .LBB18_511
; %bb.510:
	global_load_u16 v2, v[0:1], off
	s_waitcnt vmcnt(0)
	v_cvt_f32_f16_e32 v2, v2
.LBB18_511:
	s_mov_b32 s0, 0
.LBB18_512:
	s_delay_alu instid0(SALU_CYCLE_1)
	s_and_not1_b32 vcc_lo, exec_lo, s0
	s_cbranch_vccnz .LBB18_532
; %bb.513:
	v_cmp_gt_i16_e32 vcc_lo, 2, v9
	s_cbranch_vccnz .LBB18_517
; %bb.514:
	v_cmp_gt_i16_e32 vcc_lo, 3, v9
	s_cbranch_vccnz .LBB18_518
; %bb.515:
	v_cmp_lt_i16_e32 vcc_lo, 3, v9
	s_cbranch_vccz .LBB18_519
; %bb.516:
	global_load_b64 v[2:3], v[0:1], off
	s_mov_b32 s0, 0
	s_waitcnt vmcnt(0)
	v_xor_b32_e32 v4, v2, v3
	v_cls_i32_e32 v5, v3
	s_delay_alu instid0(VALU_DEP_2) | instskip(NEXT) | instid1(VALU_DEP_2)
	v_ashrrev_i32_e32 v4, 31, v4
	v_add_nc_u32_e32 v5, -1, v5
	s_delay_alu instid0(VALU_DEP_2) | instskip(NEXT) | instid1(VALU_DEP_1)
	v_add_nc_u32_e32 v4, 32, v4
	v_min_u32_e32 v4, v5, v4
	s_delay_alu instid0(VALU_DEP_1) | instskip(NEXT) | instid1(VALU_DEP_1)
	v_lshlrev_b64 v[2:3], v4, v[2:3]
	v_min_u32_e32 v2, 1, v2
	s_delay_alu instid0(VALU_DEP_1) | instskip(SKIP_1) | instid1(VALU_DEP_2)
	v_or_b32_e32 v2, v3, v2
	v_sub_nc_u32_e32 v3, 32, v4
	v_cvt_f32_i32_e32 v2, v2
	s_delay_alu instid0(VALU_DEP_1)
	v_ldexp_f32 v2, v2, v3
	s_branch .LBB18_520
.LBB18_517:
	s_mov_b32 s0, -1
                                        ; implicit-def: $vgpr2
	s_branch .LBB18_526
.LBB18_518:
	s_mov_b32 s0, -1
                                        ; implicit-def: $vgpr2
	s_branch .LBB18_523
.LBB18_519:
	s_mov_b32 s0, -1
                                        ; implicit-def: $vgpr2
.LBB18_520:
	s_delay_alu instid0(SALU_CYCLE_1)
	s_and_not1_b32 vcc_lo, exec_lo, s0
	s_cbranch_vccnz .LBB18_522
; %bb.521:
	global_load_b32 v2, v[0:1], off
	s_waitcnt vmcnt(0)
	v_cvt_f32_i32_e32 v2, v2
.LBB18_522:
	s_mov_b32 s0, 0
.LBB18_523:
	s_delay_alu instid0(SALU_CYCLE_1)
	s_and_not1_b32 vcc_lo, exec_lo, s0
	s_cbranch_vccnz .LBB18_525
; %bb.524:
	global_load_i16 v2, v[0:1], off
	s_waitcnt vmcnt(0)
	v_cvt_f32_i32_e32 v2, v2
.LBB18_525:
	s_mov_b32 s0, 0
.LBB18_526:
	s_delay_alu instid0(SALU_CYCLE_1)
	s_and_not1_b32 vcc_lo, exec_lo, s0
	s_cbranch_vccnz .LBB18_532
; %bb.527:
	v_cmp_lt_i16_e32 vcc_lo, 0, v9
	s_mov_b32 s0, 0
	s_cbranch_vccz .LBB18_529
; %bb.528:
	global_load_i8 v2, v[0:1], off
	s_waitcnt vmcnt(0)
	v_cvt_f32_i32_e32 v2, v2
	s_branch .LBB18_530
.LBB18_529:
	s_mov_b32 s0, -1
                                        ; implicit-def: $vgpr2
.LBB18_530:
	s_delay_alu instid0(SALU_CYCLE_1)
	s_and_not1_b32 vcc_lo, exec_lo, s0
	s_cbranch_vccnz .LBB18_532
; %bb.531:
	global_load_u8 v0, v[0:1], off
	s_waitcnt vmcnt(0)
	v_cvt_f32_ubyte0_e32 v2, v0
.LBB18_532:
	s_branch .LBB18_275
.LBB18_533:
	s_mov_b32 s16, 0
	s_mov_b32 s0, s9
.LBB18_534:
                                        ; implicit-def: $vgpr8
.LBB18_535:
	s_and_not1_b32 s14, s9, exec_lo
	s_and_b32 s0, s0, exec_lo
	s_and_not1_b32 s17, s11, exec_lo
	s_and_b32 s13, s13, exec_lo
	s_or_b32 s14, s14, s0
	s_or_b32 s13, s17, s13
	s_or_not1_b32 s17, s16, exec_lo
.LBB18_536:
	s_or_b32 exec_lo, exec_lo, s15
	s_mov_b32 s16, 0
	s_mov_b32 s18, 0
	;; [unrolled: 1-line block ×3, first 2 shown]
                                        ; implicit-def: $vgpr0_vgpr1
                                        ; implicit-def: $vgpr4
	s_and_saveexec_b32 s15, s17
	s_cbranch_execz .LBB18_895
; %bb.537:
	s_mov_b32 s0, -1
	s_mov_b32 s17, s13
	s_mov_b32 s18, s14
	s_mov_b32 s16, exec_lo
	v_cmpx_gt_i32_e64 s10, v8
	s_cbranch_execz .LBB18_809
; %bb.538:
	v_mul_lo_u32 v0, v8, s3
	v_cmp_gt_i16_e32 vcc_lo, 11, v9
	s_delay_alu instid0(VALU_DEP_2) | instskip(SKIP_1) | instid1(VALU_DEP_1)
	v_ashrrev_i32_e32 v1, 31, v0
	v_add_co_u32 v0, s0, s6, v0
	v_add_co_ci_u32_e64 v1, s0, s7, v1, s0
	s_cbranch_vccnz .LBB18_545
; %bb.539:
	v_cmp_lt_i16_e32 vcc_lo, 25, v9
	s_cbranch_vccz .LBB18_546
; %bb.540:
	v_cmp_lt_i16_e32 vcc_lo, 28, v9
	s_cbranch_vccz .LBB18_547
	;; [unrolled: 3-line block ×4, first 2 shown]
; %bb.543:
	v_cmp_eq_u16_e32 vcc_lo, 46, v9
	s_mov_b32 s18, 0
	s_cbranch_vccz .LBB18_554
; %bb.544:
	global_load_b32 v2, v[0:1], off
	s_mov_b32 s0, -1
	s_mov_b32 s17, 0
	s_waitcnt vmcnt(0)
	v_lshlrev_b32_e32 v2, 16, v2
	s_branch .LBB18_556
.LBB18_545:
	s_mov_b32 s18, -1
	s_mov_b32 s0, 0
	s_mov_b32 s17, s13
                                        ; implicit-def: $vgpr2
	s_branch .LBB18_621
.LBB18_546:
	s_mov_b32 s18, -1
	s_mov_b32 s0, 0
	s_mov_b32 s17, s13
                                        ; implicit-def: $vgpr2
	s_branch .LBB18_585
.LBB18_547:
	s_mov_b32 s18, -1
	s_mov_b32 s0, 0
	s_mov_b32 s17, s13
                                        ; implicit-def: $vgpr2
	s_branch .LBB18_566
.LBB18_548:
	s_mov_b32 s18, -1
	s_mov_b32 s0, 0
	s_mov_b32 s17, s13
                                        ; implicit-def: $vgpr2
	s_branch .LBB18_561
.LBB18_549:
	s_or_saveexec_b32 s17, s17
                                        ; implicit-def: $sgpr18
	s_delay_alu instid0(SALU_CYCLE_1)
	s_xor_b32 exec_lo, exec_lo, s17
	s_cbranch_execz .LBB18_333
.LBB18_550:
	v_add_f32_e64 v1, 0x46000000, |v0|
	s_and_not1_b32 s16, s16, exec_lo
	s_mov_b32 s18, 0
	s_delay_alu instid0(VALU_DEP_1) | instskip(NEXT) | instid1(VALU_DEP_1)
	v_and_b32_e32 v1, 0xff, v1
	v_cmp_ne_u32_e32 vcc_lo, 0, v1
	s_and_b32 s19, vcc_lo, exec_lo
	s_delay_alu instid0(SALU_CYCLE_1)
	s_or_b32 s16, s16, s19
	s_or_b32 exec_lo, exec_lo, s17
	v_mov_b32_e32 v5, s18
	s_and_saveexec_b32 s17, s16
	s_cbranch_execnz .LBB18_334
	s_branch .LBB18_335
.LBB18_551:
	s_mov_b32 s18, -1
	s_mov_b32 s0, 0
	s_mov_b32 s17, s13
	s_branch .LBB18_555
.LBB18_552:
	s_or_saveexec_b32 s17, s17
                                        ; implicit-def: $sgpr18
	s_delay_alu instid0(SALU_CYCLE_1)
	s_xor_b32 exec_lo, exec_lo, s17
	s_cbranch_execz .LBB18_346
.LBB18_553:
	v_add_f32_e64 v1, 0x42800000, |v0|
	s_and_not1_b32 s16, s16, exec_lo
	s_mov_b32 s18, 0
	s_delay_alu instid0(VALU_DEP_1) | instskip(NEXT) | instid1(VALU_DEP_1)
	v_and_b32_e32 v1, 0xff, v1
	v_cmp_ne_u32_e32 vcc_lo, 0, v1
	s_and_b32 s19, vcc_lo, exec_lo
	s_delay_alu instid0(SALU_CYCLE_1)
	s_or_b32 s16, s16, s19
	s_or_b32 exec_lo, exec_lo, s17
	v_mov_b32_e32 v5, s18
	s_and_saveexec_b32 s17, s16
	s_cbranch_execnz .LBB18_347
	s_branch .LBB18_348
.LBB18_554:
	s_mov_b32 s17, -1
	s_mov_b32 s0, 0
.LBB18_555:
                                        ; implicit-def: $vgpr2
.LBB18_556:
	s_and_b32 vcc_lo, exec_lo, s18
	s_cbranch_vccz .LBB18_560
; %bb.557:
	v_cmp_eq_u16_e32 vcc_lo, 44, v9
	s_cbranch_vccz .LBB18_559
; %bb.558:
	global_load_u8 v2, v[0:1], off
	s_mov_b32 s17, 0
	s_mov_b32 s0, -1
	s_waitcnt vmcnt(0)
	v_lshlrev_b32_e32 v3, 23, v2
	v_cmp_ne_u32_e32 vcc_lo, 0xff, v2
	s_delay_alu instid0(VALU_DEP_2) | instskip(SKIP_1) | instid1(VALU_DEP_2)
	v_cndmask_b32_e32 v3, 0x7f800001, v3, vcc_lo
	v_cmp_ne_u32_e32 vcc_lo, 0, v2
	v_cndmask_b32_e32 v2, 0x400000, v3, vcc_lo
	s_branch .LBB18_560
.LBB18_559:
	s_mov_b32 s17, -1
                                        ; implicit-def: $vgpr2
.LBB18_560:
	s_mov_b32 s18, 0
.LBB18_561:
	s_delay_alu instid0(SALU_CYCLE_1)
	s_and_b32 vcc_lo, exec_lo, s18
	s_cbranch_vccz .LBB18_565
; %bb.562:
	v_cmp_eq_u16_e32 vcc_lo, 29, v9
	s_cbranch_vccz .LBB18_564
; %bb.563:
	global_load_b64 v[2:3], v[0:1], off
	s_mov_b32 s0, -1
	s_mov_b32 s17, 0
	s_mov_b32 s18, 0
	s_waitcnt vmcnt(0)
	v_clz_i32_u32_e32 v4, v3
	s_delay_alu instid0(VALU_DEP_1) | instskip(NEXT) | instid1(VALU_DEP_1)
	v_min_u32_e32 v4, 32, v4
	v_lshlrev_b64 v[2:3], v4, v[2:3]
	s_delay_alu instid0(VALU_DEP_1) | instskip(NEXT) | instid1(VALU_DEP_1)
	v_min_u32_e32 v2, 1, v2
	v_or_b32_e32 v2, v3, v2
	v_sub_nc_u32_e32 v3, 32, v4
	s_delay_alu instid0(VALU_DEP_2) | instskip(NEXT) | instid1(VALU_DEP_1)
	v_cvt_f32_u32_e32 v2, v2
	v_ldexp_f32 v2, v2, v3
	s_branch .LBB18_566
.LBB18_564:
	s_mov_b32 s17, -1
                                        ; implicit-def: $vgpr2
.LBB18_565:
	s_mov_b32 s18, 0
.LBB18_566:
	s_delay_alu instid0(SALU_CYCLE_1)
	s_and_b32 vcc_lo, exec_lo, s18
	s_cbranch_vccz .LBB18_584
; %bb.567:
	v_cmp_gt_i16_e32 vcc_lo, 27, v9
	s_cbranch_vccnz .LBB18_570
; %bb.568:
	v_cmp_lt_i16_e32 vcc_lo, 27, v9
	s_cbranch_vccz .LBB18_571
; %bb.569:
	global_load_b32 v2, v[0:1], off
	s_mov_b32 s0, 0
	s_waitcnt vmcnt(0)
	v_cvt_f32_u32_e32 v2, v2
	s_branch .LBB18_572
.LBB18_570:
	s_mov_b32 s0, -1
                                        ; implicit-def: $vgpr2
	s_branch .LBB18_575
.LBB18_571:
	s_mov_b32 s0, -1
                                        ; implicit-def: $vgpr2
.LBB18_572:
	s_delay_alu instid0(SALU_CYCLE_1)
	s_and_not1_b32 vcc_lo, exec_lo, s0
	s_cbranch_vccnz .LBB18_574
; %bb.573:
	global_load_u16 v2, v[0:1], off
	s_waitcnt vmcnt(0)
	v_cvt_f32_u32_e32 v2, v2
.LBB18_574:
	s_mov_b32 s0, 0
.LBB18_575:
	s_delay_alu instid0(SALU_CYCLE_1)
	s_and_not1_b32 vcc_lo, exec_lo, s0
	s_cbranch_vccnz .LBB18_583
; %bb.576:
	global_load_u8 v3, v[0:1], off
	s_mov_b32 s0, 0
	s_mov_b32 s19, exec_lo
                                        ; implicit-def: $sgpr18
	s_waitcnt vmcnt(0)
	v_cmpx_lt_i16_e32 0x7f, v3
	s_xor_b32 s19, exec_lo, s19
	s_cbranch_execz .LBB18_597
; %bb.577:
	s_mov_b32 s0, -1
	s_mov_b32 s20, exec_lo
                                        ; implicit-def: $sgpr18
	v_cmpx_eq_u16_e32 0x80, v3
; %bb.578:
	s_mov_b32 s18, 0x7f800001
	s_xor_b32 s0, exec_lo, -1
; %bb.579:
	s_or_b32 exec_lo, exec_lo, s20
	s_delay_alu instid0(SALU_CYCLE_1)
	s_and_b32 s0, s0, exec_lo
	s_or_saveexec_b32 s19, s19
	v_mov_b32_e32 v2, s18
	s_xor_b32 exec_lo, exec_lo, s19
	s_cbranch_execnz .LBB18_598
.LBB18_580:
	s_or_b32 exec_lo, exec_lo, s19
	s_and_saveexec_b32 s18, s0
	s_cbranch_execz .LBB18_582
.LBB18_581:
	v_and_b32_e32 v2, 0xffff, v3
	s_delay_alu instid0(VALU_DEP_1) | instskip(NEXT) | instid1(VALU_DEP_1)
	v_and_b32_e32 v4, 7, v2
	v_clz_i32_u32_e32 v5, v4
	s_delay_alu instid0(VALU_DEP_1) | instskip(NEXT) | instid1(VALU_DEP_1)
	v_min_u32_e32 v5, 32, v5
	v_subrev_nc_u32_e32 v6, 28, v5
	v_sub_nc_u32_e32 v5, 29, v5
	s_delay_alu instid0(VALU_DEP_2) | instskip(SKIP_1) | instid1(VALU_DEP_2)
	v_lshlrev_b32_e32 v6, v6, v2
	v_bfe_u32 v2, v2, 3, 4
	v_and_b32_e32 v6, 7, v6
	s_delay_alu instid0(VALU_DEP_2) | instskip(SKIP_1) | instid1(VALU_DEP_1)
	v_cmp_eq_u32_e32 vcc_lo, 0, v2
	v_dual_cndmask_b32 v2, v2, v5 :: v_dual_lshlrev_b32 v3, 24, v3
	v_dual_cndmask_b32 v4, v4, v6 :: v_dual_and_b32 v3, 0x80000000, v3
	s_delay_alu instid0(VALU_DEP_2) | instskip(NEXT) | instid1(VALU_DEP_2)
	v_lshl_add_u32 v2, v2, 23, 0x3b800000
	v_lshlrev_b32_e32 v4, 20, v4
	s_delay_alu instid0(VALU_DEP_1)
	v_or3_b32 v2, v3, v2, v4
.LBB18_582:
	s_or_b32 exec_lo, exec_lo, s18
.LBB18_583:
	s_mov_b32 s0, -1
.LBB18_584:
	s_mov_b32 s18, 0
.LBB18_585:
	s_delay_alu instid0(SALU_CYCLE_1)
	s_and_b32 vcc_lo, exec_lo, s18
	s_cbranch_vccz .LBB18_620
; %bb.586:
	v_cmp_lt_i16_e32 vcc_lo, 22, v9
	s_cbranch_vccz .LBB18_596
; %bb.587:
	v_cmp_gt_i16_e32 vcc_lo, 24, v9
	s_cbranch_vccnz .LBB18_599
; %bb.588:
	v_cmp_lt_i16_e32 vcc_lo, 24, v9
	s_cbranch_vccz .LBB18_600
; %bb.589:
	global_load_u8 v3, v[0:1], off
	s_mov_b32 s0, 0
	s_mov_b32 s19, exec_lo
                                        ; implicit-def: $sgpr18
	s_waitcnt vmcnt(0)
	v_cmpx_lt_i16_e32 0x7f, v3
	s_xor_b32 s19, exec_lo, s19
	s_cbranch_execz .LBB18_612
; %bb.590:
	s_mov_b32 s0, -1
	s_mov_b32 s20, exec_lo
                                        ; implicit-def: $sgpr18
	v_cmpx_eq_u16_e32 0x80, v3
; %bb.591:
	s_mov_b32 s18, 0x7f800001
	s_xor_b32 s0, exec_lo, -1
; %bb.592:
	s_or_b32 exec_lo, exec_lo, s20
	s_delay_alu instid0(SALU_CYCLE_1)
	s_and_b32 s0, s0, exec_lo
	s_or_saveexec_b32 s19, s19
	v_mov_b32_e32 v2, s18
	s_xor_b32 exec_lo, exec_lo, s19
	s_cbranch_execnz .LBB18_613
.LBB18_593:
	s_or_b32 exec_lo, exec_lo, s19
	s_and_saveexec_b32 s18, s0
	s_cbranch_execz .LBB18_595
.LBB18_594:
	v_and_b32_e32 v2, 0xffff, v3
	s_delay_alu instid0(VALU_DEP_1) | instskip(NEXT) | instid1(VALU_DEP_1)
	v_and_b32_e32 v4, 3, v2
	v_clz_i32_u32_e32 v5, v4
	s_delay_alu instid0(VALU_DEP_1) | instskip(NEXT) | instid1(VALU_DEP_1)
	v_min_u32_e32 v5, 32, v5
	v_subrev_nc_u32_e32 v6, 29, v5
	v_sub_nc_u32_e32 v5, 30, v5
	s_delay_alu instid0(VALU_DEP_2) | instskip(SKIP_1) | instid1(VALU_DEP_2)
	v_lshlrev_b32_e32 v6, v6, v2
	v_bfe_u32 v2, v2, 2, 5
	v_and_b32_e32 v6, 3, v6
	s_delay_alu instid0(VALU_DEP_2) | instskip(SKIP_1) | instid1(VALU_DEP_1)
	v_cmp_eq_u32_e32 vcc_lo, 0, v2
	v_dual_cndmask_b32 v2, v2, v5 :: v_dual_lshlrev_b32 v3, 24, v3
	v_dual_cndmask_b32 v4, v4, v6 :: v_dual_and_b32 v3, 0x80000000, v3
	s_delay_alu instid0(VALU_DEP_2) | instskip(NEXT) | instid1(VALU_DEP_2)
	v_lshl_add_u32 v2, v2, 23, 0x37800000
	v_lshlrev_b32_e32 v4, 21, v4
	s_delay_alu instid0(VALU_DEP_1)
	v_or3_b32 v2, v3, v2, v4
.LBB18_595:
	s_or_b32 exec_lo, exec_lo, s18
	s_mov_b32 s0, 0
	s_branch .LBB18_601
.LBB18_596:
	s_mov_b32 s18, -1
                                        ; implicit-def: $vgpr2
	s_branch .LBB18_607
.LBB18_597:
	s_or_saveexec_b32 s19, s19
	v_mov_b32_e32 v2, s18
	s_xor_b32 exec_lo, exec_lo, s19
	s_cbranch_execz .LBB18_580
.LBB18_598:
	v_cmp_ne_u16_e32 vcc_lo, 0, v3
	v_mov_b32_e32 v2, 0
	s_and_not1_b32 s0, s0, exec_lo
	s_and_b32 s18, vcc_lo, exec_lo
	s_delay_alu instid0(SALU_CYCLE_1)
	s_or_b32 s0, s0, s18
	s_or_b32 exec_lo, exec_lo, s19
	s_and_saveexec_b32 s18, s0
	s_cbranch_execnz .LBB18_581
	s_branch .LBB18_582
.LBB18_599:
	s_mov_b32 s0, -1
                                        ; implicit-def: $vgpr2
	s_branch .LBB18_604
.LBB18_600:
	s_mov_b32 s0, -1
                                        ; implicit-def: $vgpr2
.LBB18_601:
	s_delay_alu instid0(SALU_CYCLE_1)
	s_and_b32 vcc_lo, exec_lo, s0
	s_cbranch_vccz .LBB18_603
; %bb.602:
	global_load_u8 v2, v[0:1], off
	s_waitcnt vmcnt(0)
	v_lshlrev_b32_e32 v2, 24, v2
	s_delay_alu instid0(VALU_DEP_1) | instskip(NEXT) | instid1(VALU_DEP_1)
	v_and_b32_e32 v3, 0x7f000000, v2
	v_clz_i32_u32_e32 v4, v3
	v_add_nc_u32_e32 v6, 0x1000000, v3
	v_cmp_ne_u32_e32 vcc_lo, 0, v3
	s_delay_alu instid0(VALU_DEP_3) | instskip(NEXT) | instid1(VALU_DEP_1)
	v_min_u32_e32 v4, 32, v4
	v_sub_nc_u32_e64 v4, v4, 4 clamp
	s_delay_alu instid0(VALU_DEP_1) | instskip(SKIP_1) | instid1(VALU_DEP_2)
	v_lshlrev_b32_e32 v5, v4, v3
	v_lshlrev_b32_e32 v4, 23, v4
	v_lshrrev_b32_e32 v5, 4, v5
	s_delay_alu instid0(VALU_DEP_1) | instskip(SKIP_1) | instid1(VALU_DEP_2)
	v_sub_nc_u32_e32 v4, v5, v4
	v_ashrrev_i32_e32 v5, 8, v6
	v_add_nc_u32_e32 v4, 0x3c000000, v4
	s_delay_alu instid0(VALU_DEP_1) | instskip(NEXT) | instid1(VALU_DEP_1)
	v_and_or_b32 v4, 0x7f800000, v5, v4
	v_cndmask_b32_e32 v3, 0, v4, vcc_lo
	s_delay_alu instid0(VALU_DEP_1)
	v_and_or_b32 v2, 0x80000000, v2, v3
.LBB18_603:
	s_mov_b32 s0, 0
.LBB18_604:
	s_delay_alu instid0(SALU_CYCLE_1)
	s_and_not1_b32 vcc_lo, exec_lo, s0
	s_cbranch_vccnz .LBB18_606
; %bb.605:
	global_load_u8 v2, v[0:1], off
	s_waitcnt vmcnt(0)
	v_lshlrev_b32_e32 v3, 25, v2
	v_lshlrev_b16 v2, 8, v2
	s_delay_alu instid0(VALU_DEP_2) | instskip(NEXT) | instid1(VALU_DEP_2)
	v_lshrrev_b32_e32 v4, 4, v3
	v_and_or_b32 v5, 0x7f00, v2, 0.5
	v_bfe_i32 v2, v2, 0, 16
	s_delay_alu instid0(VALU_DEP_3) | instskip(NEXT) | instid1(VALU_DEP_1)
	v_or_b32_e32 v4, 0x70000000, v4
	v_dual_add_f32 v5, -0.5, v5 :: v_dual_mul_f32 v4, 0x7800000, v4
	v_cmp_gt_u32_e32 vcc_lo, 0x8000000, v3
	s_delay_alu instid0(VALU_DEP_2) | instskip(NEXT) | instid1(VALU_DEP_1)
	v_cndmask_b32_e32 v3, v4, v5, vcc_lo
	v_and_or_b32 v2, 0x80000000, v2, v3
.LBB18_606:
	s_mov_b32 s18, 0
	s_mov_b32 s0, -1
.LBB18_607:
	s_and_not1_b32 vcc_lo, exec_lo, s18
	s_cbranch_vccnz .LBB18_620
; %bb.608:
	v_cmp_lt_i16_e32 vcc_lo, 14, v9
	s_cbranch_vccz .LBB18_611
; %bb.609:
	v_cmp_eq_u16_e32 vcc_lo, 15, v9
	s_cbranch_vccz .LBB18_614
; %bb.610:
	global_load_u16 v2, v[0:1], off
	s_mov_b32 s0, -1
	s_mov_b32 s17, 0
	s_waitcnt vmcnt(0)
	v_lshlrev_b32_e32 v2, 16, v2
	s_branch .LBB18_615
.LBB18_611:
	s_mov_b32 s18, -1
                                        ; implicit-def: $vgpr2
	s_branch .LBB18_616
.LBB18_612:
	s_or_saveexec_b32 s19, s19
	v_mov_b32_e32 v2, s18
	s_xor_b32 exec_lo, exec_lo, s19
	s_cbranch_execz .LBB18_593
.LBB18_613:
	v_cmp_ne_u16_e32 vcc_lo, 0, v3
	v_mov_b32_e32 v2, 0
	s_and_not1_b32 s0, s0, exec_lo
	s_and_b32 s18, vcc_lo, exec_lo
	s_delay_alu instid0(SALU_CYCLE_1)
	s_or_b32 s0, s0, s18
	s_or_b32 exec_lo, exec_lo, s19
	s_and_saveexec_b32 s18, s0
	s_cbranch_execnz .LBB18_594
	s_branch .LBB18_595
.LBB18_614:
	s_mov_b32 s17, -1
                                        ; implicit-def: $vgpr2
.LBB18_615:
	s_mov_b32 s18, 0
.LBB18_616:
	s_delay_alu instid0(SALU_CYCLE_1)
	s_and_b32 vcc_lo, exec_lo, s18
	s_cbranch_vccz .LBB18_620
; %bb.617:
	v_cmp_eq_u16_e32 vcc_lo, 11, v9
	s_cbranch_vccz .LBB18_619
; %bb.618:
	global_load_u8 v2, v[0:1], off
	s_mov_b32 s17, 0
	s_mov_b32 s0, -1
	s_waitcnt vmcnt(0)
	v_cmp_ne_u16_e32 vcc_lo, 0, v2
	v_cndmask_b32_e64 v2, 0, 1.0, vcc_lo
	s_branch .LBB18_620
.LBB18_619:
	s_mov_b32 s17, -1
                                        ; implicit-def: $vgpr2
.LBB18_620:
	s_mov_b32 s18, 0
.LBB18_621:
	s_delay_alu instid0(SALU_CYCLE_1)
	s_and_b32 vcc_lo, exec_lo, s18
	s_cbranch_vccz .LBB18_670
; %bb.622:
	v_cmp_gt_i16_e32 vcc_lo, 5, v9
	s_cbranch_vccnz .LBB18_627
; %bb.623:
	v_cmp_gt_i16_e32 vcc_lo, 8, v9
	s_cbranch_vccnz .LBB18_628
	;; [unrolled: 3-line block ×3, first 2 shown]
; %bb.625:
	v_cmp_lt_i16_e32 vcc_lo, 9, v9
	s_cbranch_vccz .LBB18_630
; %bb.626:
	global_load_b64 v[2:3], v[0:1], off
	s_mov_b32 s0, 0
	s_waitcnt vmcnt(0)
	v_cvt_f32_f64_e32 v2, v[2:3]
	s_branch .LBB18_631
.LBB18_627:
	s_mov_b32 s0, -1
                                        ; implicit-def: $vgpr2
	s_branch .LBB18_649
.LBB18_628:
	s_mov_b32 s0, -1
                                        ; implicit-def: $vgpr2
	s_branch .LBB18_637
.LBB18_629:
	s_mov_b32 s0, -1
                                        ; implicit-def: $vgpr2
	s_branch .LBB18_634
.LBB18_630:
	s_mov_b32 s0, -1
                                        ; implicit-def: $vgpr2
.LBB18_631:
	s_delay_alu instid0(SALU_CYCLE_1)
	s_and_not1_b32 vcc_lo, exec_lo, s0
	s_cbranch_vccnz .LBB18_633
; %bb.632:
	global_load_b32 v2, v[0:1], off
.LBB18_633:
	s_mov_b32 s0, 0
.LBB18_634:
	s_delay_alu instid0(SALU_CYCLE_1)
	s_and_not1_b32 vcc_lo, exec_lo, s0
	s_cbranch_vccnz .LBB18_636
; %bb.635:
	global_load_b32 v2, v[0:1], off
	s_waitcnt vmcnt(0)
	v_cvt_f32_f16_e32 v2, v2
.LBB18_636:
	s_mov_b32 s0, 0
.LBB18_637:
	s_delay_alu instid0(SALU_CYCLE_1)
	s_and_not1_b32 vcc_lo, exec_lo, s0
	s_cbranch_vccnz .LBB18_648
; %bb.638:
	v_cmp_gt_i16_e32 vcc_lo, 6, v9
	s_cbranch_vccnz .LBB18_641
; %bb.639:
	v_cmp_lt_i16_e32 vcc_lo, 6, v9
	s_cbranch_vccz .LBB18_642
; %bb.640:
	global_load_b64 v[2:3], v[0:1], off
	s_mov_b32 s0, 0
	s_waitcnt vmcnt(0)
	v_cvt_f32_f64_e32 v2, v[2:3]
	s_branch .LBB18_643
.LBB18_641:
	s_mov_b32 s0, -1
                                        ; implicit-def: $vgpr2
	s_branch .LBB18_646
.LBB18_642:
	s_mov_b32 s0, -1
                                        ; implicit-def: $vgpr2
.LBB18_643:
	s_delay_alu instid0(SALU_CYCLE_1)
	s_and_not1_b32 vcc_lo, exec_lo, s0
	s_cbranch_vccnz .LBB18_645
; %bb.644:
	global_load_b32 v2, v[0:1], off
.LBB18_645:
	s_mov_b32 s0, 0
.LBB18_646:
	s_delay_alu instid0(SALU_CYCLE_1)
	s_and_not1_b32 vcc_lo, exec_lo, s0
	s_cbranch_vccnz .LBB18_648
; %bb.647:
	global_load_u16 v2, v[0:1], off
	s_waitcnt vmcnt(0)
	v_cvt_f32_f16_e32 v2, v2
.LBB18_648:
	s_mov_b32 s0, 0
.LBB18_649:
	s_delay_alu instid0(SALU_CYCLE_1)
	s_and_not1_b32 vcc_lo, exec_lo, s0
	s_cbranch_vccnz .LBB18_669
; %bb.650:
	v_cmp_gt_i16_e32 vcc_lo, 2, v9
	s_cbranch_vccnz .LBB18_654
; %bb.651:
	v_cmp_gt_i16_e32 vcc_lo, 3, v9
	s_cbranch_vccnz .LBB18_655
; %bb.652:
	v_cmp_lt_i16_e32 vcc_lo, 3, v9
	s_cbranch_vccz .LBB18_656
; %bb.653:
	global_load_b64 v[2:3], v[0:1], off
	s_mov_b32 s0, 0
	s_waitcnt vmcnt(0)
	v_xor_b32_e32 v4, v2, v3
	v_cls_i32_e32 v5, v3
	s_delay_alu instid0(VALU_DEP_2) | instskip(NEXT) | instid1(VALU_DEP_2)
	v_ashrrev_i32_e32 v4, 31, v4
	v_add_nc_u32_e32 v5, -1, v5
	s_delay_alu instid0(VALU_DEP_2) | instskip(NEXT) | instid1(VALU_DEP_1)
	v_add_nc_u32_e32 v4, 32, v4
	v_min_u32_e32 v4, v5, v4
	s_delay_alu instid0(VALU_DEP_1) | instskip(NEXT) | instid1(VALU_DEP_1)
	v_lshlrev_b64 v[2:3], v4, v[2:3]
	v_min_u32_e32 v2, 1, v2
	s_delay_alu instid0(VALU_DEP_1) | instskip(SKIP_1) | instid1(VALU_DEP_2)
	v_or_b32_e32 v2, v3, v2
	v_sub_nc_u32_e32 v3, 32, v4
	v_cvt_f32_i32_e32 v2, v2
	s_delay_alu instid0(VALU_DEP_1)
	v_ldexp_f32 v2, v2, v3
	s_branch .LBB18_657
.LBB18_654:
	s_mov_b32 s0, -1
                                        ; implicit-def: $vgpr2
	s_branch .LBB18_663
.LBB18_655:
	s_mov_b32 s0, -1
                                        ; implicit-def: $vgpr2
	s_branch .LBB18_660
.LBB18_656:
	s_mov_b32 s0, -1
                                        ; implicit-def: $vgpr2
.LBB18_657:
	s_delay_alu instid0(SALU_CYCLE_1)
	s_and_not1_b32 vcc_lo, exec_lo, s0
	s_cbranch_vccnz .LBB18_659
; %bb.658:
	global_load_b32 v2, v[0:1], off
	s_waitcnt vmcnt(0)
	v_cvt_f32_i32_e32 v2, v2
.LBB18_659:
	s_mov_b32 s0, 0
.LBB18_660:
	s_delay_alu instid0(SALU_CYCLE_1)
	s_and_not1_b32 vcc_lo, exec_lo, s0
	s_cbranch_vccnz .LBB18_662
; %bb.661:
	global_load_i16 v2, v[0:1], off
	s_waitcnt vmcnt(0)
	v_cvt_f32_i32_e32 v2, v2
.LBB18_662:
	s_mov_b32 s0, 0
.LBB18_663:
	s_delay_alu instid0(SALU_CYCLE_1)
	s_and_not1_b32 vcc_lo, exec_lo, s0
	s_cbranch_vccnz .LBB18_669
; %bb.664:
	v_cmp_lt_i16_e32 vcc_lo, 0, v9
	s_mov_b32 s0, 0
	s_cbranch_vccz .LBB18_666
; %bb.665:
	global_load_i8 v2, v[0:1], off
	s_waitcnt vmcnt(0)
	v_cvt_f32_i32_e32 v2, v2
	s_branch .LBB18_667
.LBB18_666:
	s_mov_b32 s0, -1
                                        ; implicit-def: $vgpr2
.LBB18_667:
	s_delay_alu instid0(SALU_CYCLE_1)
	s_and_not1_b32 vcc_lo, exec_lo, s0
	s_cbranch_vccnz .LBB18_669
; %bb.668:
	global_load_u8 v0, v[0:1], off
	s_waitcnt vmcnt(0)
	v_cvt_f32_ubyte0_e32 v2, v0
.LBB18_669:
	s_mov_b32 s0, -1
.LBB18_670:
	s_delay_alu instid0(SALU_CYCLE_1)
	s_and_not1_b32 vcc_lo, exec_lo, s0
	s_cbranch_vccnz .LBB18_690
; %bb.671:
	s_waitcnt vmcnt(0)
	s_delay_alu instid0(VALU_DEP_1) | instskip(NEXT) | instid1(VALU_DEP_1)
	v_cmp_ge_f32_e64 s0, 0x41000000, |v2|
                                        ; implicit-def: $vgpr0
	s_and_saveexec_b32 s18, s0
	s_delay_alu instid0(SALU_CYCLE_1)
	s_xor_b32 s0, exec_lo, s18
	s_cbranch_execz .LBB18_677
; %bb.672:
	v_fma_f32 v0, |v2|, 0.5, -2.0
	s_mov_b32 s18, 0x224cf950
	s_delay_alu instid0(VALU_DEP_1) | instid1(SALU_CYCLE_1)
	v_fmaak_f32 v1, s18, v0, 0xa3c2be86
	s_mov_b32 s18, exec_lo
	s_delay_alu instid0(VALU_DEP_1) | instskip(NEXT) | instid1(VALU_DEP_1)
	v_fmaak_f32 v3, v0, v1, 0xa24cf950
	v_add_f32_e32 v3, 0x25331f1f, v3
	s_delay_alu instid0(VALU_DEP_1) | instskip(NEXT) | instid1(VALU_DEP_1)
	v_fma_f32 v1, v0, v3, -v1
	v_add_f32_e32 v1, 0xa69f5554, v1
	s_delay_alu instid0(VALU_DEP_1) | instskip(NEXT) | instid1(VALU_DEP_1)
	v_fma_f32 v3, v0, v1, -v3
	;; [unrolled: 3-line block ×26, first 2 shown]
	v_add_f32_e32 v0, 0x3e81531c, v0
	s_delay_alu instid0(VALU_DEP_1)
	v_sub_f32_e32 v1, v0, v3
                                        ; implicit-def: $vgpr0
	v_cmpx_ngt_f32_e32 0, v2
	s_xor_b32 s18, exec_lo, s18
	s_cbranch_execz .LBB18_674
; %bb.673:
	v_mul_f32_e64 v0, 0x3fb8aa3b, |v2|
	v_cmp_ngt_f32_e64 vcc_lo, 0xc2ce8ed0, |v2|
	v_mul_f32_e32 v1, 0.5, v1
	s_delay_alu instid0(VALU_DEP_3) | instskip(SKIP_1) | instid1(VALU_DEP_3)
	v_rndne_f32_e32 v3, v0
	v_fma_f32 v4, 0x3fb8aa3b, |v2|, -v0
	v_mul_f32_e64 v1, |v2|, v1
	s_delay_alu instid0(VALU_DEP_3) | instskip(NEXT) | instid1(VALU_DEP_3)
	v_sub_f32_e32 v0, v0, v3
	v_fma_f32 v4, 0x32a5705f, |v2|, v4
	v_cvt_i32_f32_e32 v3, v3
	s_delay_alu instid0(VALU_DEP_2) | instskip(NEXT) | instid1(VALU_DEP_1)
	v_add_f32_e32 v0, v0, v4
	v_exp_f32_e32 v0, v0
	s_waitcnt_depctr 0xfff
	v_ldexp_f32 v0, v0, v3
	s_delay_alu instid0(VALU_DEP_1) | instskip(SKIP_1) | instid1(VALU_DEP_2)
	v_cndmask_b32_e32 v0, 0, v0, vcc_lo
	v_cmp_nlt_f32_e64 vcc_lo, 0x42b17218, |v2|
                                        ; implicit-def: $vgpr2
	v_cndmask_b32_e32 v0, 0x7f800000, v0, vcc_lo
	s_delay_alu instid0(VALU_DEP_1)
	v_mul_f32_e32 v0, v0, v1
                                        ; implicit-def: $vgpr1
.LBB18_674:
	s_and_not1_saveexec_b32 s18, s18
	s_cbranch_execz .LBB18_676
; %bb.675:
	v_mul_f32_e64 v0, 0x3fb8aa3b, |v2|
	v_cmp_ngt_f32_e64 vcc_lo, 0xc2ce8ed0, |v2|
	v_mul_f32_e32 v1, -0.5, v1
	s_delay_alu instid0(VALU_DEP_3) | instskip(SKIP_1) | instid1(VALU_DEP_3)
	v_rndne_f32_e32 v3, v0
	v_fma_f32 v4, 0x3fb8aa3b, |v2|, -v0
	v_mul_f32_e64 v1, |v2|, v1
	s_delay_alu instid0(VALU_DEP_3) | instskip(NEXT) | instid1(VALU_DEP_3)
	v_sub_f32_e32 v0, v0, v3
	v_fma_f32 v4, 0x32a5705f, |v2|, v4
	v_cvt_i32_f32_e32 v3, v3
	s_delay_alu instid0(VALU_DEP_2) | instskip(NEXT) | instid1(VALU_DEP_1)
	v_add_f32_e32 v0, v0, v4
	v_exp_f32_e32 v0, v0
	s_waitcnt_depctr 0xfff
	v_ldexp_f32 v0, v0, v3
	s_delay_alu instid0(VALU_DEP_1) | instskip(SKIP_1) | instid1(VALU_DEP_2)
	v_cndmask_b32_e32 v0, 0, v0, vcc_lo
	v_cmp_nlt_f32_e64 vcc_lo, 0x42b17218, |v2|
	v_cndmask_b32_e32 v0, 0x7f800000, v0, vcc_lo
	s_delay_alu instid0(VALU_DEP_1)
	v_mul_f32_e32 v0, v0, v1
.LBB18_676:
	s_or_b32 exec_lo, exec_lo, s18
                                        ; implicit-def: $vgpr2
.LBB18_677:
	s_and_not1_saveexec_b32 s18, s0
	s_cbranch_execz .LBB18_683
; %bb.678:
	v_and_b32_e32 v0, 0x7fffffff, v2
	s_mov_b32 s0, 0x230aab6e
	s_delay_alu instid0(VALU_DEP_1) | instskip(NEXT) | instid1(VALU_DEP_1)
	v_div_scale_f32 v1, null, v0, v0, 0x42000000
	v_rcp_f32_e32 v3, v1
	s_waitcnt_depctr 0xfff
	v_fma_f32 v4, -v1, v3, 1.0
	s_delay_alu instid0(VALU_DEP_1) | instskip(SKIP_1) | instid1(VALU_DEP_1)
	v_fmac_f32_e32 v3, v4, v3
	v_div_scale_f32 v0, vcc_lo, 0x42000000, v0, 0x42000000
	v_mul_f32_e32 v4, v0, v3
	s_delay_alu instid0(VALU_DEP_1) | instskip(NEXT) | instid1(VALU_DEP_1)
	v_fma_f32 v5, -v1, v4, v0
	v_fmac_f32_e32 v4, v5, v3
	s_delay_alu instid0(VALU_DEP_1) | instskip(NEXT) | instid1(VALU_DEP_1)
	v_fma_f32 v0, -v1, v4, v0
	v_div_fmas_f32 v0, v0, v3, v4
	v_mul_f32_e64 v4, 0x3fb8aa3b, |v2|
	v_cmp_ngt_f32_e64 vcc_lo, 0xc2ce8ed0, |v2|
	s_delay_alu instid0(VALU_DEP_3) | instskip(NEXT) | instid1(VALU_DEP_3)
	v_div_fixup_f32 v0, v0, |v2|, 0x42000000
	v_rndne_f32_e32 v5, v4
	v_fma_f32 v6, 0x3fb8aa3b, |v2|, -v4
	s_delay_alu instid0(VALU_DEP_3) | instskip(NEXT) | instid1(VALU_DEP_3)
	v_add_f32_e32 v0, -2.0, v0
	v_sub_f32_e32 v4, v4, v5
	s_delay_alu instid0(VALU_DEP_3) | instskip(SKIP_1) | instid1(VALU_DEP_4)
	v_fma_f32 v6, 0x32a5705f, |v2|, v6
	v_cvt_i32_f32_e32 v5, v5
	v_fmaak_f32 v1, s0, v0, 0x22a2dc57
	v_cmp_nlt_f32_e64 s0, 0x42b17218, |v2|
	s_delay_alu instid0(VALU_DEP_4) | instskip(NEXT) | instid1(VALU_DEP_3)
	v_add_f32_e32 v4, v4, v6
	v_fmaak_f32 v3, v0, v1, 0xa30aab6e
	s_delay_alu instid0(VALU_DEP_2) | instskip(NEXT) | instid1(VALU_DEP_1)
	v_exp_f32_e32 v4, v4
	v_add_f32_e32 v3, 0xa456751e, v3
	s_delay_alu instid0(VALU_DEP_1) | instskip(NEXT) | instid1(VALU_DEP_1)
	v_fma_f32 v1, v0, v3, -v1
	v_add_f32_e32 v1, 0xa4140365, v1
	s_delay_alu instid0(VALU_DEP_1) | instskip(NEXT) | instid1(VALU_DEP_1)
	v_fma_f32 v3, v0, v1, -v3
	;; [unrolled: 3-line block ×21, first 2 shown]
	v_add_f32_e32 v1, 0xbc1fed03, v1
	s_delay_alu instid0(VALU_DEP_1) | instskip(SKIP_2) | instid1(VALU_DEP_2)
	v_fma_f32 v0, v0, v1, -v3
	v_ldexp_f32 v1, v4, v5
	v_mul_f32_e64 v4, 0x4f800000, |v2|
	v_dual_add_f32 v0, 0x3f4750c6, v0 :: v_dual_cndmask_b32 v1, 0, v1
	s_delay_alu instid0(VALU_DEP_1) | instskip(NEXT) | instid1(VALU_DEP_2)
	v_sub_f32_e32 v0, v0, v3
	v_cndmask_b32_e64 v1, 0x7f800000, v1, s0
	s_mov_b32 s0, exec_lo
	s_delay_alu instid0(VALU_DEP_2)
	v_mul_f32_e32 v3, 0.5, v0
                                        ; implicit-def: $vgpr0
	v_cmpx_ngt_f32_e32 0, v2
	s_xor_b32 s19, exec_lo, s0
	s_cbranch_execz .LBB18_680
; %bb.679:
	v_cmp_gt_f32_e64 vcc_lo, 0xf800000, |v2|
	v_mul_f32_e32 v1, v1, v3
	s_delay_alu instid0(VALU_DEP_2) | instskip(NEXT) | instid1(VALU_DEP_1)
	v_cndmask_b32_e64 v0, |v2|, v4, vcc_lo
	v_sqrt_f32_e32 v2, v0
	s_waitcnt_depctr 0xfff
	v_add_nc_u32_e32 v4, -1, v2
	v_add_nc_u32_e32 v5, 1, v2
	s_delay_alu instid0(VALU_DEP_2) | instskip(NEXT) | instid1(VALU_DEP_2)
	v_fma_f32 v6, -v4, v2, v0
	v_fma_f32 v10, -v5, v2, v0
	s_delay_alu instid0(VALU_DEP_2) | instskip(NEXT) | instid1(VALU_DEP_1)
	v_cmp_ge_f32_e64 s0, 0, v6
	v_cndmask_b32_e64 v2, v2, v4, s0
	s_delay_alu instid0(VALU_DEP_3) | instskip(NEXT) | instid1(VALU_DEP_1)
	v_cmp_lt_f32_e64 s0, 0, v10
	v_cndmask_b32_e64 v2, v2, v5, s0
	s_delay_alu instid0(VALU_DEP_1) | instskip(NEXT) | instid1(VALU_DEP_1)
	v_mul_f32_e32 v4, 0x37800000, v2
	v_cndmask_b32_e32 v2, v2, v4, vcc_lo
	v_cmp_class_f32_e64 vcc_lo, v0, 0x260
	s_delay_alu instid0(VALU_DEP_2) | instskip(NEXT) | instid1(VALU_DEP_1)
	v_cndmask_b32_e32 v0, v2, v0, vcc_lo
	v_div_scale_f32 v2, null, v0, v0, v1
	s_delay_alu instid0(VALU_DEP_1) | instskip(SKIP_2) | instid1(VALU_DEP_1)
	v_rcp_f32_e32 v3, v2
	s_waitcnt_depctr 0xfff
	v_fma_f32 v4, -v2, v3, 1.0
	v_fmac_f32_e32 v3, v4, v3
	v_div_scale_f32 v4, vcc_lo, v1, v0, v1
	s_delay_alu instid0(VALU_DEP_1) | instskip(NEXT) | instid1(VALU_DEP_1)
	v_mul_f32_e32 v5, v4, v3
	v_fma_f32 v6, -v2, v5, v4
	s_delay_alu instid0(VALU_DEP_1) | instskip(NEXT) | instid1(VALU_DEP_1)
	v_fmac_f32_e32 v5, v6, v3
	v_fma_f32 v2, -v2, v5, v4
                                        ; implicit-def: $vgpr4
	s_delay_alu instid0(VALU_DEP_1) | instskip(NEXT) | instid1(VALU_DEP_1)
	v_div_fmas_f32 v2, v2, v3, v5
                                        ; implicit-def: $vgpr3
	v_div_fixup_f32 v0, v2, v0, v1
                                        ; implicit-def: $vgpr2
                                        ; implicit-def: $vgpr1
.LBB18_680:
	s_and_not1_saveexec_b32 s19, s19
	s_cbranch_execz .LBB18_682
; %bb.681:
	v_cmp_gt_f32_e64 vcc_lo, 0xf800000, |v2|
	v_mul_f32_e64 v1, v3, -v1
	s_delay_alu instid0(VALU_DEP_2) | instskip(NEXT) | instid1(VALU_DEP_1)
	v_cndmask_b32_e64 v0, |v2|, v4, vcc_lo
	v_sqrt_f32_e32 v2, v0
	s_waitcnt_depctr 0xfff
	v_add_nc_u32_e32 v4, -1, v2
	v_add_nc_u32_e32 v5, 1, v2
	s_delay_alu instid0(VALU_DEP_2) | instskip(NEXT) | instid1(VALU_DEP_2)
	v_fma_f32 v6, -v4, v2, v0
	v_fma_f32 v10, -v5, v2, v0
	s_delay_alu instid0(VALU_DEP_2) | instskip(NEXT) | instid1(VALU_DEP_1)
	v_cmp_ge_f32_e64 s0, 0, v6
	v_cndmask_b32_e64 v2, v2, v4, s0
	s_delay_alu instid0(VALU_DEP_3) | instskip(NEXT) | instid1(VALU_DEP_1)
	v_cmp_lt_f32_e64 s0, 0, v10
	v_cndmask_b32_e64 v2, v2, v5, s0
	s_delay_alu instid0(VALU_DEP_1) | instskip(NEXT) | instid1(VALU_DEP_1)
	v_mul_f32_e32 v4, 0x37800000, v2
	v_cndmask_b32_e32 v2, v2, v4, vcc_lo
	v_cmp_class_f32_e64 vcc_lo, v0, 0x260
	s_delay_alu instid0(VALU_DEP_2) | instskip(NEXT) | instid1(VALU_DEP_1)
	v_cndmask_b32_e32 v0, v2, v0, vcc_lo
	v_div_scale_f32 v2, null, v0, v0, v1
	s_delay_alu instid0(VALU_DEP_1) | instskip(SKIP_2) | instid1(VALU_DEP_1)
	v_rcp_f32_e32 v3, v2
	s_waitcnt_depctr 0xfff
	v_fma_f32 v4, -v2, v3, 1.0
	v_fmac_f32_e32 v3, v4, v3
	v_div_scale_f32 v4, vcc_lo, v1, v0, v1
	s_delay_alu instid0(VALU_DEP_1) | instskip(NEXT) | instid1(VALU_DEP_1)
	v_mul_f32_e32 v5, v4, v3
	v_fma_f32 v6, -v2, v5, v4
	s_delay_alu instid0(VALU_DEP_1) | instskip(NEXT) | instid1(VALU_DEP_1)
	v_fmac_f32_e32 v5, v6, v3
	v_fma_f32 v2, -v2, v5, v4
	s_delay_alu instid0(VALU_DEP_1) | instskip(NEXT) | instid1(VALU_DEP_1)
	v_div_fmas_f32 v2, v2, v3, v5
	v_div_fixup_f32 v0, v2, v0, v1
.LBB18_682:
	s_or_b32 exec_lo, exec_lo, s19
.LBB18_683:
	s_delay_alu instid0(SALU_CYCLE_1) | instskip(SKIP_2) | instid1(VALU_DEP_1)
	s_or_b32 exec_lo, exec_lo, s18
	v_mul_lo_u32 v1, v8, s2
	v_and_b32_e32 v4, 0xff, v7
	v_cmp_gt_i16_e32 vcc_lo, 11, v4
	s_delay_alu instid0(VALU_DEP_3) | instskip(SKIP_1) | instid1(VALU_DEP_1)
	v_ashrrev_i32_e32 v3, 31, v1
	v_add_co_u32 v2, s0, s4, v1
	v_add_co_ci_u32_e64 v3, s0, s5, v3, s0
	s_cbranch_vccnz .LBB18_691
; %bb.684:
	v_cmp_lt_i16_e32 vcc_lo, 25, v4
	s_cbranch_vccz .LBB18_692
; %bb.685:
	v_cmp_lt_i16_e32 vcc_lo, 28, v4
	s_cbranch_vccz .LBB18_693
	;; [unrolled: 3-line block ×4, first 2 shown]
; %bb.688:
	v_cmp_eq_u16_e32 vcc_lo, 46, v4
	s_mov_b32 s19, 0
	s_mov_b32 s0, -1
	s_mov_b32 s18, 0
	s_cbranch_vccz .LBB18_696
; %bb.689:
	v_bfe_u32 v1, v0, 16, 1
	v_cmp_o_f32_e32 vcc_lo, v0, v0
	s_mov_b32 s18, -1
	s_mov_b32 s0, 0
	s_delay_alu instid0(VALU_DEP_2) | instskip(NEXT) | instid1(VALU_DEP_1)
	v_add3_u32 v1, v0, v1, 0x7fff
	v_lshrrev_b32_e32 v1, 16, v1
	s_delay_alu instid0(VALU_DEP_1)
	v_cndmask_b32_e32 v1, 0x7fc0, v1, vcc_lo
	global_store_b32 v[2:3], v1, off
	s_branch .LBB18_696
.LBB18_690:
	s_mov_b32 s19, 0
	s_mov_b32 s0, s14
	s_branch .LBB18_807
.LBB18_691:
	s_mov_b32 s19, -1
	s_mov_b32 s18, 0
	s_mov_b32 s0, s14
	s_branch .LBB18_765
.LBB18_692:
	s_mov_b32 s19, -1
	s_mov_b32 s18, 0
	s_mov_b32 s0, s14
	s_branch .LBB18_723
.LBB18_693:
	s_mov_b32 s19, -1
	s_mov_b32 s18, 0
	s_mov_b32 s0, s14
	s_branch .LBB18_706
.LBB18_694:
	s_mov_b32 s19, -1
	s_mov_b32 s18, 0
	s_mov_b32 s0, s14
	s_branch .LBB18_702
.LBB18_695:
	s_mov_b32 s19, -1
	s_mov_b32 s18, 0
	s_mov_b32 s0, s14
.LBB18_696:
	s_and_b32 vcc_lo, exec_lo, s19
	s_cbranch_vccz .LBB18_701
; %bb.697:
	v_cmp_eq_u16_e32 vcc_lo, 44, v4
	s_mov_b32 s0, -1
	s_cbranch_vccz .LBB18_701
; %bb.698:
	v_bfe_u32 v5, v0, 23, 8
	v_mov_b32_e32 v1, 0xff
	s_mov_b32 s18, exec_lo
	s_delay_alu instid0(VALU_DEP_2)
	v_cmpx_ne_u32_e32 0xff, v5
; %bb.699:
	v_and_b32_e32 v1, 0x400000, v0
	v_and_or_b32 v5, 0x3fffff, v0, v5
	s_delay_alu instid0(VALU_DEP_2) | instskip(NEXT) | instid1(VALU_DEP_2)
	v_cmp_ne_u32_e32 vcc_lo, 0, v1
	v_cmp_ne_u32_e64 s0, 0, v5
	v_lshrrev_b32_e32 v1, 23, v0
	s_delay_alu instid0(VALU_DEP_2) | instskip(NEXT) | instid1(SALU_CYCLE_1)
	s_and_b32 s0, vcc_lo, s0
	v_cndmask_b32_e64 v5, 0, 1, s0
	s_delay_alu instid0(VALU_DEP_1)
	v_add_nc_u32_e32 v1, v1, v5
; %bb.700:
	s_or_b32 exec_lo, exec_lo, s18
	s_mov_b32 s18, -1
	s_mov_b32 s0, 0
	global_store_b8 v[2:3], v1, off
.LBB18_701:
	s_mov_b32 s19, 0
.LBB18_702:
	s_delay_alu instid0(SALU_CYCLE_1)
	s_and_b32 vcc_lo, exec_lo, s19
	s_cbranch_vccz .LBB18_705
; %bb.703:
	v_cmp_eq_u16_e32 vcc_lo, 29, v4
	s_mov_b32 s0, -1
	s_cbranch_vccz .LBB18_705
; %bb.704:
	v_trunc_f32_e32 v1, v0
	s_mov_b32 s18, -1
	s_mov_b32 s0, 0
	s_mov_b32 s19, 0
	s_delay_alu instid0(VALU_DEP_1) | instskip(NEXT) | instid1(VALU_DEP_1)
	v_mul_f32_e32 v5, 0x2f800000, v1
	v_floor_f32_e32 v5, v5
	s_delay_alu instid0(VALU_DEP_1) | instskip(SKIP_1) | instid1(VALU_DEP_2)
	v_fmamk_f32 v1, v5, 0xcf800000, v1
	v_cvt_u32_f32_e32 v6, v5
	v_cvt_u32_f32_e32 v5, v1
	global_store_b64 v[2:3], v[5:6], off
	s_branch .LBB18_706
.LBB18_705:
	s_mov_b32 s19, 0
.LBB18_706:
	s_delay_alu instid0(SALU_CYCLE_1)
	s_and_b32 vcc_lo, exec_lo, s19
	s_cbranch_vccz .LBB18_722
; %bb.707:
	v_cmp_gt_i16_e32 vcc_lo, 27, v4
	s_mov_b32 s18, -1
	s_cbranch_vccnz .LBB18_713
; %bb.708:
	v_cmp_lt_i16_e32 vcc_lo, 27, v4
	s_cbranch_vccz .LBB18_710
; %bb.709:
	v_cvt_u32_f32_e32 v1, v0
	s_mov_b32 s18, 0
	global_store_b32 v[2:3], v1, off
.LBB18_710:
	s_and_not1_b32 vcc_lo, exec_lo, s18
	s_cbranch_vccnz .LBB18_712
; %bb.711:
	v_cvt_u32_f32_e32 v1, v0
	global_store_b16 v[2:3], v1, off
.LBB18_712:
	s_mov_b32 s18, 0
.LBB18_713:
	s_delay_alu instid0(SALU_CYCLE_1)
	s_and_not1_b32 vcc_lo, exec_lo, s18
	s_cbranch_vccnz .LBB18_721
; %bb.714:
	v_and_b32_e32 v1, 0x7fffffff, v0
	v_mov_b32_e32 v5, 0x80
	s_mov_b32 s18, exec_lo
	s_delay_alu instid0(VALU_DEP_2)
	v_cmpx_gt_u32_e32 0x43800000, v1
	s_cbranch_execz .LBB18_720
; %bb.715:
	v_cmp_lt_u32_e32 vcc_lo, 0x3bffffff, v1
	s_mov_b32 s19, 0
                                        ; implicit-def: $vgpr1
	s_and_saveexec_b32 s20, vcc_lo
	s_delay_alu instid0(SALU_CYCLE_1)
	s_xor_b32 s20, exec_lo, s20
	s_cbranch_execz .LBB18_822
; %bb.716:
	v_bfe_u32 v1, v0, 20, 1
	s_mov_b32 s19, exec_lo
	s_delay_alu instid0(VALU_DEP_1) | instskip(NEXT) | instid1(VALU_DEP_1)
	v_add3_u32 v1, v0, v1, 0x487ffff
	v_lshrrev_b32_e32 v1, 20, v1
	s_or_saveexec_b32 s20, s20
                                        ; implicit-def: $sgpr21
	s_delay_alu instid0(SALU_CYCLE_1)
	s_xor_b32 exec_lo, exec_lo, s20
	s_cbranch_execnz .LBB18_823
.LBB18_717:
	s_or_b32 exec_lo, exec_lo, s20
	v_mov_b32_e32 v5, s21
	s_and_saveexec_b32 s20, s19
.LBB18_718:
	v_lshrrev_b32_e32 v5, 24, v0
	s_delay_alu instid0(VALU_DEP_1)
	v_and_or_b32 v5, 0x80, v5, v1
.LBB18_719:
	s_or_b32 exec_lo, exec_lo, s20
.LBB18_720:
	s_delay_alu instid0(SALU_CYCLE_1)
	s_or_b32 exec_lo, exec_lo, s18
	global_store_b8 v[2:3], v5, off
.LBB18_721:
	s_mov_b32 s18, -1
.LBB18_722:
	s_mov_b32 s19, 0
.LBB18_723:
	s_delay_alu instid0(SALU_CYCLE_1)
	s_and_b32 vcc_lo, exec_lo, s19
	s_cbranch_vccz .LBB18_764
; %bb.724:
	v_cmp_lt_i16_e32 vcc_lo, 22, v4
	s_mov_b32 s19, -1
	s_cbranch_vccz .LBB18_756
; %bb.725:
	v_cmp_gt_i16_e32 vcc_lo, 24, v4
	s_mov_b32 s18, -1
	s_cbranch_vccnz .LBB18_745
; %bb.726:
	v_cmp_lt_i16_e32 vcc_lo, 24, v4
	s_cbranch_vccz .LBB18_734
; %bb.727:
	v_and_b32_e32 v1, 0x7fffffff, v0
	v_mov_b32_e32 v5, 0x80
	s_mov_b32 s18, exec_lo
	s_delay_alu instid0(VALU_DEP_2)
	v_cmpx_gt_u32_e32 0x47800000, v1
	s_cbranch_execz .LBB18_733
; %bb.728:
	v_cmp_lt_u32_e32 vcc_lo, 0x37ffffff, v1
	s_mov_b32 s19, 0
                                        ; implicit-def: $vgpr1
	s_and_saveexec_b32 s20, vcc_lo
	s_delay_alu instid0(SALU_CYCLE_1)
	s_xor_b32 s20, exec_lo, s20
	s_cbranch_execz .LBB18_825
; %bb.729:
	v_bfe_u32 v1, v0, 21, 1
	s_mov_b32 s19, exec_lo
	s_delay_alu instid0(VALU_DEP_1) | instskip(NEXT) | instid1(VALU_DEP_1)
	v_add3_u32 v1, v0, v1, 0x88fffff
	v_lshrrev_b32_e32 v1, 21, v1
	s_or_saveexec_b32 s20, s20
                                        ; implicit-def: $sgpr21
	s_delay_alu instid0(SALU_CYCLE_1)
	s_xor_b32 exec_lo, exec_lo, s20
	s_cbranch_execnz .LBB18_826
.LBB18_730:
	s_or_b32 exec_lo, exec_lo, s20
	v_mov_b32_e32 v5, s21
	s_and_saveexec_b32 s20, s19
.LBB18_731:
	v_lshrrev_b32_e32 v5, 24, v0
	s_delay_alu instid0(VALU_DEP_1)
	v_and_or_b32 v5, 0x80, v5, v1
.LBB18_732:
	s_or_b32 exec_lo, exec_lo, s20
.LBB18_733:
	s_delay_alu instid0(SALU_CYCLE_1)
	s_or_b32 exec_lo, exec_lo, s18
	s_mov_b32 s18, 0
	global_store_b8 v[2:3], v5, off
.LBB18_734:
	s_and_b32 vcc_lo, exec_lo, s18
	s_cbranch_vccz .LBB18_744
; %bb.735:
	v_and_b32_e32 v5, 0x7fffffff, v0
	s_mov_b32 s18, exec_lo
                                        ; implicit-def: $vgpr1
	s_delay_alu instid0(VALU_DEP_1)
	v_cmpx_gt_u32_e32 0x43f00000, v5
	s_xor_b32 s18, exec_lo, s18
	s_cbranch_execz .LBB18_741
; %bb.736:
	s_mov_b32 s19, exec_lo
                                        ; implicit-def: $vgpr1
	v_cmpx_lt_u32_e32 0x3c7fffff, v5
	s_xor_b32 s19, exec_lo, s19
; %bb.737:
	v_bfe_u32 v1, v0, 20, 1
	s_delay_alu instid0(VALU_DEP_1) | instskip(NEXT) | instid1(VALU_DEP_1)
	v_add3_u32 v1, v0, v1, 0x407ffff
	v_and_b32_e32 v5, 0xff00000, v1
	v_lshrrev_b32_e32 v1, 20, v1
	s_delay_alu instid0(VALU_DEP_2) | instskip(NEXT) | instid1(VALU_DEP_2)
	v_cmp_ne_u32_e32 vcc_lo, 0x7f00000, v5
	v_cndmask_b32_e32 v1, 0x7e, v1, vcc_lo
; %bb.738:
	s_and_not1_saveexec_b32 s19, s19
; %bb.739:
	v_add_f32_e64 v1, 0x46800000, |v0|
; %bb.740:
	s_or_b32 exec_lo, exec_lo, s19
                                        ; implicit-def: $vgpr5
.LBB18_741:
	s_and_not1_saveexec_b32 s18, s18
; %bb.742:
	v_mov_b32_e32 v1, 0x7f
	v_cmp_lt_u32_e32 vcc_lo, 0x7f800000, v5
	s_delay_alu instid0(VALU_DEP_2)
	v_cndmask_b32_e32 v1, 0x7e, v1, vcc_lo
; %bb.743:
	s_or_b32 exec_lo, exec_lo, s18
	v_lshrrev_b32_e32 v5, 24, v0
	s_delay_alu instid0(VALU_DEP_1)
	v_and_or_b32 v1, 0x80, v5, v1
	global_store_b8 v[2:3], v1, off
.LBB18_744:
	s_mov_b32 s18, 0
.LBB18_745:
	s_delay_alu instid0(SALU_CYCLE_1)
	s_and_not1_b32 vcc_lo, exec_lo, s18
	s_cbranch_vccnz .LBB18_755
; %bb.746:
	v_and_b32_e32 v5, 0x7fffffff, v0
	s_mov_b32 s18, exec_lo
                                        ; implicit-def: $vgpr1
	s_delay_alu instid0(VALU_DEP_1)
	v_cmpx_gt_u32_e32 0x47800000, v5
	s_xor_b32 s18, exec_lo, s18
	s_cbranch_execz .LBB18_752
; %bb.747:
	s_mov_b32 s19, exec_lo
                                        ; implicit-def: $vgpr1
	v_cmpx_lt_u32_e32 0x387fffff, v5
	s_xor_b32 s19, exec_lo, s19
; %bb.748:
	v_bfe_u32 v1, v0, 21, 1
	s_delay_alu instid0(VALU_DEP_1) | instskip(NEXT) | instid1(VALU_DEP_1)
	v_add3_u32 v1, v0, v1, 0x80fffff
	v_lshrrev_b32_e32 v1, 21, v1
; %bb.749:
	s_and_not1_saveexec_b32 s19, s19
; %bb.750:
	v_add_f32_e64 v1, 0x43000000, |v0|
; %bb.751:
	s_or_b32 exec_lo, exec_lo, s19
                                        ; implicit-def: $vgpr5
.LBB18_752:
	s_and_not1_saveexec_b32 s18, s18
; %bb.753:
	v_mov_b32_e32 v1, 0x7f
	v_cmp_lt_u32_e32 vcc_lo, 0x7f800000, v5
	s_delay_alu instid0(VALU_DEP_2)
	v_cndmask_b32_e32 v1, 0x7c, v1, vcc_lo
; %bb.754:
	s_or_b32 exec_lo, exec_lo, s18
	v_lshrrev_b32_e32 v5, 24, v0
	s_delay_alu instid0(VALU_DEP_1)
	v_and_or_b32 v1, 0x80, v5, v1
	global_store_b8 v[2:3], v1, off
.LBB18_755:
	s_mov_b32 s19, 0
	s_mov_b32 s18, -1
.LBB18_756:
	s_and_not1_b32 vcc_lo, exec_lo, s19
	s_cbranch_vccnz .LBB18_764
; %bb.757:
	v_cmp_lt_i16_e32 vcc_lo, 14, v4
	s_mov_b32 s19, -1
	s_cbranch_vccz .LBB18_761
; %bb.758:
	v_cmp_eq_u16_e32 vcc_lo, 15, v4
	s_mov_b32 s0, -1
	s_cbranch_vccz .LBB18_760
; %bb.759:
	v_bfe_u32 v1, v0, 16, 1
	v_cmp_o_f32_e32 vcc_lo, v0, v0
	s_mov_b32 s18, -1
	s_mov_b32 s0, 0
	s_delay_alu instid0(VALU_DEP_2) | instskip(NEXT) | instid1(VALU_DEP_1)
	v_add3_u32 v1, v0, v1, 0x7fff
	v_lshrrev_b32_e32 v1, 16, v1
	s_delay_alu instid0(VALU_DEP_1)
	v_cndmask_b32_e32 v1, 0x7fc0, v1, vcc_lo
	global_store_b16 v[2:3], v1, off
.LBB18_760:
	s_mov_b32 s19, 0
.LBB18_761:
	s_delay_alu instid0(SALU_CYCLE_1)
	s_and_b32 vcc_lo, exec_lo, s19
	s_cbranch_vccz .LBB18_764
; %bb.762:
	v_cmp_eq_u16_e32 vcc_lo, 11, v4
	s_mov_b32 s0, -1
	s_cbranch_vccz .LBB18_764
; %bb.763:
	v_cmp_neq_f32_e32 vcc_lo, 0, v0
	s_mov_b32 s0, 0
	s_mov_b32 s18, -1
	v_cndmask_b32_e64 v1, 0, 1, vcc_lo
	global_store_b8 v[2:3], v1, off
.LBB18_764:
	s_mov_b32 s19, 0
.LBB18_765:
	s_delay_alu instid0(SALU_CYCLE_1)
	s_and_b32 vcc_lo, exec_lo, s19
	s_cbranch_vccz .LBB18_804
; %bb.766:
	v_cmp_gt_i16_e32 vcc_lo, 5, v4
	s_mov_b32 s18, -1
	s_cbranch_vccnz .LBB18_787
; %bb.767:
	v_cmp_gt_i16_e32 vcc_lo, 8, v4
	s_cbranch_vccnz .LBB18_777
; %bb.768:
	v_cmp_gt_i16_e32 vcc_lo, 9, v4
	s_cbranch_vccnz .LBB18_774
; %bb.769:
	v_cmp_lt_i16_e32 vcc_lo, 9, v4
	s_cbranch_vccz .LBB18_771
; %bb.770:
	v_cvt_f64_f32_e32 v[10:11], v0
	v_mov_b32_e32 v12, 0
	s_mov_b32 s18, 0
	s_delay_alu instid0(VALU_DEP_1)
	v_mov_b32_e32 v13, v12
	global_store_b128 v[2:3], v[10:13], off
.LBB18_771:
	s_and_not1_b32 vcc_lo, exec_lo, s18
	s_cbranch_vccnz .LBB18_773
; %bb.772:
	v_mov_b32_e32 v1, 0
	global_store_b64 v[2:3], v[0:1], off
.LBB18_773:
	s_mov_b32 s18, 0
.LBB18_774:
	s_delay_alu instid0(SALU_CYCLE_1)
	s_and_not1_b32 vcc_lo, exec_lo, s18
	s_cbranch_vccnz .LBB18_776
; %bb.775:
	v_cvt_f16_f32_e32 v1, v0
	s_delay_alu instid0(VALU_DEP_1)
	v_and_b32_e32 v1, 0xffff, v1
	global_store_b32 v[2:3], v1, off
.LBB18_776:
	s_mov_b32 s18, 0
.LBB18_777:
	s_delay_alu instid0(SALU_CYCLE_1)
	s_and_not1_b32 vcc_lo, exec_lo, s18
	s_cbranch_vccnz .LBB18_786
; %bb.778:
	v_cmp_gt_i16_e32 vcc_lo, 6, v4
	s_mov_b32 s18, -1
	s_cbranch_vccnz .LBB18_784
; %bb.779:
	v_cmp_lt_i16_e32 vcc_lo, 6, v4
	s_cbranch_vccz .LBB18_781
; %bb.780:
	v_cvt_f64_f32_e32 v[5:6], v0
	s_mov_b32 s18, 0
	global_store_b64 v[2:3], v[5:6], off
.LBB18_781:
	s_and_not1_b32 vcc_lo, exec_lo, s18
	s_cbranch_vccnz .LBB18_783
; %bb.782:
	global_store_b32 v[2:3], v0, off
.LBB18_783:
	s_mov_b32 s18, 0
.LBB18_784:
	s_delay_alu instid0(SALU_CYCLE_1)
	s_and_not1_b32 vcc_lo, exec_lo, s18
	s_cbranch_vccnz .LBB18_786
; %bb.785:
	v_cvt_f16_f32_e32 v1, v0
	global_store_b16 v[2:3], v1, off
.LBB18_786:
	s_mov_b32 s18, 0
.LBB18_787:
	s_delay_alu instid0(SALU_CYCLE_1)
	s_and_not1_b32 vcc_lo, exec_lo, s18
	s_cbranch_vccnz .LBB18_803
; %bb.788:
	v_cmp_gt_i16_e32 vcc_lo, 2, v4
	s_mov_b32 s18, -1
	s_cbranch_vccnz .LBB18_798
; %bb.789:
	v_cmp_gt_i16_e32 vcc_lo, 3, v4
	s_cbranch_vccnz .LBB18_795
; %bb.790:
	v_cmp_lt_i16_e32 vcc_lo, 3, v4
	s_cbranch_vccz .LBB18_792
; %bb.791:
	v_trunc_f32_e32 v1, v0
	s_mov_b32 s18, 0
	s_delay_alu instid0(VALU_DEP_1) | instskip(NEXT) | instid1(VALU_DEP_1)
	v_mul_f32_e64 v5, 0x2f800000, |v1|
	v_floor_f32_e32 v5, v5
	s_delay_alu instid0(VALU_DEP_1) | instskip(SKIP_2) | instid1(VALU_DEP_3)
	v_fma_f32 v6, 0xcf800000, v5, |v1|
	v_ashrrev_i32_e32 v1, 31, v1
	v_cvt_u32_f32_e32 v5, v5
	v_cvt_u32_f32_e32 v6, v6
	s_delay_alu instid0(VALU_DEP_2) | instskip(NEXT) | instid1(VALU_DEP_2)
	v_xor_b32_e32 v10, v5, v1
	v_xor_b32_e32 v6, v6, v1
	s_delay_alu instid0(VALU_DEP_1) | instskip(NEXT) | instid1(VALU_DEP_3)
	v_sub_co_u32 v5, vcc_lo, v6, v1
	v_sub_co_ci_u32_e32 v6, vcc_lo, v10, v1, vcc_lo
	global_store_b64 v[2:3], v[5:6], off
.LBB18_792:
	s_and_not1_b32 vcc_lo, exec_lo, s18
	s_cbranch_vccnz .LBB18_794
; %bb.793:
	v_cvt_i32_f32_e32 v1, v0
	global_store_b32 v[2:3], v1, off
.LBB18_794:
	s_mov_b32 s18, 0
.LBB18_795:
	s_delay_alu instid0(SALU_CYCLE_1)
	s_and_not1_b32 vcc_lo, exec_lo, s18
	s_cbranch_vccnz .LBB18_797
; %bb.796:
	v_cvt_i32_f32_e32 v1, v0
	global_store_b16 v[2:3], v1, off
.LBB18_797:
	s_mov_b32 s18, 0
.LBB18_798:
	s_delay_alu instid0(SALU_CYCLE_1)
	s_and_not1_b32 vcc_lo, exec_lo, s18
	s_cbranch_vccnz .LBB18_803
; %bb.799:
	v_cmp_lt_i16_e32 vcc_lo, 0, v4
	s_mov_b32 s18, -1
	s_cbranch_vccz .LBB18_801
; %bb.800:
	v_cvt_i32_f32_e32 v1, v0
	s_mov_b32 s18, 0
	global_store_b8 v[2:3], v1, off
.LBB18_801:
	s_and_not1_b32 vcc_lo, exec_lo, s18
	s_cbranch_vccnz .LBB18_803
; %bb.802:
	v_trunc_f32_e32 v0, v0
	s_delay_alu instid0(VALU_DEP_1) | instskip(NEXT) | instid1(VALU_DEP_1)
	v_mul_f32_e64 v1, 0x2f800000, |v0|
	v_floor_f32_e32 v1, v1
	s_delay_alu instid0(VALU_DEP_1) | instskip(SKIP_1) | instid1(VALU_DEP_2)
	v_fma_f32 v1, 0xcf800000, v1, |v0|
	v_ashrrev_i32_e32 v0, 31, v0
	v_cvt_u32_f32_e32 v1, v1
	s_delay_alu instid0(VALU_DEP_1) | instskip(NEXT) | instid1(VALU_DEP_1)
	v_xor_b32_e32 v1, v1, v0
	v_sub_nc_u32_e32 v0, v1, v0
	global_store_b8 v[2:3], v0, off
.LBB18_803:
	s_mov_b32 s18, -1
.LBB18_804:
	s_delay_alu instid0(SALU_CYCLE_1)
	s_and_not1_b32 vcc_lo, exec_lo, s18
	s_cbranch_vccnz .LBB18_806
; %bb.805:
	v_add_nc_u32_e32 v8, 0x80, v8
	s_mov_b32 s19, -1
	s_branch .LBB18_808
.LBB18_806:
	s_mov_b32 s19, 0
.LBB18_807:
                                        ; implicit-def: $vgpr8
.LBB18_808:
	s_and_not1_b32 s18, s14, exec_lo
	s_and_b32 s0, s0, exec_lo
	s_and_not1_b32 s20, s13, exec_lo
	s_and_b32 s17, s17, exec_lo
	s_or_b32 s18, s18, s0
	s_or_b32 s17, s20, s17
	s_or_not1_b32 s0, s19, exec_lo
.LBB18_809:
	s_or_b32 exec_lo, exec_lo, s16
	s_mov_b32 s19, 0
	s_mov_b32 s20, 0
	;; [unrolled: 1-line block ×3, first 2 shown]
                                        ; implicit-def: $vgpr0_vgpr1
                                        ; implicit-def: $vgpr4
	s_and_saveexec_b32 s16, s0
	s_cbranch_execz .LBB18_894
; %bb.810:
	v_cmp_gt_i32_e32 vcc_lo, s10, v8
	s_mov_b32 s0, 0
	s_mov_b32 s19, s17
                                        ; implicit-def: $vgpr0_vgpr1
                                        ; implicit-def: $vgpr4
	s_and_saveexec_b32 s10, vcc_lo
	s_cbranch_execz .LBB18_893
; %bb.811:
	v_mul_lo_u32 v0, v8, s3
	v_cmp_gt_i16_e32 vcc_lo, 11, v9
	s_delay_alu instid0(VALU_DEP_2) | instskip(SKIP_1) | instid1(VALU_DEP_1)
	v_ashrrev_i32_e32 v1, 31, v0
	v_add_co_u32 v0, s0, s6, v0
	v_add_co_ci_u32_e64 v1, s0, s7, v1, s0
	s_cbranch_vccnz .LBB18_818
; %bb.812:
	v_cmp_lt_i16_e32 vcc_lo, 25, v9
	s_mov_b32 s19, 0
	s_cbranch_vccz .LBB18_819
; %bb.813:
	v_cmp_lt_i16_e32 vcc_lo, 28, v9
	s_cbranch_vccz .LBB18_820
; %bb.814:
	v_cmp_lt_i16_e32 vcc_lo, 43, v9
	;; [unrolled: 3-line block ×3, first 2 shown]
	s_cbranch_vccz .LBB18_824
; %bb.816:
	v_cmp_eq_u16_e32 vcc_lo, 46, v9
	s_cbranch_vccz .LBB18_827
; %bb.817:
	global_load_b32 v2, v[0:1], off
	s_mov_b32 s0, 0
	s_mov_b32 s20, -1
	s_waitcnt vmcnt(0)
	v_lshlrev_b32_e32 v4, 16, v2
	s_branch .LBB18_829
.LBB18_818:
	s_mov_b32 s22, -1
	s_mov_b32 s19, 0
	s_mov_b32 s0, s17
                                        ; implicit-def: $vgpr4
	s_branch .LBB18_892
.LBB18_819:
	s_mov_b32 s21, -1
	s_mov_b32 s0, s17
                                        ; implicit-def: $vgpr4
	s_branch .LBB18_858
.LBB18_820:
	s_mov_b32 s21, -1
	s_mov_b32 s0, s17
                                        ; implicit-def: $vgpr4
	s_branch .LBB18_839
.LBB18_821:
	s_mov_b32 s21, -1
	s_mov_b32 s0, s17
                                        ; implicit-def: $vgpr4
	s_branch .LBB18_834
.LBB18_822:
	s_or_saveexec_b32 s20, s20
                                        ; implicit-def: $sgpr21
	s_delay_alu instid0(SALU_CYCLE_1)
	s_xor_b32 exec_lo, exec_lo, s20
	s_cbranch_execz .LBB18_717
.LBB18_823:
	v_add_f32_e64 v1, 0x46000000, |v0|
	s_and_not1_b32 s19, s19, exec_lo
	s_mov_b32 s21, 0
	s_delay_alu instid0(VALU_DEP_1) | instskip(NEXT) | instid1(VALU_DEP_1)
	v_and_b32_e32 v1, 0xff, v1
	v_cmp_ne_u32_e32 vcc_lo, 0, v1
	s_and_b32 s22, vcc_lo, exec_lo
	s_delay_alu instid0(SALU_CYCLE_1)
	s_or_b32 s19, s19, s22
	s_or_b32 exec_lo, exec_lo, s20
	v_mov_b32_e32 v5, s21
	s_and_saveexec_b32 s20, s19
	s_cbranch_execnz .LBB18_718
	s_branch .LBB18_719
.LBB18_824:
	s_mov_b32 s21, -1
	s_mov_b32 s0, s17
	s_branch .LBB18_828
.LBB18_825:
	s_or_saveexec_b32 s20, s20
                                        ; implicit-def: $sgpr21
	s_delay_alu instid0(SALU_CYCLE_1)
	s_xor_b32 exec_lo, exec_lo, s20
	s_cbranch_execz .LBB18_730
.LBB18_826:
	v_add_f32_e64 v1, 0x42800000, |v0|
	s_and_not1_b32 s19, s19, exec_lo
	s_mov_b32 s21, 0
	s_delay_alu instid0(VALU_DEP_1) | instskip(NEXT) | instid1(VALU_DEP_1)
	v_and_b32_e32 v1, 0xff, v1
	v_cmp_ne_u32_e32 vcc_lo, 0, v1
	s_and_b32 s22, vcc_lo, exec_lo
	s_delay_alu instid0(SALU_CYCLE_1)
	s_or_b32 s19, s19, s22
	s_or_b32 exec_lo, exec_lo, s20
	v_mov_b32_e32 v5, s21
	s_and_saveexec_b32 s20, s19
	s_cbranch_execnz .LBB18_731
	s_branch .LBB18_732
.LBB18_827:
	s_mov_b32 s0, -1
.LBB18_828:
                                        ; implicit-def: $vgpr4
.LBB18_829:
	s_and_b32 vcc_lo, exec_lo, s21
	s_cbranch_vccz .LBB18_833
; %bb.830:
	v_cmp_eq_u16_e32 vcc_lo, 44, v9
	s_cbranch_vccz .LBB18_832
; %bb.831:
	global_load_u8 v2, v[0:1], off
	s_mov_b32 s0, 0
	s_mov_b32 s20, -1
	s_waitcnt vmcnt(0)
	v_lshlrev_b32_e32 v3, 23, v2
	v_cmp_ne_u32_e32 vcc_lo, 0xff, v2
	s_delay_alu instid0(VALU_DEP_2) | instskip(SKIP_1) | instid1(VALU_DEP_2)
	v_cndmask_b32_e32 v3, 0x7f800001, v3, vcc_lo
	v_cmp_ne_u32_e32 vcc_lo, 0, v2
	v_cndmask_b32_e32 v4, 0x400000, v3, vcc_lo
	s_branch .LBB18_833
.LBB18_832:
	s_mov_b32 s0, -1
                                        ; implicit-def: $vgpr4
.LBB18_833:
	s_mov_b32 s21, 0
.LBB18_834:
	s_delay_alu instid0(SALU_CYCLE_1)
	s_and_b32 vcc_lo, exec_lo, s21
	s_cbranch_vccz .LBB18_838
; %bb.835:
	v_cmp_eq_u16_e32 vcc_lo, 29, v9
	s_cbranch_vccz .LBB18_837
; %bb.836:
	global_load_b64 v[2:3], v[0:1], off
	s_mov_b32 s0, 0
	s_mov_b32 s20, -1
	s_mov_b32 s21, 0
	s_waitcnt vmcnt(0)
	v_clz_i32_u32_e32 v4, v3
	s_delay_alu instid0(VALU_DEP_1) | instskip(NEXT) | instid1(VALU_DEP_1)
	v_min_u32_e32 v4, 32, v4
	v_lshlrev_b64 v[2:3], v4, v[2:3]
	s_delay_alu instid0(VALU_DEP_1) | instskip(NEXT) | instid1(VALU_DEP_1)
	v_min_u32_e32 v2, 1, v2
	v_or_b32_e32 v2, v3, v2
	v_sub_nc_u32_e32 v3, 32, v4
	s_delay_alu instid0(VALU_DEP_2) | instskip(NEXT) | instid1(VALU_DEP_1)
	v_cvt_f32_u32_e32 v2, v2
	v_ldexp_f32 v4, v2, v3
	s_branch .LBB18_839
.LBB18_837:
	s_mov_b32 s0, -1
                                        ; implicit-def: $vgpr4
.LBB18_838:
	s_mov_b32 s21, 0
.LBB18_839:
	s_delay_alu instid0(SALU_CYCLE_1)
	s_and_b32 vcc_lo, exec_lo, s21
	s_cbranch_vccz .LBB18_857
; %bb.840:
	v_cmp_gt_i16_e32 vcc_lo, 27, v9
	s_cbranch_vccnz .LBB18_843
; %bb.841:
	v_cmp_lt_i16_e32 vcc_lo, 27, v9
	s_cbranch_vccz .LBB18_844
; %bb.842:
	global_load_b32 v2, v[0:1], off
	s_mov_b32 s20, 0
	s_waitcnt vmcnt(0)
	v_cvt_f32_u32_e32 v4, v2
	s_branch .LBB18_845
.LBB18_843:
	s_mov_b32 s20, -1
                                        ; implicit-def: $vgpr4
	s_branch .LBB18_848
.LBB18_844:
	s_mov_b32 s20, -1
                                        ; implicit-def: $vgpr4
.LBB18_845:
	s_delay_alu instid0(SALU_CYCLE_1)
	s_and_not1_b32 vcc_lo, exec_lo, s20
	s_cbranch_vccnz .LBB18_847
; %bb.846:
	global_load_u16 v2, v[0:1], off
	s_waitcnt vmcnt(0)
	v_cvt_f32_u32_e32 v4, v2
.LBB18_847:
	s_mov_b32 s20, 0
.LBB18_848:
	s_delay_alu instid0(SALU_CYCLE_1)
	s_and_not1_b32 vcc_lo, exec_lo, s20
	s_cbranch_vccnz .LBB18_856
; %bb.849:
	global_load_u8 v2, v[0:1], off
	s_mov_b32 s20, 0
	s_mov_b32 s22, exec_lo
                                        ; implicit-def: $sgpr21
	s_waitcnt vmcnt(0)
	v_cmpx_lt_i16_e32 0x7f, v2
	s_xor_b32 s22, exec_lo, s22
	s_cbranch_execz .LBB18_870
; %bb.850:
	s_mov_b32 s20, -1
	s_mov_b32 s23, exec_lo
                                        ; implicit-def: $sgpr21
	v_cmpx_eq_u16_e32 0x80, v2
; %bb.851:
	s_mov_b32 s21, 0x7f800001
	s_xor_b32 s20, exec_lo, -1
; %bb.852:
	s_or_b32 exec_lo, exec_lo, s23
	s_delay_alu instid0(SALU_CYCLE_1)
	s_and_b32 s20, s20, exec_lo
	s_or_saveexec_b32 s22, s22
	v_mov_b32_e32 v4, s21
	s_xor_b32 exec_lo, exec_lo, s22
	s_cbranch_execnz .LBB18_871
.LBB18_853:
	s_or_b32 exec_lo, exec_lo, s22
	s_and_saveexec_b32 s21, s20
	s_cbranch_execz .LBB18_855
.LBB18_854:
	v_and_b32_e32 v3, 0xffff, v2
	v_lshlrev_b32_e32 v2, 24, v2
	s_delay_alu instid0(VALU_DEP_2) | instskip(NEXT) | instid1(VALU_DEP_2)
	v_and_b32_e32 v4, 7, v3
	v_and_b32_e32 v2, 0x80000000, v2
	s_delay_alu instid0(VALU_DEP_2) | instskip(NEXT) | instid1(VALU_DEP_1)
	v_clz_i32_u32_e32 v5, v4
	v_min_u32_e32 v5, 32, v5
	s_delay_alu instid0(VALU_DEP_1) | instskip(SKIP_1) | instid1(VALU_DEP_2)
	v_subrev_nc_u32_e32 v6, 28, v5
	v_sub_nc_u32_e32 v5, 29, v5
	v_lshlrev_b32_e32 v6, v6, v3
	v_bfe_u32 v3, v3, 3, 4
	s_delay_alu instid0(VALU_DEP_2) | instskip(NEXT) | instid1(VALU_DEP_2)
	v_and_b32_e32 v6, 7, v6
	v_cmp_eq_u32_e32 vcc_lo, 0, v3
	s_delay_alu instid0(VALU_DEP_2) | instskip(NEXT) | instid1(VALU_DEP_1)
	v_dual_cndmask_b32 v3, v3, v5 :: v_dual_cndmask_b32 v4, v4, v6
	v_lshl_add_u32 v3, v3, 23, 0x3b800000
	s_delay_alu instid0(VALU_DEP_2) | instskip(NEXT) | instid1(VALU_DEP_1)
	v_lshlrev_b32_e32 v4, 20, v4
	v_or3_b32 v4, v2, v3, v4
.LBB18_855:
	s_or_b32 exec_lo, exec_lo, s21
.LBB18_856:
	s_mov_b32 s20, -1
.LBB18_857:
	s_mov_b32 s21, 0
.LBB18_858:
	s_delay_alu instid0(SALU_CYCLE_1)
	s_and_b32 vcc_lo, exec_lo, s21
	s_cbranch_vccz .LBB18_891
; %bb.859:
	v_cmp_lt_i16_e32 vcc_lo, 22, v9
	s_cbranch_vccz .LBB18_869
; %bb.860:
	v_cmp_gt_i16_e32 vcc_lo, 24, v9
	s_cbranch_vccnz .LBB18_872
; %bb.861:
	v_cmp_lt_i16_e32 vcc_lo, 24, v9
	s_cbranch_vccz .LBB18_873
; %bb.862:
	global_load_u8 v2, v[0:1], off
	s_mov_b32 s21, exec_lo
                                        ; implicit-def: $sgpr20
	s_waitcnt vmcnt(0)
	v_cmpx_lt_i16_e32 0x7f, v2
	s_xor_b32 s21, exec_lo, s21
	s_cbranch_execz .LBB18_885
; %bb.863:
	s_mov_b32 s19, -1
	s_mov_b32 s22, exec_lo
                                        ; implicit-def: $sgpr20
	v_cmpx_eq_u16_e32 0x80, v2
; %bb.864:
	s_mov_b32 s20, 0x7f800001
	s_xor_b32 s19, exec_lo, -1
; %bb.865:
	s_or_b32 exec_lo, exec_lo, s22
	s_delay_alu instid0(SALU_CYCLE_1)
	s_and_b32 s19, s19, exec_lo
	s_or_saveexec_b32 s21, s21
	v_mov_b32_e32 v4, s20
	s_xor_b32 exec_lo, exec_lo, s21
	s_cbranch_execnz .LBB18_886
.LBB18_866:
	s_or_b32 exec_lo, exec_lo, s21
	s_and_saveexec_b32 s20, s19
	s_cbranch_execz .LBB18_868
.LBB18_867:
	v_and_b32_e32 v3, 0xffff, v2
	v_lshlrev_b32_e32 v2, 24, v2
	s_delay_alu instid0(VALU_DEP_2) | instskip(NEXT) | instid1(VALU_DEP_2)
	v_and_b32_e32 v4, 3, v3
	v_and_b32_e32 v2, 0x80000000, v2
	s_delay_alu instid0(VALU_DEP_2) | instskip(NEXT) | instid1(VALU_DEP_1)
	v_clz_i32_u32_e32 v5, v4
	v_min_u32_e32 v5, 32, v5
	s_delay_alu instid0(VALU_DEP_1) | instskip(SKIP_1) | instid1(VALU_DEP_2)
	v_subrev_nc_u32_e32 v6, 29, v5
	v_sub_nc_u32_e32 v5, 30, v5
	v_lshlrev_b32_e32 v6, v6, v3
	v_bfe_u32 v3, v3, 2, 5
	s_delay_alu instid0(VALU_DEP_2) | instskip(NEXT) | instid1(VALU_DEP_2)
	v_and_b32_e32 v6, 3, v6
	v_cmp_eq_u32_e32 vcc_lo, 0, v3
	s_delay_alu instid0(VALU_DEP_2) | instskip(NEXT) | instid1(VALU_DEP_1)
	v_dual_cndmask_b32 v3, v3, v5 :: v_dual_cndmask_b32 v4, v4, v6
	v_lshl_add_u32 v3, v3, 23, 0x37800000
	s_delay_alu instid0(VALU_DEP_2) | instskip(NEXT) | instid1(VALU_DEP_1)
	v_lshlrev_b32_e32 v4, 21, v4
	v_or3_b32 v4, v2, v3, v4
.LBB18_868:
	s_or_b32 exec_lo, exec_lo, s20
	s_mov_b32 s19, 0
	s_branch .LBB18_874
.LBB18_869:
	s_mov_b32 s19, -1
                                        ; implicit-def: $vgpr4
	s_branch .LBB18_880
.LBB18_870:
	s_or_saveexec_b32 s22, s22
	v_mov_b32_e32 v4, s21
	s_xor_b32 exec_lo, exec_lo, s22
	s_cbranch_execz .LBB18_853
.LBB18_871:
	v_cmp_ne_u16_e32 vcc_lo, 0, v2
	v_mov_b32_e32 v4, 0
	s_and_not1_b32 s20, s20, exec_lo
	s_and_b32 s21, vcc_lo, exec_lo
	s_delay_alu instid0(SALU_CYCLE_1)
	s_or_b32 s20, s20, s21
	s_or_b32 exec_lo, exec_lo, s22
	s_and_saveexec_b32 s21, s20
	s_cbranch_execnz .LBB18_854
	s_branch .LBB18_855
.LBB18_872:
	s_mov_b32 s19, -1
                                        ; implicit-def: $vgpr4
	s_branch .LBB18_877
.LBB18_873:
	s_mov_b32 s19, -1
                                        ; implicit-def: $vgpr4
.LBB18_874:
	s_delay_alu instid0(SALU_CYCLE_1)
	s_and_b32 vcc_lo, exec_lo, s19
	s_cbranch_vccz .LBB18_876
; %bb.875:
	global_load_u8 v2, v[0:1], off
	s_waitcnt vmcnt(0)
	v_lshlrev_b32_e32 v2, 24, v2
	s_delay_alu instid0(VALU_DEP_1) | instskip(NEXT) | instid1(VALU_DEP_1)
	v_and_b32_e32 v3, 0x7f000000, v2
	v_clz_i32_u32_e32 v4, v3
	v_add_nc_u32_e32 v6, 0x1000000, v3
	v_cmp_ne_u32_e32 vcc_lo, 0, v3
	s_delay_alu instid0(VALU_DEP_3) | instskip(NEXT) | instid1(VALU_DEP_1)
	v_min_u32_e32 v4, 32, v4
	v_sub_nc_u32_e64 v4, v4, 4 clamp
	s_delay_alu instid0(VALU_DEP_1) | instskip(SKIP_1) | instid1(VALU_DEP_2)
	v_lshlrev_b32_e32 v5, v4, v3
	v_lshlrev_b32_e32 v4, 23, v4
	v_lshrrev_b32_e32 v5, 4, v5
	s_delay_alu instid0(VALU_DEP_1) | instskip(SKIP_1) | instid1(VALU_DEP_2)
	v_sub_nc_u32_e32 v4, v5, v4
	v_ashrrev_i32_e32 v5, 8, v6
	v_add_nc_u32_e32 v4, 0x3c000000, v4
	s_delay_alu instid0(VALU_DEP_1) | instskip(NEXT) | instid1(VALU_DEP_1)
	v_and_or_b32 v4, 0x7f800000, v5, v4
	v_cndmask_b32_e32 v3, 0, v4, vcc_lo
	s_delay_alu instid0(VALU_DEP_1)
	v_and_or_b32 v4, 0x80000000, v2, v3
.LBB18_876:
	s_mov_b32 s19, 0
.LBB18_877:
	s_delay_alu instid0(SALU_CYCLE_1)
	s_and_not1_b32 vcc_lo, exec_lo, s19
	s_cbranch_vccnz .LBB18_879
; %bb.878:
	global_load_u8 v2, v[0:1], off
	s_waitcnt vmcnt(0)
	v_lshlrev_b32_e32 v3, 25, v2
	v_lshlrev_b16 v2, 8, v2
	s_delay_alu instid0(VALU_DEP_2) | instskip(NEXT) | instid1(VALU_DEP_2)
	v_lshrrev_b32_e32 v4, 4, v3
	v_and_or_b32 v5, 0x7f00, v2, 0.5
	v_bfe_i32 v2, v2, 0, 16
	s_delay_alu instid0(VALU_DEP_3) | instskip(NEXT) | instid1(VALU_DEP_1)
	v_or_b32_e32 v4, 0x70000000, v4
	v_dual_add_f32 v5, -0.5, v5 :: v_dual_mul_f32 v4, 0x7800000, v4
	v_cmp_gt_u32_e32 vcc_lo, 0x8000000, v3
	s_delay_alu instid0(VALU_DEP_2) | instskip(NEXT) | instid1(VALU_DEP_1)
	v_cndmask_b32_e32 v3, v4, v5, vcc_lo
	v_and_or_b32 v4, 0x80000000, v2, v3
.LBB18_879:
	s_mov_b32 s19, 0
	s_mov_b32 s20, -1
.LBB18_880:
	s_and_not1_b32 vcc_lo, exec_lo, s19
	s_mov_b32 s19, 0
	s_cbranch_vccnz .LBB18_891
; %bb.881:
	v_cmp_lt_i16_e32 vcc_lo, 14, v9
	s_cbranch_vccz .LBB18_884
; %bb.882:
	v_cmp_eq_u16_e32 vcc_lo, 15, v9
	s_cbranch_vccz .LBB18_887
; %bb.883:
	global_load_u16 v2, v[0:1], off
	s_mov_b32 s0, 0
	s_mov_b32 s20, -1
	s_waitcnt vmcnt(0)
	v_lshlrev_b32_e32 v4, 16, v2
	s_branch .LBB18_889
.LBB18_884:
	s_mov_b32 s19, -1
	s_branch .LBB18_888
.LBB18_885:
	s_or_saveexec_b32 s21, s21
	v_mov_b32_e32 v4, s20
	s_xor_b32 exec_lo, exec_lo, s21
	s_cbranch_execz .LBB18_866
.LBB18_886:
	v_cmp_ne_u16_e32 vcc_lo, 0, v2
	v_mov_b32_e32 v4, 0
	s_and_not1_b32 s19, s19, exec_lo
	s_and_b32 s20, vcc_lo, exec_lo
	s_delay_alu instid0(SALU_CYCLE_1)
	s_or_b32 s19, s19, s20
	s_or_b32 exec_lo, exec_lo, s21
	s_and_saveexec_b32 s20, s19
	s_cbranch_execnz .LBB18_867
	s_branch .LBB18_868
.LBB18_887:
	s_mov_b32 s0, -1
.LBB18_888:
                                        ; implicit-def: $vgpr4
.LBB18_889:
	s_and_b32 vcc_lo, exec_lo, s19
	s_mov_b32 s19, 0
	s_cbranch_vccz .LBB18_891
; %bb.890:
	v_cmp_ne_u16_e32 vcc_lo, 11, v9
	s_and_not1_b32 s0, s0, exec_lo
	s_mov_b32 s19, -1
                                        ; implicit-def: $vgpr4
	s_and_b32 s21, vcc_lo, exec_lo
	s_delay_alu instid0(SALU_CYCLE_1)
	s_or_b32 s0, s0, s21
.LBB18_891:
	s_mov_b32 s22, 0
.LBB18_892:
	s_and_b32 s21, s20, exec_lo
	s_and_b32 s20, s22, exec_lo
	s_and_not1_b32 s22, s17, exec_lo
	s_and_b32 s23, s0, exec_lo
	s_and_b32 s0, s19, exec_lo
	s_or_b32 s19, s22, s23
.LBB18_893:
	s_or_b32 exec_lo, exec_lo, s10
	s_delay_alu instid0(SALU_CYCLE_1)
	s_and_not1_b32 s10, s17, exec_lo
	s_and_b32 s17, s19, exec_lo
	s_and_b32 s21, s21, exec_lo
	;; [unrolled: 1-line block ×4, first 2 shown]
	s_or_b32 s17, s10, s17
.LBB18_894:
	s_or_b32 exec_lo, exec_lo, s16
	s_delay_alu instid0(SALU_CYCLE_1)
	s_and_not1_b32 s0, s14, exec_lo
	s_and_b32 s10, s18, exec_lo
	s_and_b32 s18, s20, exec_lo
	s_or_b32 s14, s0, s10
	s_and_not1_b32 s10, s13, exec_lo
	s_and_b32 s13, s17, exec_lo
	s_and_b32 s0, s21, exec_lo
	;; [unrolled: 1-line block ×3, first 2 shown]
	s_or_b32 s13, s10, s13
.LBB18_895:
	s_or_b32 exec_lo, exec_lo, s15
	s_delay_alu instid0(SALU_CYCLE_1)
	s_and_not1_b32 s9, s9, exec_lo
	s_and_b32 s10, s14, exec_lo
	s_and_b32 s0, s0, exec_lo
	s_or_b32 s9, s9, s10
	s_and_not1_b32 s10, s11, exec_lo
	s_and_b32 s11, s13, exec_lo
	s_and_b32 s14, s18, exec_lo
	;; [unrolled: 1-line block ×3, first 2 shown]
	s_or_b32 s11, s10, s11
.LBB18_896:
	s_or_b32 exec_lo, exec_lo, s12
	s_mov_b32 s10, 0
	s_and_saveexec_b32 s12, s11
	s_cbranch_execnz .LBB18_908
; %bb.897:
	s_or_b32 exec_lo, exec_lo, s12
	s_and_saveexec_b32 s11, s13
	s_delay_alu instid0(SALU_CYCLE_1)
	s_xor_b32 s11, exec_lo, s11
	s_cbranch_execz .LBB18_899
.LBB18_898:
	global_load_u8 v2, v[0:1], off
	s_or_b32 s0, s0, exec_lo
	s_waitcnt vmcnt(0)
	v_cmp_ne_u16_e32 vcc_lo, 0, v2
	v_cndmask_b32_e64 v4, 0, 1.0, vcc_lo
.LBB18_899:
	s_or_b32 exec_lo, exec_lo, s11
	s_and_saveexec_b32 s11, s14
	s_cbranch_execz .LBB18_947
; %bb.900:
	v_cmp_gt_i16_e32 vcc_lo, 5, v9
	s_cbranch_vccnz .LBB18_905
; %bb.901:
	v_cmp_gt_i16_e32 vcc_lo, 8, v9
	s_cbranch_vccnz .LBB18_906
	;; [unrolled: 3-line block ×3, first 2 shown]
; %bb.903:
	v_cmp_lt_i16_e32 vcc_lo, 9, v9
	s_cbranch_vccz .LBB18_910
; %bb.904:
	global_load_b64 v[2:3], v[0:1], off
	s_mov_b32 s12, 0
	s_waitcnt vmcnt(0)
	v_cvt_f32_f64_e32 v4, v[2:3]
	s_branch .LBB18_911
.LBB18_905:
                                        ; implicit-def: $vgpr4
	s_branch .LBB18_928
.LBB18_906:
                                        ; implicit-def: $vgpr4
	s_branch .LBB18_917
.LBB18_907:
	s_mov_b32 s12, -1
                                        ; implicit-def: $vgpr4
	s_branch .LBB18_914
.LBB18_908:
	s_cbranch_execnz .LBB18_968
; %bb.909:
	s_mov_b32 s10, exec_lo
	s_and_not1_b32 s13, s13, exec_lo
                                        ; implicit-def: $vgpr4
	s_or_b32 exec_lo, exec_lo, s12
	s_and_saveexec_b32 s11, s13
	s_delay_alu instid0(SALU_CYCLE_1)
	s_xor_b32 s11, exec_lo, s11
	s_cbranch_execnz .LBB18_898
	s_branch .LBB18_899
.LBB18_910:
	s_mov_b32 s12, -1
                                        ; implicit-def: $vgpr4
.LBB18_911:
	s_delay_alu instid0(SALU_CYCLE_1)
	s_and_not1_b32 vcc_lo, exec_lo, s12
	s_cbranch_vccnz .LBB18_913
; %bb.912:
	global_load_b32 v4, v[0:1], off
.LBB18_913:
	s_mov_b32 s12, 0
.LBB18_914:
	s_delay_alu instid0(SALU_CYCLE_1)
	s_and_not1_b32 vcc_lo, exec_lo, s12
	s_cbranch_vccnz .LBB18_916
; %bb.915:
	global_load_b32 v2, v[0:1], off
	s_waitcnt vmcnt(0)
	v_cvt_f32_f16_e32 v4, v2
.LBB18_916:
	s_cbranch_execnz .LBB18_927
.LBB18_917:
	v_cmp_gt_i16_e32 vcc_lo, 6, v9
	s_cbranch_vccnz .LBB18_920
; %bb.918:
	v_cmp_lt_i16_e32 vcc_lo, 6, v9
	s_cbranch_vccz .LBB18_921
; %bb.919:
	global_load_b64 v[2:3], v[0:1], off
	s_mov_b32 s12, 0
	s_waitcnt vmcnt(0)
	v_cvt_f32_f64_e32 v4, v[2:3]
	s_branch .LBB18_922
.LBB18_920:
	s_mov_b32 s12, -1
                                        ; implicit-def: $vgpr4
	s_branch .LBB18_925
.LBB18_921:
	s_mov_b32 s12, -1
                                        ; implicit-def: $vgpr4
.LBB18_922:
	s_delay_alu instid0(SALU_CYCLE_1)
	s_and_not1_b32 vcc_lo, exec_lo, s12
	s_cbranch_vccnz .LBB18_924
; %bb.923:
	global_load_b32 v4, v[0:1], off
.LBB18_924:
	s_mov_b32 s12, 0
.LBB18_925:
	s_delay_alu instid0(SALU_CYCLE_1)
	s_and_not1_b32 vcc_lo, exec_lo, s12
	s_cbranch_vccnz .LBB18_927
; %bb.926:
	global_load_u16 v2, v[0:1], off
	s_waitcnt vmcnt(0)
	v_cvt_f32_f16_e32 v4, v2
.LBB18_927:
	s_cbranch_execnz .LBB18_946
.LBB18_928:
	v_cmp_gt_i16_e32 vcc_lo, 2, v9
	s_cbranch_vccnz .LBB18_932
; %bb.929:
	v_cmp_gt_i16_e32 vcc_lo, 3, v9
	s_cbranch_vccnz .LBB18_933
; %bb.930:
	v_cmp_lt_i16_e32 vcc_lo, 3, v9
	s_cbranch_vccz .LBB18_934
; %bb.931:
	global_load_b64 v[2:3], v[0:1], off
	s_mov_b32 s12, 0
	s_waitcnt vmcnt(0)
	v_xor_b32_e32 v4, v2, v3
	v_cls_i32_e32 v5, v3
	s_delay_alu instid0(VALU_DEP_2) | instskip(NEXT) | instid1(VALU_DEP_2)
	v_ashrrev_i32_e32 v4, 31, v4
	v_add_nc_u32_e32 v5, -1, v5
	s_delay_alu instid0(VALU_DEP_2) | instskip(NEXT) | instid1(VALU_DEP_1)
	v_add_nc_u32_e32 v4, 32, v4
	v_min_u32_e32 v4, v5, v4
	s_delay_alu instid0(VALU_DEP_1) | instskip(NEXT) | instid1(VALU_DEP_1)
	v_lshlrev_b64 v[2:3], v4, v[2:3]
	v_min_u32_e32 v2, 1, v2
	s_delay_alu instid0(VALU_DEP_1) | instskip(SKIP_1) | instid1(VALU_DEP_2)
	v_or_b32_e32 v2, v3, v2
	v_sub_nc_u32_e32 v3, 32, v4
	v_cvt_f32_i32_e32 v2, v2
	s_delay_alu instid0(VALU_DEP_1)
	v_ldexp_f32 v4, v2, v3
	s_branch .LBB18_935
.LBB18_932:
                                        ; implicit-def: $vgpr4
	s_branch .LBB18_941
.LBB18_933:
	s_mov_b32 s12, -1
                                        ; implicit-def: $vgpr4
	s_branch .LBB18_938
.LBB18_934:
	s_mov_b32 s12, -1
                                        ; implicit-def: $vgpr4
.LBB18_935:
	s_delay_alu instid0(SALU_CYCLE_1)
	s_and_not1_b32 vcc_lo, exec_lo, s12
	s_cbranch_vccnz .LBB18_937
; %bb.936:
	global_load_b32 v2, v[0:1], off
	s_waitcnt vmcnt(0)
	v_cvt_f32_i32_e32 v4, v2
.LBB18_937:
	s_mov_b32 s12, 0
.LBB18_938:
	s_delay_alu instid0(SALU_CYCLE_1)
	s_and_not1_b32 vcc_lo, exec_lo, s12
	s_cbranch_vccnz .LBB18_940
; %bb.939:
	global_load_i16 v2, v[0:1], off
	s_waitcnt vmcnt(0)
	v_cvt_f32_i32_e32 v4, v2
.LBB18_940:
	s_cbranch_execnz .LBB18_946
.LBB18_941:
	v_cmp_lt_i16_e32 vcc_lo, 0, v9
	s_mov_b32 s12, 0
	s_cbranch_vccz .LBB18_943
; %bb.942:
	global_load_i8 v2, v[0:1], off
	s_waitcnt vmcnt(0)
	v_cvt_f32_i32_e32 v4, v2
	s_branch .LBB18_944
.LBB18_943:
	s_mov_b32 s12, -1
                                        ; implicit-def: $vgpr4
.LBB18_944:
	s_delay_alu instid0(SALU_CYCLE_1)
	s_and_not1_b32 vcc_lo, exec_lo, s12
	s_cbranch_vccnz .LBB18_946
; %bb.945:
	global_load_u8 v0, v[0:1], off
	s_waitcnt vmcnt(0)
	v_cvt_f32_ubyte0_e32 v4, v0
.LBB18_946:
	s_or_b32 s0, s0, exec_lo
.LBB18_947:
	s_or_b32 exec_lo, exec_lo, s11
	s_mov_b32 s13, 0
	s_mov_b32 s12, 0
                                        ; implicit-def: $vgpr5
                                        ; implicit-def: $vgpr2_vgpr3
                                        ; implicit-def: $vgpr0
	s_and_saveexec_b32 s11, s0
	s_cbranch_execz .LBB18_1039
; %bb.948:
	s_waitcnt vmcnt(0)
	s_delay_alu instid0(VALU_DEP_1) | instskip(NEXT) | instid1(VALU_DEP_1)
	v_cmp_ge_f32_e64 s0, 0x41000000, |v4|
                                        ; implicit-def: $vgpr0
	s_and_saveexec_b32 s12, s0
	s_delay_alu instid0(SALU_CYCLE_1)
	s_xor_b32 s0, exec_lo, s12
	s_cbranch_execz .LBB18_954
; %bb.949:
	v_fma_f32 v0, |v4|, 0.5, -2.0
	s_mov_b32 s12, 0x224cf950
	s_delay_alu instid0(VALU_DEP_1) | instid1(SALU_CYCLE_1)
	v_fmaak_f32 v1, s12, v0, 0xa3c2be86
	s_mov_b32 s12, exec_lo
	s_delay_alu instid0(VALU_DEP_1) | instskip(NEXT) | instid1(VALU_DEP_1)
	v_fmaak_f32 v2, v0, v1, 0xa24cf950
	v_add_f32_e32 v2, 0x25331f1f, v2
	s_delay_alu instid0(VALU_DEP_1) | instskip(NEXT) | instid1(VALU_DEP_1)
	v_fma_f32 v1, v0, v2, -v1
	v_add_f32_e32 v1, 0xa69f5554, v1
	s_delay_alu instid0(VALU_DEP_1) | instskip(NEXT) | instid1(VALU_DEP_1)
	v_fma_f32 v2, v0, v1, -v2
	;; [unrolled: 3-line block ×26, first 2 shown]
	v_add_f32_e32 v0, 0x3e81531c, v0
	s_delay_alu instid0(VALU_DEP_1)
	v_sub_f32_e32 v1, v0, v2
                                        ; implicit-def: $vgpr0
	v_cmpx_ngt_f32_e32 0, v4
	s_xor_b32 s12, exec_lo, s12
	s_cbranch_execz .LBB18_951
; %bb.950:
	v_mul_f32_e64 v0, 0x3fb8aa3b, |v4|
	v_cmp_ngt_f32_e64 vcc_lo, 0xc2ce8ed0, |v4|
	v_mul_f32_e32 v1, 0.5, v1
	s_delay_alu instid0(VALU_DEP_3) | instskip(SKIP_1) | instid1(VALU_DEP_3)
	v_rndne_f32_e32 v2, v0
	v_fma_f32 v3, 0x3fb8aa3b, |v4|, -v0
	v_mul_f32_e64 v1, |v4|, v1
	s_delay_alu instid0(VALU_DEP_3) | instskip(NEXT) | instid1(VALU_DEP_3)
	v_sub_f32_e32 v0, v0, v2
	v_fma_f32 v3, 0x32a5705f, |v4|, v3
	v_cvt_i32_f32_e32 v2, v2
	s_delay_alu instid0(VALU_DEP_2) | instskip(NEXT) | instid1(VALU_DEP_1)
	v_add_f32_e32 v0, v0, v3
	v_exp_f32_e32 v0, v0
	s_waitcnt_depctr 0xfff
	v_ldexp_f32 v0, v0, v2
	s_delay_alu instid0(VALU_DEP_1) | instskip(SKIP_1) | instid1(VALU_DEP_2)
	v_cndmask_b32_e32 v0, 0, v0, vcc_lo
	v_cmp_nlt_f32_e64 vcc_lo, 0x42b17218, |v4|
                                        ; implicit-def: $vgpr4
	v_cndmask_b32_e32 v0, 0x7f800000, v0, vcc_lo
	s_delay_alu instid0(VALU_DEP_1)
	v_mul_f32_e32 v0, v0, v1
                                        ; implicit-def: $vgpr1
.LBB18_951:
	s_and_not1_saveexec_b32 s12, s12
	s_cbranch_execz .LBB18_953
; %bb.952:
	v_mul_f32_e64 v0, 0x3fb8aa3b, |v4|
	v_cmp_ngt_f32_e64 vcc_lo, 0xc2ce8ed0, |v4|
	v_mul_f32_e32 v1, -0.5, v1
	s_delay_alu instid0(VALU_DEP_3) | instskip(SKIP_1) | instid1(VALU_DEP_3)
	v_rndne_f32_e32 v2, v0
	v_fma_f32 v3, 0x3fb8aa3b, |v4|, -v0
	v_mul_f32_e64 v1, |v4|, v1
	s_delay_alu instid0(VALU_DEP_3) | instskip(NEXT) | instid1(VALU_DEP_3)
	v_sub_f32_e32 v0, v0, v2
	v_fma_f32 v3, 0x32a5705f, |v4|, v3
	v_cvt_i32_f32_e32 v2, v2
	s_delay_alu instid0(VALU_DEP_2) | instskip(NEXT) | instid1(VALU_DEP_1)
	v_add_f32_e32 v0, v0, v3
	v_exp_f32_e32 v0, v0
	s_waitcnt_depctr 0xfff
	v_ldexp_f32 v0, v0, v2
	s_delay_alu instid0(VALU_DEP_1) | instskip(SKIP_1) | instid1(VALU_DEP_2)
	v_cndmask_b32_e32 v0, 0, v0, vcc_lo
	v_cmp_nlt_f32_e64 vcc_lo, 0x42b17218, |v4|
	v_cndmask_b32_e32 v0, 0x7f800000, v0, vcc_lo
	s_delay_alu instid0(VALU_DEP_1)
	v_mul_f32_e32 v0, v0, v1
.LBB18_953:
	s_or_b32 exec_lo, exec_lo, s12
                                        ; implicit-def: $vgpr4
.LBB18_954:
	s_and_not1_saveexec_b32 s12, s0
	s_cbranch_execz .LBB18_960
; %bb.955:
	v_and_b32_e32 v0, 0x7fffffff, v4
	s_mov_b32 s0, 0x230aab6e
	s_delay_alu instid0(VALU_DEP_1) | instskip(SKIP_1) | instid1(VALU_DEP_2)
	v_div_scale_f32 v1, null, v0, v0, 0x42000000
	v_div_scale_f32 v0, vcc_lo, 0x42000000, v0, 0x42000000
	v_rcp_f32_e32 v2, v1
	s_waitcnt_depctr 0xfff
	v_fma_f32 v3, -v1, v2, 1.0
	s_delay_alu instid0(VALU_DEP_1) | instskip(NEXT) | instid1(VALU_DEP_1)
	v_fmac_f32_e32 v2, v3, v2
	v_mul_f32_e32 v3, v0, v2
	s_delay_alu instid0(VALU_DEP_1) | instskip(NEXT) | instid1(VALU_DEP_1)
	v_fma_f32 v5, -v1, v3, v0
	v_fmac_f32_e32 v3, v5, v2
	s_delay_alu instid0(VALU_DEP_1) | instskip(NEXT) | instid1(VALU_DEP_1)
	v_fma_f32 v0, -v1, v3, v0
	v_div_fmas_f32 v0, v0, v2, v3
	v_mul_f32_e64 v3, 0x3fb8aa3b, |v4|
	v_cmp_ngt_f32_e64 vcc_lo, 0xc2ce8ed0, |v4|
	s_delay_alu instid0(VALU_DEP_3) | instskip(NEXT) | instid1(VALU_DEP_3)
	v_div_fixup_f32 v0, v0, |v4|, 0x42000000
	v_rndne_f32_e32 v5, v3
	v_fma_f32 v6, 0x3fb8aa3b, |v4|, -v3
	s_delay_alu instid0(VALU_DEP_2) | instskip(NEXT) | instid1(VALU_DEP_2)
	v_dual_add_f32 v0, -2.0, v0 :: v_dual_sub_f32 v3, v3, v5
	v_fma_f32 v6, 0x32a5705f, |v4|, v6
	v_cvt_i32_f32_e32 v5, v5
	s_delay_alu instid0(VALU_DEP_3) | instskip(SKIP_1) | instid1(VALU_DEP_2)
	v_fmaak_f32 v1, s0, v0, 0x22a2dc57
	v_cmp_nlt_f32_e64 s0, 0x42b17218, |v4|
	v_dual_add_f32 v3, v3, v6 :: v_dual_fmaak_f32 v2, v0, v1, 0xa30aab6e
	s_delay_alu instid0(VALU_DEP_1) | instskip(NEXT) | instid1(VALU_DEP_1)
	v_exp_f32_e32 v3, v3
	v_add_f32_e32 v2, 0xa456751e, v2
	s_delay_alu instid0(VALU_DEP_1) | instskip(NEXT) | instid1(VALU_DEP_1)
	v_fma_f32 v1, v0, v2, -v1
	v_add_f32_e32 v1, 0xa4140365, v1
	s_delay_alu instid0(VALU_DEP_1) | instskip(NEXT) | instid1(VALU_DEP_1)
	v_fma_f32 v2, v0, v1, -v2
	;; [unrolled: 3-line block ×21, first 2 shown]
	v_add_f32_e32 v1, 0xbc1fed03, v1
	s_delay_alu instid0(VALU_DEP_1) | instskip(SKIP_2) | instid1(VALU_DEP_2)
	v_fma_f32 v0, v0, v1, -v2
	v_ldexp_f32 v1, v3, v5
	v_mul_f32_e64 v3, 0x4f800000, |v4|
	v_dual_add_f32 v0, 0x3f4750c6, v0 :: v_dual_cndmask_b32 v1, 0, v1
	s_delay_alu instid0(VALU_DEP_1) | instskip(NEXT) | instid1(VALU_DEP_2)
	v_sub_f32_e32 v0, v0, v2
	v_cndmask_b32_e64 v1, 0x7f800000, v1, s0
	s_mov_b32 s0, exec_lo
	s_delay_alu instid0(VALU_DEP_2)
	v_mul_f32_e32 v2, 0.5, v0
                                        ; implicit-def: $vgpr0
	v_cmpx_ngt_f32_e32 0, v4
	s_xor_b32 s13, exec_lo, s0
	s_cbranch_execz .LBB18_957
; %bb.956:
	v_cmp_gt_f32_e64 vcc_lo, 0xf800000, |v4|
	v_mul_f32_e32 v1, v1, v2
	s_delay_alu instid0(VALU_DEP_2) | instskip(NEXT) | instid1(VALU_DEP_1)
	v_cndmask_b32_e64 v0, |v4|, v3, vcc_lo
	v_sqrt_f32_e32 v3, v0
	s_waitcnt_depctr 0xfff
	v_add_nc_u32_e32 v4, -1, v3
	v_add_nc_u32_e32 v5, 1, v3
	s_delay_alu instid0(VALU_DEP_2) | instskip(NEXT) | instid1(VALU_DEP_2)
	v_fma_f32 v6, -v4, v3, v0
	v_fma_f32 v9, -v5, v3, v0
	s_delay_alu instid0(VALU_DEP_2) | instskip(NEXT) | instid1(VALU_DEP_1)
	v_cmp_ge_f32_e64 s0, 0, v6
	v_cndmask_b32_e64 v3, v3, v4, s0
	s_delay_alu instid0(VALU_DEP_3) | instskip(NEXT) | instid1(VALU_DEP_1)
	v_cmp_lt_f32_e64 s0, 0, v9
	v_cndmask_b32_e64 v3, v3, v5, s0
	s_delay_alu instid0(VALU_DEP_1) | instskip(NEXT) | instid1(VALU_DEP_1)
	v_mul_f32_e32 v4, 0x37800000, v3
	v_cndmask_b32_e32 v3, v3, v4, vcc_lo
	v_cmp_class_f32_e64 vcc_lo, v0, 0x260
	s_delay_alu instid0(VALU_DEP_2) | instskip(NEXT) | instid1(VALU_DEP_1)
	v_cndmask_b32_e32 v0, v3, v0, vcc_lo
	v_div_scale_f32 v2, null, v0, v0, v1
	s_delay_alu instid0(VALU_DEP_1) | instskip(SKIP_2) | instid1(VALU_DEP_1)
	v_rcp_f32_e32 v3, v2
	s_waitcnt_depctr 0xfff
	v_fma_f32 v4, -v2, v3, 1.0
	v_fmac_f32_e32 v3, v4, v3
	v_div_scale_f32 v4, vcc_lo, v1, v0, v1
	s_delay_alu instid0(VALU_DEP_1) | instskip(NEXT) | instid1(VALU_DEP_1)
	v_mul_f32_e32 v5, v4, v3
	v_fma_f32 v6, -v2, v5, v4
	s_delay_alu instid0(VALU_DEP_1) | instskip(NEXT) | instid1(VALU_DEP_1)
	v_fmac_f32_e32 v5, v6, v3
	v_fma_f32 v2, -v2, v5, v4
                                        ; implicit-def: $vgpr4
	s_delay_alu instid0(VALU_DEP_1) | instskip(NEXT) | instid1(VALU_DEP_1)
	v_div_fmas_f32 v2, v2, v3, v5
                                        ; implicit-def: $vgpr3
	v_div_fixup_f32 v0, v2, v0, v1
                                        ; implicit-def: $vgpr1
                                        ; implicit-def: $vgpr2
.LBB18_957:
	s_and_not1_saveexec_b32 s13, s13
	s_cbranch_execz .LBB18_959
; %bb.958:
	v_cmp_gt_f32_e64 vcc_lo, 0xf800000, |v4|
	v_mul_f32_e64 v1, v2, -v1
	s_delay_alu instid0(VALU_DEP_2) | instskip(NEXT) | instid1(VALU_DEP_1)
	v_cndmask_b32_e64 v0, |v4|, v3, vcc_lo
	v_sqrt_f32_e32 v3, v0
	s_waitcnt_depctr 0xfff
	v_add_nc_u32_e32 v4, -1, v3
	v_add_nc_u32_e32 v5, 1, v3
	s_delay_alu instid0(VALU_DEP_2) | instskip(NEXT) | instid1(VALU_DEP_2)
	v_fma_f32 v6, -v4, v3, v0
	v_fma_f32 v9, -v5, v3, v0
	s_delay_alu instid0(VALU_DEP_2) | instskip(NEXT) | instid1(VALU_DEP_1)
	v_cmp_ge_f32_e64 s0, 0, v6
	v_cndmask_b32_e64 v3, v3, v4, s0
	s_delay_alu instid0(VALU_DEP_3) | instskip(NEXT) | instid1(VALU_DEP_1)
	v_cmp_lt_f32_e64 s0, 0, v9
	v_cndmask_b32_e64 v3, v3, v5, s0
	s_delay_alu instid0(VALU_DEP_1) | instskip(NEXT) | instid1(VALU_DEP_1)
	v_mul_f32_e32 v4, 0x37800000, v3
	v_cndmask_b32_e32 v3, v3, v4, vcc_lo
	v_cmp_class_f32_e64 vcc_lo, v0, 0x260
	s_delay_alu instid0(VALU_DEP_2) | instskip(NEXT) | instid1(VALU_DEP_1)
	v_cndmask_b32_e32 v0, v3, v0, vcc_lo
	v_div_scale_f32 v2, null, v0, v0, v1
	s_delay_alu instid0(VALU_DEP_1) | instskip(SKIP_2) | instid1(VALU_DEP_1)
	v_rcp_f32_e32 v3, v2
	s_waitcnt_depctr 0xfff
	v_fma_f32 v4, -v2, v3, 1.0
	v_fmac_f32_e32 v3, v4, v3
	v_div_scale_f32 v4, vcc_lo, v1, v0, v1
	s_delay_alu instid0(VALU_DEP_1) | instskip(NEXT) | instid1(VALU_DEP_1)
	v_mul_f32_e32 v5, v4, v3
	v_fma_f32 v6, -v2, v5, v4
	s_delay_alu instid0(VALU_DEP_1) | instskip(NEXT) | instid1(VALU_DEP_1)
	v_fmac_f32_e32 v5, v6, v3
	v_fma_f32 v2, -v2, v5, v4
	s_delay_alu instid0(VALU_DEP_1) | instskip(NEXT) | instid1(VALU_DEP_1)
	v_div_fmas_f32 v2, v2, v3, v5
	v_div_fixup_f32 v0, v2, v0, v1
.LBB18_959:
	s_or_b32 exec_lo, exec_lo, s13
.LBB18_960:
	s_delay_alu instid0(SALU_CYCLE_1) | instskip(SKIP_2) | instid1(VALU_DEP_1)
	s_or_b32 exec_lo, exec_lo, s12
	v_mul_lo_u32 v1, v8, s2
	v_and_b32_e32 v5, 0xff, v7
	v_cmp_gt_i16_e32 vcc_lo, 11, v5
	s_delay_alu instid0(VALU_DEP_3) | instskip(SKIP_1) | instid1(VALU_DEP_1)
	v_ashrrev_i32_e32 v3, 31, v1
	v_add_co_u32 v2, s0, s4, v1
	v_add_co_ci_u32_e64 v3, s0, s5, v3, s0
	s_cbranch_vccnz .LBB18_967
; %bb.961:
	v_cmp_lt_i16_e32 vcc_lo, 25, v5
	s_mov_b32 s12, -1
	s_mov_b32 s0, s9
	s_cbranch_vccz .LBB18_997
; %bb.962:
	v_cmp_lt_i16_e32 vcc_lo, 28, v5
	s_mov_b32 s0, s9
	s_cbranch_vccz .LBB18_981
; %bb.963:
	v_cmp_lt_i16_e32 vcc_lo, 43, v5
	;; [unrolled: 4-line block ×3, first 2 shown]
	s_mov_b32 s0, s9
	s_cbranch_vccz .LBB18_971
; %bb.965:
	v_cmp_eq_u16_e32 vcc_lo, 46, v5
	s_mov_b32 s0, -1
	s_cbranch_vccz .LBB18_970
; %bb.966:
	v_bfe_u32 v1, v0, 16, 1
	v_cmp_o_f32_e32 vcc_lo, v0, v0
	s_mov_b32 s0, 0
	s_mov_b32 s12, 0
	s_delay_alu instid0(VALU_DEP_2) | instskip(NEXT) | instid1(VALU_DEP_1)
	v_add3_u32 v1, v0, v1, 0x7fff
	v_lshrrev_b32_e32 v1, 16, v1
	s_delay_alu instid0(VALU_DEP_1)
	v_cndmask_b32_e32 v1, 0x7fc0, v1, vcc_lo
	global_store_b32 v[2:3], v1, off
	s_branch .LBB18_971
.LBB18_967:
	s_mov_b32 s13, 0
	s_mov_b32 s12, -1
	s_mov_b32 s0, s9
	s_branch .LBB18_1038
.LBB18_968:
	s_trap 2
	s_sendmsg_rtn_b32 s0, sendmsg(MSG_RTN_GET_DOORBELL)
	s_mov_b32 ttmp2, m0
	s_waitcnt lgkmcnt(0)
	s_and_b32 s0, s0, 0x3ff
	s_delay_alu instid0(SALU_CYCLE_1) | instskip(NEXT) | instid1(SALU_CYCLE_1)
	s_bitset1_b32 s0, 10
	s_mov_b32 m0, s0
	s_sendmsg sendmsg(MSG_INTERRUPT)
	s_mov_b32 m0, ttmp2
.LBB18_969:                             ; =>This Inner Loop Header: Depth=1
	s_sethalt 5
	s_branch .LBB18_969
.LBB18_970:
	s_mov_b32 s12, 0
.LBB18_971:
	s_delay_alu instid0(SALU_CYCLE_1)
	s_and_b32 vcc_lo, exec_lo, s12
	s_cbranch_vccz .LBB18_976
; %bb.972:
	v_cmp_eq_u16_e32 vcc_lo, 44, v5
	s_mov_b32 s0, -1
	s_cbranch_vccz .LBB18_976
; %bb.973:
	v_bfe_u32 v4, v0, 23, 8
	v_mov_b32_e32 v1, 0xff
	s_mov_b32 s12, exec_lo
	s_delay_alu instid0(VALU_DEP_2)
	v_cmpx_ne_u32_e32 0xff, v4
; %bb.974:
	v_and_b32_e32 v1, 0x400000, v0
	v_and_or_b32 v4, 0x3fffff, v0, v4
	s_delay_alu instid0(VALU_DEP_2) | instskip(NEXT) | instid1(VALU_DEP_2)
	v_cmp_ne_u32_e32 vcc_lo, 0, v1
	v_cmp_ne_u32_e64 s0, 0, v4
	v_lshrrev_b32_e32 v1, 23, v0
	s_delay_alu instid0(VALU_DEP_2) | instskip(NEXT) | instid1(SALU_CYCLE_1)
	s_and_b32 s0, vcc_lo, s0
	v_cndmask_b32_e64 v4, 0, 1, s0
	s_delay_alu instid0(VALU_DEP_1)
	v_add_nc_u32_e32 v1, v1, v4
; %bb.975:
	s_or_b32 exec_lo, exec_lo, s12
	s_mov_b32 s0, 0
	global_store_b8 v[2:3], v1, off
.LBB18_976:
	s_mov_b32 s12, 0
.LBB18_977:
	s_delay_alu instid0(SALU_CYCLE_1)
	s_and_b32 vcc_lo, exec_lo, s12
	s_cbranch_vccz .LBB18_980
; %bb.978:
	v_cmp_eq_u16_e32 vcc_lo, 29, v5
	s_mov_b32 s0, -1
	s_cbranch_vccz .LBB18_980
; %bb.979:
	v_trunc_f32_e32 v1, v0
	s_mov_b32 s0, 0
	s_mov_b32 s12, 0
	s_delay_alu instid0(VALU_DEP_1) | instskip(NEXT) | instid1(VALU_DEP_1)
	v_mul_f32_e32 v4, 0x2f800000, v1
	v_floor_f32_e32 v4, v4
	s_delay_alu instid0(VALU_DEP_1) | instskip(SKIP_1) | instid1(VALU_DEP_2)
	v_fmamk_f32 v1, v4, 0xcf800000, v1
	v_cvt_u32_f32_e32 v7, v4
	v_cvt_u32_f32_e32 v6, v1
	global_store_b64 v[2:3], v[6:7], off
	s_branch .LBB18_981
.LBB18_980:
	s_mov_b32 s12, 0
.LBB18_981:
	s_delay_alu instid0(SALU_CYCLE_1)
	s_and_b32 vcc_lo, exec_lo, s12
	s_cbranch_vccz .LBB18_996
; %bb.982:
	v_cmp_gt_i16_e32 vcc_lo, 27, v5
	s_mov_b32 s12, -1
	s_cbranch_vccnz .LBB18_988
; %bb.983:
	v_cmp_lt_i16_e32 vcc_lo, 27, v5
	v_cvt_u32_f32_e32 v1, v0
	s_cbranch_vccz .LBB18_985
; %bb.984:
	s_mov_b32 s12, 0
	global_store_b32 v[2:3], v1, off
.LBB18_985:
	s_and_not1_b32 vcc_lo, exec_lo, s12
	s_cbranch_vccnz .LBB18_987
; %bb.986:
	global_store_b16 v[2:3], v1, off
.LBB18_987:
	s_mov_b32 s12, 0
.LBB18_988:
	s_delay_alu instid0(SALU_CYCLE_1)
	s_and_not1_b32 vcc_lo, exec_lo, s12
	s_cbranch_vccnz .LBB18_996
; %bb.989:
	v_and_b32_e32 v1, 0x7fffffff, v0
	v_mov_b32_e32 v4, 0x80
	s_mov_b32 s12, exec_lo
	s_delay_alu instid0(VALU_DEP_2)
	v_cmpx_gt_u32_e32 0x43800000, v1
	s_cbranch_execz .LBB18_995
; %bb.990:
	v_cmp_lt_u32_e32 vcc_lo, 0x3bffffff, v1
	s_mov_b32 s13, 0
                                        ; implicit-def: $vgpr1
	s_and_saveexec_b32 s14, vcc_lo
	s_delay_alu instid0(SALU_CYCLE_1)
	s_xor_b32 s14, exec_lo, s14
	s_cbranch_execz .LBB18_1242
; %bb.991:
	v_bfe_u32 v1, v0, 20, 1
	s_mov_b32 s13, exec_lo
	s_delay_alu instid0(VALU_DEP_1) | instskip(NEXT) | instid1(VALU_DEP_1)
	v_add3_u32 v1, v0, v1, 0x487ffff
	v_lshrrev_b32_e32 v1, 20, v1
	s_or_saveexec_b32 s14, s14
                                        ; implicit-def: $sgpr15
	s_delay_alu instid0(SALU_CYCLE_1)
	s_xor_b32 exec_lo, exec_lo, s14
	s_cbranch_execnz .LBB18_1243
.LBB18_992:
	s_or_b32 exec_lo, exec_lo, s14
	v_mov_b32_e32 v4, s15
	s_and_saveexec_b32 s14, s13
.LBB18_993:
	v_lshrrev_b32_e32 v4, 24, v0
	s_delay_alu instid0(VALU_DEP_1)
	v_and_or_b32 v4, 0x80, v4, v1
.LBB18_994:
	s_or_b32 exec_lo, exec_lo, s14
.LBB18_995:
	s_delay_alu instid0(SALU_CYCLE_1)
	s_or_b32 exec_lo, exec_lo, s12
	global_store_b8 v[2:3], v4, off
.LBB18_996:
	s_mov_b32 s12, 0
.LBB18_997:
	s_delay_alu instid0(SALU_CYCLE_1)
	s_and_b32 vcc_lo, exec_lo, s12
	s_mov_b32 s12, 0
	s_cbranch_vccz .LBB18_1037
; %bb.998:
	v_cmp_lt_i16_e32 vcc_lo, 22, v5
	s_mov_b32 s13, -1
	s_cbranch_vccz .LBB18_1030
; %bb.999:
	v_cmp_gt_i16_e32 vcc_lo, 24, v5
	s_cbranch_vccnz .LBB18_1019
; %bb.1000:
	v_cmp_lt_i16_e32 vcc_lo, 24, v5
	s_cbranch_vccz .LBB18_1008
; %bb.1001:
	v_and_b32_e32 v1, 0x7fffffff, v0
	v_mov_b32_e32 v4, 0x80
	s_mov_b32 s13, exec_lo
	s_delay_alu instid0(VALU_DEP_2)
	v_cmpx_gt_u32_e32 0x47800000, v1
	s_cbranch_execz .LBB18_1007
; %bb.1002:
	v_cmp_lt_u32_e32 vcc_lo, 0x37ffffff, v1
	s_mov_b32 s14, 0
                                        ; implicit-def: $vgpr1
	s_and_saveexec_b32 s15, vcc_lo
	s_delay_alu instid0(SALU_CYCLE_1)
	s_xor_b32 s15, exec_lo, s15
	s_cbranch_execz .LBB18_1286
; %bb.1003:
	v_bfe_u32 v1, v0, 21, 1
	s_mov_b32 s14, exec_lo
	s_delay_alu instid0(VALU_DEP_1) | instskip(NEXT) | instid1(VALU_DEP_1)
	v_add3_u32 v1, v0, v1, 0x88fffff
	v_lshrrev_b32_e32 v1, 21, v1
	s_or_saveexec_b32 s15, s15
                                        ; implicit-def: $sgpr16
	s_delay_alu instid0(SALU_CYCLE_1)
	s_xor_b32 exec_lo, exec_lo, s15
	s_cbranch_execnz .LBB18_1287
.LBB18_1004:
	s_or_b32 exec_lo, exec_lo, s15
	v_mov_b32_e32 v4, s16
	s_and_saveexec_b32 s15, s14
.LBB18_1005:
	v_lshrrev_b32_e32 v4, 24, v0
	s_delay_alu instid0(VALU_DEP_1)
	v_and_or_b32 v4, 0x80, v4, v1
.LBB18_1006:
	s_or_b32 exec_lo, exec_lo, s15
.LBB18_1007:
	s_delay_alu instid0(SALU_CYCLE_1)
	s_or_b32 exec_lo, exec_lo, s13
	s_mov_b32 s13, 0
	global_store_b8 v[2:3], v4, off
.LBB18_1008:
	s_and_b32 vcc_lo, exec_lo, s13
	s_cbranch_vccz .LBB18_1018
; %bb.1009:
	v_and_b32_e32 v4, 0x7fffffff, v0
	s_mov_b32 s13, exec_lo
                                        ; implicit-def: $vgpr1
	s_delay_alu instid0(VALU_DEP_1)
	v_cmpx_gt_u32_e32 0x43f00000, v4
	s_xor_b32 s13, exec_lo, s13
	s_cbranch_execz .LBB18_1015
; %bb.1010:
	s_mov_b32 s14, exec_lo
                                        ; implicit-def: $vgpr1
	v_cmpx_lt_u32_e32 0x3c7fffff, v4
	s_xor_b32 s14, exec_lo, s14
; %bb.1011:
	v_bfe_u32 v1, v0, 20, 1
	s_delay_alu instid0(VALU_DEP_1) | instskip(NEXT) | instid1(VALU_DEP_1)
	v_add3_u32 v1, v0, v1, 0x407ffff
	v_and_b32_e32 v4, 0xff00000, v1
	v_lshrrev_b32_e32 v1, 20, v1
	s_delay_alu instid0(VALU_DEP_2) | instskip(NEXT) | instid1(VALU_DEP_2)
	v_cmp_ne_u32_e32 vcc_lo, 0x7f00000, v4
	v_cndmask_b32_e32 v1, 0x7e, v1, vcc_lo
; %bb.1012:
	s_and_not1_saveexec_b32 s14, s14
; %bb.1013:
	v_add_f32_e64 v1, 0x46800000, |v0|
; %bb.1014:
	s_or_b32 exec_lo, exec_lo, s14
                                        ; implicit-def: $vgpr4
.LBB18_1015:
	s_and_not1_saveexec_b32 s13, s13
; %bb.1016:
	v_mov_b32_e32 v1, 0x7f
	v_cmp_lt_u32_e32 vcc_lo, 0x7f800000, v4
	s_delay_alu instid0(VALU_DEP_2)
	v_cndmask_b32_e32 v1, 0x7e, v1, vcc_lo
; %bb.1017:
	s_or_b32 exec_lo, exec_lo, s13
	v_lshrrev_b32_e32 v4, 24, v0
	s_delay_alu instid0(VALU_DEP_1)
	v_and_or_b32 v1, 0x80, v4, v1
	global_store_b8 v[2:3], v1, off
.LBB18_1018:
	s_mov_b32 s13, 0
.LBB18_1019:
	s_delay_alu instid0(SALU_CYCLE_1)
	s_and_not1_b32 vcc_lo, exec_lo, s13
	s_cbranch_vccnz .LBB18_1029
; %bb.1020:
	v_and_b32_e32 v4, 0x7fffffff, v0
	s_mov_b32 s13, exec_lo
                                        ; implicit-def: $vgpr1
	s_delay_alu instid0(VALU_DEP_1)
	v_cmpx_gt_u32_e32 0x47800000, v4
	s_xor_b32 s13, exec_lo, s13
	s_cbranch_execz .LBB18_1026
; %bb.1021:
	s_mov_b32 s14, exec_lo
                                        ; implicit-def: $vgpr1
	v_cmpx_lt_u32_e32 0x387fffff, v4
	s_xor_b32 s14, exec_lo, s14
; %bb.1022:
	v_bfe_u32 v1, v0, 21, 1
	s_delay_alu instid0(VALU_DEP_1) | instskip(NEXT) | instid1(VALU_DEP_1)
	v_add3_u32 v1, v0, v1, 0x80fffff
	v_lshrrev_b32_e32 v1, 21, v1
; %bb.1023:
	s_and_not1_saveexec_b32 s14, s14
; %bb.1024:
	v_add_f32_e64 v1, 0x43000000, |v0|
; %bb.1025:
	s_or_b32 exec_lo, exec_lo, s14
                                        ; implicit-def: $vgpr4
.LBB18_1026:
	s_and_not1_saveexec_b32 s13, s13
; %bb.1027:
	v_mov_b32_e32 v1, 0x7f
	v_cmp_lt_u32_e32 vcc_lo, 0x7f800000, v4
	s_delay_alu instid0(VALU_DEP_2)
	v_cndmask_b32_e32 v1, 0x7c, v1, vcc_lo
; %bb.1028:
	s_or_b32 exec_lo, exec_lo, s13
	v_lshrrev_b32_e32 v4, 24, v0
	s_delay_alu instid0(VALU_DEP_1)
	v_and_or_b32 v1, 0x80, v4, v1
	global_store_b8 v[2:3], v1, off
.LBB18_1029:
	s_mov_b32 s13, 0
.LBB18_1030:
	s_delay_alu instid0(SALU_CYCLE_1)
	s_and_not1_b32 vcc_lo, exec_lo, s13
	s_mov_b32 s13, 0
	s_cbranch_vccnz .LBB18_1038
; %bb.1031:
	v_cmp_lt_i16_e32 vcc_lo, 14, v5
	s_mov_b32 s13, -1
	s_cbranch_vccz .LBB18_1035
; %bb.1032:
	v_cmp_eq_u16_e32 vcc_lo, 15, v5
	s_mov_b32 s0, -1
	s_cbranch_vccz .LBB18_1034
; %bb.1033:
	v_bfe_u32 v1, v0, 16, 1
	v_cmp_o_f32_e32 vcc_lo, v0, v0
	s_mov_b32 s0, 0
	s_delay_alu instid0(VALU_DEP_2) | instskip(NEXT) | instid1(VALU_DEP_1)
	v_add3_u32 v1, v0, v1, 0x7fff
	v_lshrrev_b32_e32 v1, 16, v1
	s_delay_alu instid0(VALU_DEP_1)
	v_cndmask_b32_e32 v1, 0x7fc0, v1, vcc_lo
	global_store_b16 v[2:3], v1, off
.LBB18_1034:
	s_mov_b32 s13, 0
.LBB18_1035:
	s_delay_alu instid0(SALU_CYCLE_1)
	s_and_b32 vcc_lo, exec_lo, s13
	s_mov_b32 s13, 0
	s_cbranch_vccz .LBB18_1038
; %bb.1036:
	v_cmp_ne_u16_e32 vcc_lo, 11, v5
	s_and_not1_b32 s0, s0, exec_lo
	s_mov_b32 s13, -1
	s_and_b32 s14, vcc_lo, exec_lo
	s_delay_alu instid0(SALU_CYCLE_1)
	s_or_b32 s0, s0, s14
	s_branch .LBB18_1038
.LBB18_1037:
	s_mov_b32 s13, 0
.LBB18_1038:
	s_and_not1_b32 s9, s9, exec_lo
	s_and_b32 s0, s0, exec_lo
	s_and_b32 s12, s12, exec_lo
	;; [unrolled: 1-line block ×3, first 2 shown]
	s_or_b32 s9, s9, s0
.LBB18_1039:
	s_or_b32 exec_lo, exec_lo, s11
	s_and_saveexec_b32 s0, s9
	s_cbranch_execnz .LBB18_1101
; %bb.1040:
	s_or_b32 exec_lo, exec_lo, s0
	s_and_saveexec_b32 s0, s13
	s_delay_alu instid0(SALU_CYCLE_1)
	s_xor_b32 s0, exec_lo, s0
	s_cbranch_execz .LBB18_1042
.LBB18_1041:
	v_cmp_neq_f32_e32 vcc_lo, 0, v0
	v_cndmask_b32_e64 v1, 0, 1, vcc_lo
	s_waitcnt vmcnt(0)
	global_store_b8 v[2:3], v1, off
.LBB18_1042:
	s_or_b32 exec_lo, exec_lo, s0
	s_and_saveexec_b32 s0, s12
	s_delay_alu instid0(SALU_CYCLE_1)
	s_xor_b32 s0, exec_lo, s0
	s_cbranch_execz .LBB18_1080
; %bb.1043:
	v_cmp_gt_i16_e32 vcc_lo, 5, v5
	s_mov_b32 s9, -1
	s_cbranch_vccnz .LBB18_1064
; %bb.1044:
	v_cmp_gt_i16_e32 vcc_lo, 8, v5
	s_cbranch_vccnz .LBB18_1054
; %bb.1045:
	v_cmp_gt_i16_e32 vcc_lo, 9, v5
	s_cbranch_vccnz .LBB18_1051
; %bb.1046:
	v_cmp_lt_i16_e32 vcc_lo, 9, v5
	s_cbranch_vccz .LBB18_1048
; %bb.1047:
	v_cvt_f64_f32_e32 v[6:7], v0
	v_mov_b32_e32 v8, 0
	s_mov_b32 s9, 0
	s_delay_alu instid0(VALU_DEP_1)
	v_mov_b32_e32 v9, v8
	s_waitcnt vmcnt(0)
	global_store_b128 v[2:3], v[6:9], off
.LBB18_1048:
	s_and_not1_b32 vcc_lo, exec_lo, s9
	s_cbranch_vccnz .LBB18_1050
; %bb.1049:
	v_mov_b32_e32 v1, 0
	s_waitcnt vmcnt(0)
	global_store_b64 v[2:3], v[0:1], off
.LBB18_1050:
	s_mov_b32 s9, 0
.LBB18_1051:
	s_delay_alu instid0(SALU_CYCLE_1)
	s_and_not1_b32 vcc_lo, exec_lo, s9
	s_cbranch_vccnz .LBB18_1053
; %bb.1052:
	v_cvt_f16_f32_e32 v1, v0
	s_delay_alu instid0(VALU_DEP_1)
	v_and_b32_e32 v1, 0xffff, v1
	s_waitcnt vmcnt(0)
	global_store_b32 v[2:3], v1, off
.LBB18_1053:
	s_mov_b32 s9, 0
.LBB18_1054:
	s_delay_alu instid0(SALU_CYCLE_1)
	s_and_not1_b32 vcc_lo, exec_lo, s9
	s_cbranch_vccnz .LBB18_1063
; %bb.1055:
	v_cmp_gt_i16_e32 vcc_lo, 6, v5
	s_mov_b32 s9, -1
	s_cbranch_vccnz .LBB18_1061
; %bb.1056:
	v_cmp_lt_i16_e32 vcc_lo, 6, v5
	s_cbranch_vccz .LBB18_1058
; %bb.1057:
	v_cvt_f64_f32_e32 v[6:7], v0
	s_mov_b32 s9, 0
	s_waitcnt vmcnt(0)
	global_store_b64 v[2:3], v[6:7], off
.LBB18_1058:
	s_and_not1_b32 vcc_lo, exec_lo, s9
	s_cbranch_vccnz .LBB18_1060
; %bb.1059:
	s_waitcnt vmcnt(0)
	global_store_b32 v[2:3], v0, off
.LBB18_1060:
	s_mov_b32 s9, 0
.LBB18_1061:
	s_delay_alu instid0(SALU_CYCLE_1)
	s_and_not1_b32 vcc_lo, exec_lo, s9
	s_cbranch_vccnz .LBB18_1063
; %bb.1062:
	v_cvt_f16_f32_e32 v1, v0
	s_waitcnt vmcnt(0)
	global_store_b16 v[2:3], v1, off
.LBB18_1063:
	s_mov_b32 s9, 0
.LBB18_1064:
	s_delay_alu instid0(SALU_CYCLE_1)
	s_and_not1_b32 vcc_lo, exec_lo, s9
	s_cbranch_vccnz .LBB18_1080
; %bb.1065:
	v_cmp_gt_i16_e32 vcc_lo, 2, v5
	s_mov_b32 s9, -1
	s_cbranch_vccnz .LBB18_1075
; %bb.1066:
	v_cmp_gt_i16_e32 vcc_lo, 3, v5
	s_cbranch_vccnz .LBB18_1072
; %bb.1067:
	v_cmp_lt_i16_e32 vcc_lo, 3, v5
	s_cbranch_vccz .LBB18_1069
; %bb.1068:
	v_trunc_f32_e32 v1, v0
	s_mov_b32 s9, 0
	s_waitcnt vmcnt(0)
	s_delay_alu instid0(VALU_DEP_1) | instskip(NEXT) | instid1(VALU_DEP_1)
	v_mul_f32_e64 v4, 0x2f800000, |v1|
	v_floor_f32_e32 v4, v4
	s_delay_alu instid0(VALU_DEP_1) | instskip(SKIP_2) | instid1(VALU_DEP_3)
	v_fma_f32 v6, 0xcf800000, v4, |v1|
	v_ashrrev_i32_e32 v1, 31, v1
	v_cvt_u32_f32_e32 v4, v4
	v_cvt_u32_f32_e32 v6, v6
	s_delay_alu instid0(VALU_DEP_2) | instskip(NEXT) | instid1(VALU_DEP_2)
	v_xor_b32_e32 v4, v4, v1
	v_xor_b32_e32 v6, v6, v1
	s_delay_alu instid0(VALU_DEP_1) | instskip(NEXT) | instid1(VALU_DEP_3)
	v_sub_co_u32 v6, vcc_lo, v6, v1
	v_sub_co_ci_u32_e32 v7, vcc_lo, v4, v1, vcc_lo
	global_store_b64 v[2:3], v[6:7], off
.LBB18_1069:
	s_and_not1_b32 vcc_lo, exec_lo, s9
	s_cbranch_vccnz .LBB18_1071
; %bb.1070:
	v_cvt_i32_f32_e32 v1, v0
	s_waitcnt vmcnt(0)
	global_store_b32 v[2:3], v1, off
.LBB18_1071:
	s_mov_b32 s9, 0
.LBB18_1072:
	s_delay_alu instid0(SALU_CYCLE_1)
	s_and_not1_b32 vcc_lo, exec_lo, s9
	s_cbranch_vccnz .LBB18_1074
; %bb.1073:
	v_cvt_i32_f32_e32 v1, v0
	s_waitcnt vmcnt(0)
	global_store_b16 v[2:3], v1, off
.LBB18_1074:
	s_mov_b32 s9, 0
.LBB18_1075:
	s_delay_alu instid0(SALU_CYCLE_1)
	s_and_not1_b32 vcc_lo, exec_lo, s9
	s_cbranch_vccnz .LBB18_1080
; %bb.1076:
	v_cmp_lt_i16_e32 vcc_lo, 0, v5
	s_mov_b32 s9, -1
	s_cbranch_vccz .LBB18_1078
; %bb.1077:
	v_cvt_i32_f32_e32 v1, v0
	s_mov_b32 s9, 0
	s_waitcnt vmcnt(0)
	global_store_b8 v[2:3], v1, off
.LBB18_1078:
	s_and_not1_b32 vcc_lo, exec_lo, s9
	s_cbranch_vccnz .LBB18_1080
; %bb.1079:
	v_trunc_f32_e32 v0, v0
	s_delay_alu instid0(VALU_DEP_1) | instskip(NEXT) | instid1(VALU_DEP_1)
	v_mul_f32_e64 v1, 0x2f800000, |v0|
	v_floor_f32_e32 v1, v1
	s_delay_alu instid0(VALU_DEP_1) | instskip(SKIP_1) | instid1(VALU_DEP_2)
	v_fma_f32 v1, 0xcf800000, v1, |v0|
	v_ashrrev_i32_e32 v0, 31, v0
	v_cvt_u32_f32_e32 v1, v1
	s_delay_alu instid0(VALU_DEP_1) | instskip(NEXT) | instid1(VALU_DEP_1)
	v_xor_b32_e32 v1, v1, v0
	v_sub_nc_u32_e32 v0, v1, v0
	s_waitcnt vmcnt(0)
	global_store_b8 v[2:3], v0, off
.LBB18_1080:
	s_or_b32 exec_lo, exec_lo, s0
	s_delay_alu instid0(SALU_CYCLE_1)
	s_and_b32 s9, s10, exec_lo
                                        ; implicit-def: $vgpr8
                                        ; implicit-def: $vgpr9
                                        ; implicit-def: $vgpr7
.LBB18_1081:
	s_or_saveexec_b32 s8, s8
	s_mov_b32 s0, 0
                                        ; implicit-def: $vgpr10
                                        ; implicit-def: $vgpr0_vgpr1
                                        ; implicit-def: $vgpr6
	s_xor_b32 exec_lo, exec_lo, s8
	s_cbranch_execz .LBB18_1739
; %bb.1082:
	s_waitcnt vmcnt(0)
	v_mul_lo_u32 v2, s3, v8
	v_cmp_gt_i16_e32 vcc_lo, 11, v9
	s_delay_alu instid0(VALU_DEP_2) | instskip(SKIP_1) | instid1(VALU_DEP_1)
	v_ashrrev_i32_e32 v1, 31, v2
	v_add_co_u32 v0, s0, s6, v2
	v_add_co_ci_u32_e64 v1, s0, s7, v1, s0
	s_cbranch_vccnz .LBB18_1089
; %bb.1083:
	v_cmp_lt_i16_e32 vcc_lo, 25, v9
	s_mov_b32 s10, 0
	s_cbranch_vccz .LBB18_1095
; %bb.1084:
	v_cmp_lt_i16_e32 vcc_lo, 28, v9
	s_cbranch_vccz .LBB18_1097
; %bb.1085:
	v_cmp_lt_i16_e32 vcc_lo, 43, v9
	;; [unrolled: 3-line block ×3, first 2 shown]
	s_cbranch_vccz .LBB18_1103
; %bb.1087:
	v_cmp_eq_u16_e32 vcc_lo, 46, v9
	s_cbranch_vccz .LBB18_1143
; %bb.1088:
	global_load_b32 v3, v[0:1], off
	s_mov_b32 s0, 0
	s_mov_b32 s11, -1
	s_waitcnt vmcnt(0)
	v_lshlrev_b32_e32 v3, 16, v3
	s_branch .LBB18_1145
.LBB18_1089:
	s_mov_b32 s11, 0
	s_mov_b32 s1, s9
                                        ; implicit-def: $vgpr3
	s_cbranch_execz .LBB18_1208
; %bb.1090:
	v_cmp_gt_i16_e32 vcc_lo, 5, v9
	s_cbranch_vccnz .LBB18_1096
; %bb.1091:
	v_cmp_gt_i16_e32 vcc_lo, 8, v9
	s_cbranch_vccnz .LBB18_1098
	;; [unrolled: 3-line block ×3, first 2 shown]
; %bb.1093:
	v_cmp_lt_i16_e32 vcc_lo, 9, v9
	s_cbranch_vccz .LBB18_1104
; %bb.1094:
	global_load_b64 v[3:4], v[0:1], off
	s_mov_b32 s0, 0
	s_waitcnt vmcnt(0)
	v_cvt_f32_f64_e32 v3, v[3:4]
	s_branch .LBB18_1105
.LBB18_1095:
	s_mov_b32 s11, 0
	s_mov_b32 s0, 0
                                        ; implicit-def: $vgpr3
	s_cbranch_execnz .LBB18_1173
	s_branch .LBB18_1204
.LBB18_1096:
                                        ; implicit-def: $vgpr3
	s_branch .LBB18_1122
.LBB18_1097:
	s_mov_b32 s1, -1
	s_mov_b32 s11, 0
	s_mov_b32 s0, 0
                                        ; implicit-def: $vgpr3
	s_branch .LBB18_1154
.LBB18_1098:
                                        ; implicit-def: $vgpr3
	s_branch .LBB18_1111
.LBB18_1099:
	s_mov_b32 s11, 0
	s_mov_b32 s0, 0
                                        ; implicit-def: $vgpr3
	s_cbranch_execnz .LBB18_1150
	s_branch .LBB18_1153
.LBB18_1100:
	s_mov_b32 s0, -1
                                        ; implicit-def: $vgpr3
	s_branch .LBB18_1108
.LBB18_1101:
	s_cbranch_execnz .LBB18_1141
; %bb.1102:
	s_or_b32 s10, s10, exec_lo
	s_and_not1_b32 s13, s13, exec_lo
	s_or_b32 exec_lo, exec_lo, s0
	s_and_saveexec_b32 s0, s13
	s_delay_alu instid0(SALU_CYCLE_1)
	s_xor_b32 s0, exec_lo, s0
	s_cbranch_execnz .LBB18_1041
	s_branch .LBB18_1042
.LBB18_1103:
	s_mov_b32 s1, -1
	s_mov_b32 s11, 0
	s_mov_b32 s0, 0
	s_branch .LBB18_1144
.LBB18_1104:
	s_mov_b32 s0, -1
                                        ; implicit-def: $vgpr3
.LBB18_1105:
	s_delay_alu instid0(SALU_CYCLE_1)
	s_and_not1_b32 vcc_lo, exec_lo, s0
	s_cbranch_vccnz .LBB18_1107
; %bb.1106:
	global_load_b32 v3, v[0:1], off
.LBB18_1107:
	s_mov_b32 s0, 0
.LBB18_1108:
	s_delay_alu instid0(SALU_CYCLE_1)
	s_and_not1_b32 vcc_lo, exec_lo, s0
	s_cbranch_vccnz .LBB18_1110
; %bb.1109:
	global_load_b32 v3, v[0:1], off
	s_waitcnt vmcnt(0)
	v_cvt_f32_f16_e32 v3, v3
.LBB18_1110:
	s_cbranch_execnz .LBB18_1121
.LBB18_1111:
	v_cmp_gt_i16_e32 vcc_lo, 6, v9
	s_cbranch_vccnz .LBB18_1114
; %bb.1112:
	v_cmp_lt_i16_e32 vcc_lo, 6, v9
	s_cbranch_vccz .LBB18_1115
; %bb.1113:
	global_load_b64 v[3:4], v[0:1], off
	s_mov_b32 s0, 0
	s_waitcnt vmcnt(0)
	v_cvt_f32_f64_e32 v3, v[3:4]
	s_branch .LBB18_1116
.LBB18_1114:
	s_mov_b32 s0, -1
                                        ; implicit-def: $vgpr3
	s_branch .LBB18_1119
.LBB18_1115:
	s_mov_b32 s0, -1
                                        ; implicit-def: $vgpr3
.LBB18_1116:
	s_delay_alu instid0(SALU_CYCLE_1)
	s_and_not1_b32 vcc_lo, exec_lo, s0
	s_cbranch_vccnz .LBB18_1118
; %bb.1117:
	global_load_b32 v3, v[0:1], off
.LBB18_1118:
	s_mov_b32 s0, 0
.LBB18_1119:
	s_delay_alu instid0(SALU_CYCLE_1)
	s_and_not1_b32 vcc_lo, exec_lo, s0
	s_cbranch_vccnz .LBB18_1121
; %bb.1120:
	global_load_u16 v3, v[0:1], off
	s_waitcnt vmcnt(0)
	v_cvt_f32_f16_e32 v3, v3
.LBB18_1121:
	s_cbranch_execnz .LBB18_1140
.LBB18_1122:
	v_cmp_gt_i16_e32 vcc_lo, 2, v9
	s_cbranch_vccnz .LBB18_1126
; %bb.1123:
	v_cmp_gt_i16_e32 vcc_lo, 3, v9
	s_cbranch_vccnz .LBB18_1127
; %bb.1124:
	v_cmp_lt_i16_e32 vcc_lo, 3, v9
	s_cbranch_vccz .LBB18_1128
; %bb.1125:
	global_load_b64 v[3:4], v[0:1], off
	s_mov_b32 s0, 0
	s_waitcnt vmcnt(0)
	v_xor_b32_e32 v5, v3, v4
	v_cls_i32_e32 v6, v4
	s_delay_alu instid0(VALU_DEP_2) | instskip(NEXT) | instid1(VALU_DEP_2)
	v_ashrrev_i32_e32 v5, 31, v5
	v_add_nc_u32_e32 v6, -1, v6
	s_delay_alu instid0(VALU_DEP_2) | instskip(NEXT) | instid1(VALU_DEP_1)
	v_add_nc_u32_e32 v5, 32, v5
	v_min_u32_e32 v5, v6, v5
	s_delay_alu instid0(VALU_DEP_1) | instskip(NEXT) | instid1(VALU_DEP_1)
	v_lshlrev_b64 v[3:4], v5, v[3:4]
	v_min_u32_e32 v3, 1, v3
	s_delay_alu instid0(VALU_DEP_1) | instskip(SKIP_1) | instid1(VALU_DEP_2)
	v_or_b32_e32 v3, v4, v3
	v_sub_nc_u32_e32 v4, 32, v5
	v_cvt_f32_i32_e32 v3, v3
	s_delay_alu instid0(VALU_DEP_1)
	v_ldexp_f32 v3, v3, v4
	s_branch .LBB18_1129
.LBB18_1126:
                                        ; implicit-def: $vgpr3
	s_branch .LBB18_1135
.LBB18_1127:
	s_mov_b32 s0, -1
                                        ; implicit-def: $vgpr3
	s_branch .LBB18_1132
.LBB18_1128:
	s_mov_b32 s0, -1
                                        ; implicit-def: $vgpr3
.LBB18_1129:
	s_delay_alu instid0(SALU_CYCLE_1)
	s_and_not1_b32 vcc_lo, exec_lo, s0
	s_cbranch_vccnz .LBB18_1131
; %bb.1130:
	global_load_b32 v3, v[0:1], off
	s_waitcnt vmcnt(0)
	v_cvt_f32_i32_e32 v3, v3
.LBB18_1131:
	s_mov_b32 s0, 0
.LBB18_1132:
	s_delay_alu instid0(SALU_CYCLE_1)
	s_and_not1_b32 vcc_lo, exec_lo, s0
	s_cbranch_vccnz .LBB18_1134
; %bb.1133:
	global_load_i16 v3, v[0:1], off
	s_waitcnt vmcnt(0)
	v_cvt_f32_i32_e32 v3, v3
.LBB18_1134:
	s_cbranch_execnz .LBB18_1140
.LBB18_1135:
	v_cmp_lt_i16_e32 vcc_lo, 0, v9
	s_mov_b32 s0, 0
	s_cbranch_vccz .LBB18_1137
; %bb.1136:
	global_load_i8 v3, v[0:1], off
	s_waitcnt vmcnt(0)
	v_cvt_f32_i32_e32 v3, v3
	s_branch .LBB18_1138
.LBB18_1137:
	s_mov_b32 s0, -1
                                        ; implicit-def: $vgpr3
.LBB18_1138:
	s_delay_alu instid0(SALU_CYCLE_1)
	s_and_not1_b32 vcc_lo, exec_lo, s0
	s_cbranch_vccnz .LBB18_1140
; %bb.1139:
	global_load_u8 v0, v[0:1], off
	s_waitcnt vmcnt(0)
	v_cvt_f32_ubyte0_e32 v3, v0
.LBB18_1140:
	s_branch .LBB18_1209
.LBB18_1141:
	s_trap 2
	s_sendmsg_rtn_b32 s0, sendmsg(MSG_RTN_GET_DOORBELL)
	s_mov_b32 ttmp2, m0
	s_waitcnt lgkmcnt(0)
	s_and_b32 s0, s0, 0x3ff
	s_delay_alu instid0(SALU_CYCLE_1) | instskip(NEXT) | instid1(SALU_CYCLE_1)
	s_bitset1_b32 s0, 10
	s_mov_b32 m0, s0
	s_sendmsg sendmsg(MSG_INTERRUPT)
	s_mov_b32 m0, ttmp2
.LBB18_1142:                            ; =>This Inner Loop Header: Depth=1
	s_sethalt 5
	s_branch .LBB18_1142
.LBB18_1143:
	s_mov_b32 s0, -1
	s_mov_b32 s11, 0
.LBB18_1144:
                                        ; implicit-def: $vgpr3
.LBB18_1145:
	s_and_b32 vcc_lo, exec_lo, s1
	s_cbranch_vccz .LBB18_1148
; %bb.1146:
	v_cmp_eq_u16_e32 vcc_lo, 44, v9
	s_cbranch_vccz .LBB18_1149
; %bb.1147:
	global_load_u8 v3, v[0:1], off
	s_mov_b32 s0, 0
	s_mov_b32 s11, -1
	s_waitcnt vmcnt(0)
	v_lshlrev_b32_e32 v4, 23, v3
	v_cmp_ne_u32_e32 vcc_lo, 0xff, v3
	s_delay_alu instid0(VALU_DEP_2) | instskip(SKIP_1) | instid1(VALU_DEP_2)
	v_cndmask_b32_e32 v4, 0x7f800001, v4, vcc_lo
	v_cmp_ne_u32_e32 vcc_lo, 0, v3
	v_cndmask_b32_e32 v3, 0x400000, v4, vcc_lo
.LBB18_1148:
	s_branch .LBB18_1153
.LBB18_1149:
	s_mov_b32 s0, -1
                                        ; implicit-def: $vgpr3
	s_branch .LBB18_1153
.LBB18_1150:
	v_cmp_eq_u16_e32 vcc_lo, 29, v9
	s_cbranch_vccz .LBB18_1152
; %bb.1151:
	global_load_b64 v[3:4], v[0:1], off
	s_mov_b32 s0, 0
	s_mov_b32 s11, -1
	s_mov_b32 s1, 0
	s_waitcnt vmcnt(0)
	v_clz_i32_u32_e32 v5, v4
	s_delay_alu instid0(VALU_DEP_1) | instskip(NEXT) | instid1(VALU_DEP_1)
	v_min_u32_e32 v5, 32, v5
	v_lshlrev_b64 v[3:4], v5, v[3:4]
	s_delay_alu instid0(VALU_DEP_1) | instskip(NEXT) | instid1(VALU_DEP_1)
	v_min_u32_e32 v3, 1, v3
	v_or_b32_e32 v3, v4, v3
	v_sub_nc_u32_e32 v4, 32, v5
	s_delay_alu instid0(VALU_DEP_2) | instskip(NEXT) | instid1(VALU_DEP_1)
	v_cvt_f32_u32_e32 v3, v3
	v_ldexp_f32 v3, v3, v4
	s_branch .LBB18_1154
.LBB18_1152:
	s_mov_b32 s0, -1
                                        ; implicit-def: $vgpr3
.LBB18_1153:
	s_mov_b32 s1, 0
.LBB18_1154:
	s_delay_alu instid0(SALU_CYCLE_1)
	s_and_b32 vcc_lo, exec_lo, s1
	s_cbranch_vccz .LBB18_1172
; %bb.1155:
	v_cmp_gt_i16_e32 vcc_lo, 27, v9
	s_cbranch_vccnz .LBB18_1158
; %bb.1156:
	v_cmp_lt_i16_e32 vcc_lo, 27, v9
	s_cbranch_vccz .LBB18_1159
; %bb.1157:
	global_load_b32 v3, v[0:1], off
	s_mov_b32 s1, 0
	s_waitcnt vmcnt(0)
	v_cvt_f32_u32_e32 v3, v3
	s_branch .LBB18_1160
.LBB18_1158:
	s_mov_b32 s1, -1
                                        ; implicit-def: $vgpr3
	s_branch .LBB18_1163
.LBB18_1159:
	s_mov_b32 s1, -1
                                        ; implicit-def: $vgpr3
.LBB18_1160:
	s_delay_alu instid0(SALU_CYCLE_1)
	s_and_not1_b32 vcc_lo, exec_lo, s1
	s_cbranch_vccnz .LBB18_1162
; %bb.1161:
	global_load_u16 v3, v[0:1], off
	s_waitcnt vmcnt(0)
	v_cvt_f32_u32_e32 v3, v3
.LBB18_1162:
	s_mov_b32 s1, 0
.LBB18_1163:
	s_delay_alu instid0(SALU_CYCLE_1)
	s_and_not1_b32 vcc_lo, exec_lo, s1
	s_cbranch_vccnz .LBB18_1171
; %bb.1164:
	global_load_u8 v4, v[0:1], off
	s_mov_b32 s1, 0
	s_mov_b32 s12, exec_lo
                                        ; implicit-def: $sgpr11
	s_waitcnt vmcnt(0)
	v_cmpx_lt_i16_e32 0x7f, v4
	s_xor_b32 s12, exec_lo, s12
	s_cbranch_execz .LBB18_1184
; %bb.1165:
	s_mov_b32 s1, -1
	s_mov_b32 s13, exec_lo
                                        ; implicit-def: $sgpr11
	v_cmpx_eq_u16_e32 0x80, v4
; %bb.1166:
	s_mov_b32 s11, 0x7f800001
	s_xor_b32 s1, exec_lo, -1
; %bb.1167:
	s_or_b32 exec_lo, exec_lo, s13
	s_delay_alu instid0(SALU_CYCLE_1)
	s_and_b32 s1, s1, exec_lo
	s_or_saveexec_b32 s12, s12
	v_mov_b32_e32 v3, s11
	s_xor_b32 exec_lo, exec_lo, s12
	s_cbranch_execnz .LBB18_1185
.LBB18_1168:
	s_or_b32 exec_lo, exec_lo, s12
	s_and_saveexec_b32 s11, s1
	s_cbranch_execz .LBB18_1170
.LBB18_1169:
	v_and_b32_e32 v3, 0xffff, v4
	s_delay_alu instid0(VALU_DEP_1) | instskip(NEXT) | instid1(VALU_DEP_1)
	v_and_b32_e32 v5, 7, v3
	v_clz_i32_u32_e32 v6, v5
	s_delay_alu instid0(VALU_DEP_1) | instskip(NEXT) | instid1(VALU_DEP_1)
	v_min_u32_e32 v6, 32, v6
	v_subrev_nc_u32_e32 v10, 28, v6
	v_sub_nc_u32_e32 v6, 29, v6
	s_delay_alu instid0(VALU_DEP_2) | instskip(SKIP_1) | instid1(VALU_DEP_1)
	v_lshlrev_b32_e32 v10, v10, v3
	v_bfe_u32 v3, v3, 3, 4
	v_cmp_eq_u32_e32 vcc_lo, 0, v3
	s_delay_alu instid0(VALU_DEP_4) | instskip(NEXT) | instid1(VALU_DEP_4)
	v_cndmask_b32_e32 v3, v3, v6, vcc_lo
	v_and_b32_e32 v10, 7, v10
	v_lshlrev_b32_e32 v4, 24, v4
	s_delay_alu instid0(VALU_DEP_3) | instskip(NEXT) | instid1(VALU_DEP_2)
	v_lshl_add_u32 v3, v3, 23, 0x3b800000
	v_dual_cndmask_b32 v5, v5, v10 :: v_dual_and_b32 v4, 0x80000000, v4
	s_delay_alu instid0(VALU_DEP_1) | instskip(NEXT) | instid1(VALU_DEP_1)
	v_lshlrev_b32_e32 v5, 20, v5
	v_or3_b32 v3, v4, v3, v5
.LBB18_1170:
	s_or_b32 exec_lo, exec_lo, s11
.LBB18_1171:
	s_mov_b32 s11, -1
.LBB18_1172:
	s_branch .LBB18_1204
.LBB18_1173:
	v_cmp_lt_i16_e32 vcc_lo, 22, v9
	s_cbranch_vccz .LBB18_1183
; %bb.1174:
	v_cmp_gt_i16_e32 vcc_lo, 24, v9
	s_cbranch_vccnz .LBB18_1186
; %bb.1175:
	v_cmp_lt_i16_e32 vcc_lo, 24, v9
	s_cbranch_vccz .LBB18_1187
; %bb.1176:
	global_load_u8 v4, v[0:1], off
	s_mov_b32 s1, 0
	s_mov_b32 s11, exec_lo
                                        ; implicit-def: $sgpr10
	s_waitcnt vmcnt(0)
	v_cmpx_lt_i16_e32 0x7f, v4
	s_xor_b32 s11, exec_lo, s11
	s_cbranch_execz .LBB18_1198
; %bb.1177:
	s_mov_b32 s1, -1
	s_mov_b32 s12, exec_lo
                                        ; implicit-def: $sgpr10
	v_cmpx_eq_u16_e32 0x80, v4
; %bb.1178:
	s_mov_b32 s10, 0x7f800001
	s_xor_b32 s1, exec_lo, -1
; %bb.1179:
	s_or_b32 exec_lo, exec_lo, s12
	s_delay_alu instid0(SALU_CYCLE_1)
	s_and_b32 s1, s1, exec_lo
	s_or_saveexec_b32 s11, s11
	v_mov_b32_e32 v3, s10
	s_xor_b32 exec_lo, exec_lo, s11
	s_cbranch_execnz .LBB18_1199
.LBB18_1180:
	s_or_b32 exec_lo, exec_lo, s11
	s_and_saveexec_b32 s10, s1
	s_cbranch_execz .LBB18_1182
.LBB18_1181:
	v_and_b32_e32 v3, 0xffff, v4
	s_delay_alu instid0(VALU_DEP_1) | instskip(NEXT) | instid1(VALU_DEP_1)
	v_and_b32_e32 v5, 3, v3
	v_clz_i32_u32_e32 v6, v5
	s_delay_alu instid0(VALU_DEP_1) | instskip(NEXT) | instid1(VALU_DEP_1)
	v_min_u32_e32 v6, 32, v6
	v_subrev_nc_u32_e32 v10, 29, v6
	v_sub_nc_u32_e32 v6, 30, v6
	s_delay_alu instid0(VALU_DEP_2) | instskip(SKIP_1) | instid1(VALU_DEP_1)
	v_lshlrev_b32_e32 v10, v10, v3
	v_bfe_u32 v3, v3, 2, 5
	v_cmp_eq_u32_e32 vcc_lo, 0, v3
	s_delay_alu instid0(VALU_DEP_4) | instskip(NEXT) | instid1(VALU_DEP_4)
	v_cndmask_b32_e32 v3, v3, v6, vcc_lo
	v_and_b32_e32 v10, 3, v10
	v_lshlrev_b32_e32 v4, 24, v4
	s_delay_alu instid0(VALU_DEP_3) | instskip(NEXT) | instid1(VALU_DEP_2)
	v_lshl_add_u32 v3, v3, 23, 0x37800000
	v_dual_cndmask_b32 v5, v5, v10 :: v_dual_and_b32 v4, 0x80000000, v4
	s_delay_alu instid0(VALU_DEP_1) | instskip(NEXT) | instid1(VALU_DEP_1)
	v_lshlrev_b32_e32 v5, 21, v5
	v_or3_b32 v3, v4, v3, v5
.LBB18_1182:
	s_or_b32 exec_lo, exec_lo, s10
	s_mov_b32 s1, 0
	s_branch .LBB18_1188
.LBB18_1183:
                                        ; implicit-def: $vgpr3
	s_mov_b32 s10, 0
	s_branch .LBB18_1194
.LBB18_1184:
	s_or_saveexec_b32 s12, s12
	v_mov_b32_e32 v3, s11
	s_xor_b32 exec_lo, exec_lo, s12
	s_cbranch_execz .LBB18_1168
.LBB18_1185:
	v_cmp_ne_u16_e32 vcc_lo, 0, v4
	v_mov_b32_e32 v3, 0
	s_and_not1_b32 s1, s1, exec_lo
	s_and_b32 s11, vcc_lo, exec_lo
	s_delay_alu instid0(SALU_CYCLE_1)
	s_or_b32 s1, s1, s11
	s_or_b32 exec_lo, exec_lo, s12
	s_and_saveexec_b32 s11, s1
	s_cbranch_execnz .LBB18_1169
	s_branch .LBB18_1170
.LBB18_1186:
	s_mov_b32 s1, -1
                                        ; implicit-def: $vgpr3
	s_branch .LBB18_1191
.LBB18_1187:
	s_mov_b32 s1, -1
                                        ; implicit-def: $vgpr3
.LBB18_1188:
	s_delay_alu instid0(SALU_CYCLE_1)
	s_and_b32 vcc_lo, exec_lo, s1
	s_cbranch_vccz .LBB18_1190
; %bb.1189:
	global_load_u8 v3, v[0:1], off
	s_waitcnt vmcnt(0)
	v_lshlrev_b32_e32 v3, 24, v3
	s_delay_alu instid0(VALU_DEP_1) | instskip(NEXT) | instid1(VALU_DEP_1)
	v_and_b32_e32 v4, 0x7f000000, v3
	v_clz_i32_u32_e32 v5, v4
	v_add_nc_u32_e32 v10, 0x1000000, v4
	v_cmp_ne_u32_e32 vcc_lo, 0, v4
	s_delay_alu instid0(VALU_DEP_3) | instskip(NEXT) | instid1(VALU_DEP_1)
	v_min_u32_e32 v5, 32, v5
	v_sub_nc_u32_e64 v5, v5, 4 clamp
	s_delay_alu instid0(VALU_DEP_1) | instskip(SKIP_1) | instid1(VALU_DEP_2)
	v_lshlrev_b32_e32 v6, v5, v4
	v_lshlrev_b32_e32 v5, 23, v5
	v_lshrrev_b32_e32 v6, 4, v6
	s_delay_alu instid0(VALU_DEP_1) | instskip(SKIP_1) | instid1(VALU_DEP_2)
	v_sub_nc_u32_e32 v5, v6, v5
	v_ashrrev_i32_e32 v6, 8, v10
	v_add_nc_u32_e32 v5, 0x3c000000, v5
	s_delay_alu instid0(VALU_DEP_1) | instskip(NEXT) | instid1(VALU_DEP_1)
	v_and_or_b32 v5, 0x7f800000, v6, v5
	v_cndmask_b32_e32 v4, 0, v5, vcc_lo
	s_delay_alu instid0(VALU_DEP_1)
	v_and_or_b32 v3, 0x80000000, v3, v4
.LBB18_1190:
	s_mov_b32 s1, 0
.LBB18_1191:
	s_delay_alu instid0(SALU_CYCLE_1)
	s_and_not1_b32 vcc_lo, exec_lo, s1
	s_cbranch_vccnz .LBB18_1193
; %bb.1192:
	global_load_u8 v3, v[0:1], off
	s_waitcnt vmcnt(0)
	v_lshlrev_b32_e32 v4, 25, v3
	v_lshlrev_b16 v3, 8, v3
	s_delay_alu instid0(VALU_DEP_2) | instskip(NEXT) | instid1(VALU_DEP_2)
	v_lshrrev_b32_e32 v5, 4, v4
	v_and_or_b32 v6, 0x7f00, v3, 0.5
	v_bfe_i32 v3, v3, 0, 16
	s_delay_alu instid0(VALU_DEP_3) | instskip(NEXT) | instid1(VALU_DEP_1)
	v_or_b32_e32 v5, 0x70000000, v5
	v_dual_add_f32 v6, -0.5, v6 :: v_dual_mul_f32 v5, 0x7800000, v5
	v_cmp_gt_u32_e32 vcc_lo, 0x8000000, v4
	s_delay_alu instid0(VALU_DEP_2) | instskip(NEXT) | instid1(VALU_DEP_1)
	v_cndmask_b32_e32 v4, v5, v6, vcc_lo
	v_and_or_b32 v3, 0x80000000, v3, v4
.LBB18_1193:
	s_mov_b32 s11, -1
	s_mov_b32 s10, 0
	s_cbranch_execnz .LBB18_1204
.LBB18_1194:
	v_cmp_lt_i16_e32 vcc_lo, 14, v9
	s_cbranch_vccz .LBB18_1197
; %bb.1195:
	v_cmp_eq_u16_e32 vcc_lo, 15, v9
	s_cbranch_vccz .LBB18_1200
; %bb.1196:
	global_load_u16 v3, v[0:1], off
	s_mov_b32 s0, 0
	s_mov_b32 s11, -1
	s_waitcnt vmcnt(0)
	v_lshlrev_b32_e32 v3, 16, v3
	s_branch .LBB18_1201
.LBB18_1197:
	s_mov_b32 s1, -1
                                        ; implicit-def: $vgpr3
	s_branch .LBB18_1202
.LBB18_1198:
	s_or_saveexec_b32 s11, s11
	v_mov_b32_e32 v3, s10
	s_xor_b32 exec_lo, exec_lo, s11
	s_cbranch_execz .LBB18_1180
.LBB18_1199:
	v_cmp_ne_u16_e32 vcc_lo, 0, v4
	v_mov_b32_e32 v3, 0
	s_and_not1_b32 s1, s1, exec_lo
	s_and_b32 s10, vcc_lo, exec_lo
	s_delay_alu instid0(SALU_CYCLE_1)
	s_or_b32 s1, s1, s10
	s_or_b32 exec_lo, exec_lo, s11
	s_and_saveexec_b32 s10, s1
	s_cbranch_execnz .LBB18_1181
	s_branch .LBB18_1182
.LBB18_1200:
	s_mov_b32 s0, -1
                                        ; implicit-def: $vgpr3
.LBB18_1201:
	s_mov_b32 s1, 0
.LBB18_1202:
	s_delay_alu instid0(SALU_CYCLE_1)
	s_and_b32 vcc_lo, exec_lo, s1
	s_cbranch_vccz .LBB18_1204
; %bb.1203:
	v_cmp_ne_u16_e64 s0, 11, v9
	s_mov_b32 s10, -1
                                        ; implicit-def: $vgpr3
.LBB18_1204:
	s_delay_alu instid0(VALU_DEP_1)
	s_and_b32 vcc_lo, exec_lo, s0
	s_mov_b32 s1, s9
	s_cbranch_vccnz .LBB18_1240
; %bb.1205:
	s_and_not1_b32 vcc_lo, exec_lo, s10
	s_cbranch_vccnz .LBB18_1207
.LBB18_1206:
	global_load_u8 v3, v[0:1], off
	s_mov_b32 s11, -1
	s_waitcnt vmcnt(0)
	v_cmp_ne_u16_e32 vcc_lo, 0, v3
	v_cndmask_b32_e64 v3, 0, 1.0, vcc_lo
.LBB18_1207:
.LBB18_1208:
	s_and_not1_b32 vcc_lo, exec_lo, s11
	s_cbranch_vccnz .LBB18_1737
.LBB18_1209:
	s_waitcnt vmcnt(0)
	s_delay_alu instid0(VALU_DEP_1) | instskip(NEXT) | instid1(VALU_DEP_1)
	v_cmp_ge_f32_e64 s0, 0x41000000, |v3|
                                        ; implicit-def: $vgpr0
	s_and_saveexec_b32 s10, s0
	s_delay_alu instid0(SALU_CYCLE_1)
	s_xor_b32 s0, exec_lo, s10
	s_cbranch_execz .LBB18_1215
; %bb.1210:
	v_fma_f32 v0, |v3|, 0.5, -2.0
	s_mov_b32 s10, 0x224cf950
	s_delay_alu instid0(VALU_DEP_1) | instid1(SALU_CYCLE_1)
	v_fmaak_f32 v1, s10, v0, 0xa3c2be86
	s_mov_b32 s10, exec_lo
	s_delay_alu instid0(VALU_DEP_1) | instskip(NEXT) | instid1(VALU_DEP_1)
	v_fmaak_f32 v4, v0, v1, 0xa24cf950
	v_add_f32_e32 v4, 0x25331f1f, v4
	s_delay_alu instid0(VALU_DEP_1) | instskip(NEXT) | instid1(VALU_DEP_1)
	v_fma_f32 v1, v0, v4, -v1
	v_add_f32_e32 v1, 0xa69f5554, v1
	s_delay_alu instid0(VALU_DEP_1) | instskip(NEXT) | instid1(VALU_DEP_1)
	v_fma_f32 v4, v0, v1, -v4
	;; [unrolled: 3-line block ×26, first 2 shown]
	v_add_f32_e32 v0, 0x3e81531c, v0
	s_delay_alu instid0(VALU_DEP_1)
	v_sub_f32_e32 v1, v0, v4
                                        ; implicit-def: $vgpr0
	v_cmpx_ngt_f32_e32 0, v3
	s_xor_b32 s10, exec_lo, s10
	s_cbranch_execz .LBB18_1212
; %bb.1211:
	v_mul_f32_e64 v0, 0x3fb8aa3b, |v3|
	v_cmp_ngt_f32_e64 vcc_lo, 0xc2ce8ed0, |v3|
	v_mul_f32_e32 v1, 0.5, v1
	s_delay_alu instid0(VALU_DEP_3) | instskip(SKIP_1) | instid1(VALU_DEP_3)
	v_rndne_f32_e32 v4, v0
	v_fma_f32 v5, 0x3fb8aa3b, |v3|, -v0
	v_mul_f32_e64 v1, |v3|, v1
	s_delay_alu instid0(VALU_DEP_3) | instskip(NEXT) | instid1(VALU_DEP_3)
	v_sub_f32_e32 v0, v0, v4
	v_fma_f32 v5, 0x32a5705f, |v3|, v5
	v_cvt_i32_f32_e32 v4, v4
	s_delay_alu instid0(VALU_DEP_2) | instskip(NEXT) | instid1(VALU_DEP_1)
	v_add_f32_e32 v0, v0, v5
	v_exp_f32_e32 v0, v0
	s_waitcnt_depctr 0xfff
	v_ldexp_f32 v0, v0, v4
	s_delay_alu instid0(VALU_DEP_1) | instskip(SKIP_1) | instid1(VALU_DEP_2)
	v_cndmask_b32_e32 v0, 0, v0, vcc_lo
	v_cmp_nlt_f32_e64 vcc_lo, 0x42b17218, |v3|
                                        ; implicit-def: $vgpr3
	v_cndmask_b32_e32 v0, 0x7f800000, v0, vcc_lo
	s_delay_alu instid0(VALU_DEP_1)
	v_mul_f32_e32 v0, v0, v1
                                        ; implicit-def: $vgpr1
.LBB18_1212:
	s_and_not1_saveexec_b32 s10, s10
	s_cbranch_execz .LBB18_1214
; %bb.1213:
	v_mul_f32_e64 v0, 0x3fb8aa3b, |v3|
	v_cmp_ngt_f32_e64 vcc_lo, 0xc2ce8ed0, |v3|
	v_mul_f32_e32 v1, -0.5, v1
	s_delay_alu instid0(VALU_DEP_3) | instskip(SKIP_1) | instid1(VALU_DEP_3)
	v_rndne_f32_e32 v4, v0
	v_fma_f32 v5, 0x3fb8aa3b, |v3|, -v0
	v_mul_f32_e64 v1, |v3|, v1
	s_delay_alu instid0(VALU_DEP_3) | instskip(NEXT) | instid1(VALU_DEP_3)
	v_sub_f32_e32 v0, v0, v4
	v_fma_f32 v5, 0x32a5705f, |v3|, v5
	v_cvt_i32_f32_e32 v4, v4
	s_delay_alu instid0(VALU_DEP_2) | instskip(NEXT) | instid1(VALU_DEP_1)
	v_add_f32_e32 v0, v0, v5
	v_exp_f32_e32 v0, v0
	s_waitcnt_depctr 0xfff
	v_ldexp_f32 v0, v0, v4
	s_delay_alu instid0(VALU_DEP_1) | instskip(SKIP_1) | instid1(VALU_DEP_2)
	v_cndmask_b32_e32 v0, 0, v0, vcc_lo
	v_cmp_nlt_f32_e64 vcc_lo, 0x42b17218, |v3|
	v_cndmask_b32_e32 v0, 0x7f800000, v0, vcc_lo
	s_delay_alu instid0(VALU_DEP_1)
	v_mul_f32_e32 v0, v0, v1
.LBB18_1214:
	s_or_b32 exec_lo, exec_lo, s10
                                        ; implicit-def: $vgpr3
.LBB18_1215:
	s_and_not1_saveexec_b32 s10, s0
	s_cbranch_execz .LBB18_1221
; %bb.1216:
	v_and_b32_e32 v0, 0x7fffffff, v3
	s_mov_b32 s0, 0x230aab6e
	s_delay_alu instid0(VALU_DEP_1) | instskip(SKIP_1) | instid1(VALU_DEP_2)
	v_div_scale_f32 v1, null, v0, v0, 0x42000000
	v_div_scale_f32 v0, vcc_lo, 0x42000000, v0, 0x42000000
	v_rcp_f32_e32 v4, v1
	s_waitcnt_depctr 0xfff
	v_fma_f32 v5, -v1, v4, 1.0
	s_delay_alu instid0(VALU_DEP_1) | instskip(NEXT) | instid1(VALU_DEP_1)
	v_fmac_f32_e32 v4, v5, v4
	v_mul_f32_e32 v5, v0, v4
	s_delay_alu instid0(VALU_DEP_1) | instskip(NEXT) | instid1(VALU_DEP_1)
	v_fma_f32 v6, -v1, v5, v0
	v_fmac_f32_e32 v5, v6, v4
	s_delay_alu instid0(VALU_DEP_1) | instskip(NEXT) | instid1(VALU_DEP_1)
	v_fma_f32 v0, -v1, v5, v0
	v_div_fmas_f32 v0, v0, v4, v5
	v_mul_f32_e64 v5, 0x3fb8aa3b, |v3|
	v_cmp_ngt_f32_e64 vcc_lo, 0xc2ce8ed0, |v3|
	s_delay_alu instid0(VALU_DEP_3) | instskip(NEXT) | instid1(VALU_DEP_3)
	v_div_fixup_f32 v0, v0, |v3|, 0x42000000
	v_rndne_f32_e32 v6, v5
	v_fma_f32 v10, 0x3fb8aa3b, |v3|, -v5
	s_delay_alu instid0(VALU_DEP_2) | instskip(NEXT) | instid1(VALU_DEP_2)
	v_dual_add_f32 v0, -2.0, v0 :: v_dual_sub_f32 v5, v5, v6
	v_fma_f32 v10, 0x32a5705f, |v3|, v10
	v_cvt_i32_f32_e32 v6, v6
	s_delay_alu instid0(VALU_DEP_3) | instskip(SKIP_1) | instid1(VALU_DEP_2)
	v_fmaak_f32 v1, s0, v0, 0x22a2dc57
	v_cmp_nlt_f32_e64 s0, 0x42b17218, |v3|
	v_dual_add_f32 v5, v5, v10 :: v_dual_fmaak_f32 v4, v0, v1, 0xa30aab6e
	s_delay_alu instid0(VALU_DEP_1) | instskip(NEXT) | instid1(VALU_DEP_1)
	v_exp_f32_e32 v5, v5
	v_add_f32_e32 v4, 0xa456751e, v4
	s_delay_alu instid0(VALU_DEP_1) | instskip(NEXT) | instid1(VALU_DEP_1)
	v_fma_f32 v1, v0, v4, -v1
	v_add_f32_e32 v1, 0xa4140365, v1
	s_delay_alu instid0(VALU_DEP_1) | instskip(NEXT) | instid1(VALU_DEP_1)
	v_fma_f32 v4, v0, v1, -v4
	;; [unrolled: 3-line block ×21, first 2 shown]
	v_add_f32_e32 v1, 0xbc1fed03, v1
	s_delay_alu instid0(VALU_DEP_1) | instskip(SKIP_2) | instid1(VALU_DEP_2)
	v_fma_f32 v0, v0, v1, -v4
	v_ldexp_f32 v1, v5, v6
	v_mul_f32_e64 v5, 0x4f800000, |v3|
	v_dual_add_f32 v0, 0x3f4750c6, v0 :: v_dual_cndmask_b32 v1, 0, v1
	s_delay_alu instid0(VALU_DEP_1) | instskip(NEXT) | instid1(VALU_DEP_2)
	v_sub_f32_e32 v0, v0, v4
	v_cndmask_b32_e64 v1, 0x7f800000, v1, s0
	s_mov_b32 s0, exec_lo
	s_delay_alu instid0(VALU_DEP_2)
	v_mul_f32_e32 v4, 0.5, v0
                                        ; implicit-def: $vgpr0
	v_cmpx_ngt_f32_e32 0, v3
	s_xor_b32 s11, exec_lo, s0
	s_cbranch_execz .LBB18_1218
; %bb.1217:
	v_cmp_gt_f32_e64 vcc_lo, 0xf800000, |v3|
	v_mul_f32_e32 v1, v1, v4
	s_delay_alu instid0(VALU_DEP_2) | instskip(NEXT) | instid1(VALU_DEP_1)
	v_cndmask_b32_e64 v0, |v3|, v5, vcc_lo
	v_sqrt_f32_e32 v3, v0
	s_waitcnt_depctr 0xfff
	v_add_nc_u32_e32 v5, -1, v3
	v_add_nc_u32_e32 v6, 1, v3
	s_delay_alu instid0(VALU_DEP_2) | instskip(NEXT) | instid1(VALU_DEP_2)
	v_fma_f32 v10, -v5, v3, v0
	v_fma_f32 v11, -v6, v3, v0
	s_delay_alu instid0(VALU_DEP_2) | instskip(NEXT) | instid1(VALU_DEP_1)
	v_cmp_ge_f32_e64 s0, 0, v10
	v_cndmask_b32_e64 v3, v3, v5, s0
	s_delay_alu instid0(VALU_DEP_3) | instskip(NEXT) | instid1(VALU_DEP_1)
	v_cmp_lt_f32_e64 s0, 0, v11
	v_cndmask_b32_e64 v3, v3, v6, s0
	s_delay_alu instid0(VALU_DEP_1) | instskip(NEXT) | instid1(VALU_DEP_1)
	v_mul_f32_e32 v5, 0x37800000, v3
	v_cndmask_b32_e32 v3, v3, v5, vcc_lo
	v_cmp_class_f32_e64 vcc_lo, v0, 0x260
	s_delay_alu instid0(VALU_DEP_2) | instskip(NEXT) | instid1(VALU_DEP_1)
	v_cndmask_b32_e32 v0, v3, v0, vcc_lo
	v_div_scale_f32 v3, null, v0, v0, v1
	s_delay_alu instid0(VALU_DEP_1) | instskip(SKIP_2) | instid1(VALU_DEP_1)
	v_rcp_f32_e32 v4, v3
	s_waitcnt_depctr 0xfff
	v_fma_f32 v5, -v3, v4, 1.0
	v_fmac_f32_e32 v4, v5, v4
	v_div_scale_f32 v5, vcc_lo, v1, v0, v1
	s_delay_alu instid0(VALU_DEP_1) | instskip(NEXT) | instid1(VALU_DEP_1)
	v_mul_f32_e32 v6, v5, v4
	v_fma_f32 v10, -v3, v6, v5
	s_delay_alu instid0(VALU_DEP_1) | instskip(NEXT) | instid1(VALU_DEP_1)
	v_fmac_f32_e32 v6, v10, v4
	v_fma_f32 v3, -v3, v6, v5
                                        ; implicit-def: $vgpr5
	s_delay_alu instid0(VALU_DEP_1) | instskip(NEXT) | instid1(VALU_DEP_1)
	v_div_fmas_f32 v3, v3, v4, v6
                                        ; implicit-def: $vgpr4
	v_div_fixup_f32 v0, v3, v0, v1
                                        ; implicit-def: $vgpr3
                                        ; implicit-def: $vgpr1
.LBB18_1218:
	s_and_not1_saveexec_b32 s11, s11
	s_cbranch_execz .LBB18_1220
; %bb.1219:
	v_cmp_gt_f32_e64 vcc_lo, 0xf800000, |v3|
	v_mul_f32_e64 v1, v4, -v1
	s_delay_alu instid0(VALU_DEP_2) | instskip(NEXT) | instid1(VALU_DEP_1)
	v_cndmask_b32_e64 v0, |v3|, v5, vcc_lo
	v_sqrt_f32_e32 v3, v0
	s_waitcnt_depctr 0xfff
	v_add_nc_u32_e32 v5, -1, v3
	v_add_nc_u32_e32 v6, 1, v3
	s_delay_alu instid0(VALU_DEP_2) | instskip(NEXT) | instid1(VALU_DEP_2)
	v_fma_f32 v10, -v5, v3, v0
	v_fma_f32 v11, -v6, v3, v0
	s_delay_alu instid0(VALU_DEP_2) | instskip(NEXT) | instid1(VALU_DEP_1)
	v_cmp_ge_f32_e64 s0, 0, v10
	v_cndmask_b32_e64 v3, v3, v5, s0
	s_delay_alu instid0(VALU_DEP_3) | instskip(NEXT) | instid1(VALU_DEP_1)
	v_cmp_lt_f32_e64 s0, 0, v11
	v_cndmask_b32_e64 v3, v3, v6, s0
	s_delay_alu instid0(VALU_DEP_1) | instskip(NEXT) | instid1(VALU_DEP_1)
	v_mul_f32_e32 v5, 0x37800000, v3
	v_cndmask_b32_e32 v3, v3, v5, vcc_lo
	v_cmp_class_f32_e64 vcc_lo, v0, 0x260
	s_delay_alu instid0(VALU_DEP_2) | instskip(NEXT) | instid1(VALU_DEP_1)
	v_cndmask_b32_e32 v0, v3, v0, vcc_lo
	v_div_scale_f32 v3, null, v0, v0, v1
	s_delay_alu instid0(VALU_DEP_1) | instskip(SKIP_2) | instid1(VALU_DEP_1)
	v_rcp_f32_e32 v4, v3
	s_waitcnt_depctr 0xfff
	v_fma_f32 v5, -v3, v4, 1.0
	v_fmac_f32_e32 v4, v5, v4
	v_div_scale_f32 v5, vcc_lo, v1, v0, v1
	s_delay_alu instid0(VALU_DEP_1) | instskip(NEXT) | instid1(VALU_DEP_1)
	v_mul_f32_e32 v6, v5, v4
	v_fma_f32 v10, -v3, v6, v5
	s_delay_alu instid0(VALU_DEP_1) | instskip(NEXT) | instid1(VALU_DEP_1)
	v_fmac_f32_e32 v6, v10, v4
	v_fma_f32 v3, -v3, v6, v5
	s_delay_alu instid0(VALU_DEP_1) | instskip(NEXT) | instid1(VALU_DEP_1)
	v_div_fmas_f32 v3, v3, v4, v6
	v_div_fixup_f32 v0, v3, v0, v1
.LBB18_1220:
	s_or_b32 exec_lo, exec_lo, s11
.LBB18_1221:
	s_delay_alu instid0(SALU_CYCLE_1) | instskip(SKIP_3) | instid1(VALU_DEP_1)
	s_or_b32 exec_lo, exec_lo, s10
	s_lshl_b32 s3, s3, 7
	v_cmp_gt_i16_e32 vcc_lo, 11, v9
	v_add_nc_u32_e32 v3, s3, v2
	v_ashrrev_i32_e32 v2, 31, v3
	v_add_co_u32 v1, s0, s6, v3
	s_delay_alu instid0(VALU_DEP_1)
	v_add_co_ci_u32_e64 v2, s0, s7, v2, s0
	s_cbranch_vccnz .LBB18_1228
; %bb.1222:
	v_cmp_lt_i16_e32 vcc_lo, 25, v9
	s_mov_b32 s10, 0
	s_cbranch_vccz .LBB18_1234
; %bb.1223:
	v_cmp_lt_i16_e32 vcc_lo, 28, v9
	s_cbranch_vccz .LBB18_1236
; %bb.1224:
	v_cmp_lt_i16_e32 vcc_lo, 43, v9
	;; [unrolled: 3-line block ×3, first 2 shown]
	s_cbranch_vccz .LBB18_1244
; %bb.1226:
	v_cmp_eq_u16_e32 vcc_lo, 46, v9
	s_mov_b32 s12, 0
	s_cbranch_vccz .LBB18_1288
; %bb.1227:
	global_load_b32 v4, v[1:2], off
	s_mov_b32 s0, 0
	s_mov_b32 s11, -1
	s_waitcnt vmcnt(0)
	v_lshlrev_b32_e32 v4, 16, v4
	s_branch .LBB18_1290
.LBB18_1228:
	s_mov_b32 s11, 0
                                        ; implicit-def: $vgpr4
	s_cbranch_execz .LBB18_1355
; %bb.1229:
	v_cmp_gt_i16_e32 vcc_lo, 5, v9
	s_cbranch_vccnz .LBB18_1235
; %bb.1230:
	v_cmp_gt_i16_e32 vcc_lo, 8, v9
	s_cbranch_vccnz .LBB18_1237
	;; [unrolled: 3-line block ×3, first 2 shown]
; %bb.1232:
	v_cmp_lt_i16_e32 vcc_lo, 9, v9
	s_cbranch_vccz .LBB18_1245
; %bb.1233:
	global_load_b64 v[4:5], v[1:2], off
	s_mov_b32 s0, 0
	s_waitcnt vmcnt(0)
	v_cvt_f32_f64_e32 v4, v[4:5]
	s_branch .LBB18_1246
.LBB18_1234:
	s_mov_b32 s11, 0
	s_mov_b32 s0, 0
                                        ; implicit-def: $vgpr4
	s_cbranch_execnz .LBB18_1319
	s_branch .LBB18_1351
.LBB18_1235:
                                        ; implicit-def: $vgpr4
	s_branch .LBB18_1264
.LBB18_1236:
	s_mov_b32 s12, -1
	s_mov_b32 s11, 0
	s_mov_b32 s0, 0
                                        ; implicit-def: $vgpr4
	s_branch .LBB18_1300
.LBB18_1237:
	s_mov_b32 s0, -1
                                        ; implicit-def: $vgpr4
	s_branch .LBB18_1252
.LBB18_1238:
	s_mov_b32 s12, -1
	s_mov_b32 s11, 0
	s_mov_b32 s0, 0
                                        ; implicit-def: $vgpr4
	s_branch .LBB18_1295
.LBB18_1239:
	s_mov_b32 s0, -1
                                        ; implicit-def: $vgpr4
	s_branch .LBB18_1249
.LBB18_1240:
	s_cbranch_execnz .LBB18_1284
; %bb.1241:
	s_or_b32 s1, s9, exec_lo
                                        ; implicit-def: $vgpr3
	s_cbranch_execz .LBB18_1206
	s_branch .LBB18_1207
.LBB18_1242:
	s_or_saveexec_b32 s14, s14
                                        ; implicit-def: $sgpr15
	s_delay_alu instid0(SALU_CYCLE_1)
	s_xor_b32 exec_lo, exec_lo, s14
	s_cbranch_execz .LBB18_992
.LBB18_1243:
	v_add_f32_e64 v1, 0x46000000, |v0|
	s_and_not1_b32 s13, s13, exec_lo
	s_mov_b32 s15, 0
	s_delay_alu instid0(VALU_DEP_1) | instskip(NEXT) | instid1(VALU_DEP_1)
	v_and_b32_e32 v1, 0xff, v1
	v_cmp_ne_u32_e32 vcc_lo, 0, v1
	s_and_b32 s16, vcc_lo, exec_lo
	s_delay_alu instid0(SALU_CYCLE_1)
	s_or_b32 s13, s13, s16
	s_or_b32 exec_lo, exec_lo, s14
	v_mov_b32_e32 v4, s15
	s_and_saveexec_b32 s14, s13
	s_cbranch_execnz .LBB18_993
	s_branch .LBB18_994
.LBB18_1244:
	s_mov_b32 s12, -1
	s_mov_b32 s11, 0
	s_mov_b32 s0, 0
	s_branch .LBB18_1289
.LBB18_1245:
	s_mov_b32 s0, -1
                                        ; implicit-def: $vgpr4
.LBB18_1246:
	s_delay_alu instid0(SALU_CYCLE_1)
	s_and_not1_b32 vcc_lo, exec_lo, s0
	s_cbranch_vccnz .LBB18_1248
; %bb.1247:
	global_load_b32 v4, v[1:2], off
.LBB18_1248:
	s_mov_b32 s0, 0
.LBB18_1249:
	s_delay_alu instid0(SALU_CYCLE_1)
	s_and_not1_b32 vcc_lo, exec_lo, s0
	s_cbranch_vccnz .LBB18_1251
; %bb.1250:
	global_load_b32 v4, v[1:2], off
	s_waitcnt vmcnt(0)
	v_cvt_f32_f16_e32 v4, v4
.LBB18_1251:
	s_mov_b32 s0, 0
.LBB18_1252:
	s_delay_alu instid0(SALU_CYCLE_1)
	s_and_not1_b32 vcc_lo, exec_lo, s0
	s_cbranch_vccnz .LBB18_1263
; %bb.1253:
	v_cmp_gt_i16_e32 vcc_lo, 6, v9
	s_cbranch_vccnz .LBB18_1256
; %bb.1254:
	v_cmp_lt_i16_e32 vcc_lo, 6, v9
	s_cbranch_vccz .LBB18_1257
; %bb.1255:
	global_load_b64 v[4:5], v[1:2], off
	s_mov_b32 s0, 0
	s_waitcnt vmcnt(0)
	v_cvt_f32_f64_e32 v4, v[4:5]
	s_branch .LBB18_1258
.LBB18_1256:
	s_mov_b32 s0, -1
                                        ; implicit-def: $vgpr4
	s_branch .LBB18_1261
.LBB18_1257:
	s_mov_b32 s0, -1
                                        ; implicit-def: $vgpr4
.LBB18_1258:
	s_delay_alu instid0(SALU_CYCLE_1)
	s_and_not1_b32 vcc_lo, exec_lo, s0
	s_cbranch_vccnz .LBB18_1260
; %bb.1259:
	global_load_b32 v4, v[1:2], off
.LBB18_1260:
	s_mov_b32 s0, 0
.LBB18_1261:
	s_delay_alu instid0(SALU_CYCLE_1)
	s_and_not1_b32 vcc_lo, exec_lo, s0
	s_cbranch_vccnz .LBB18_1263
; %bb.1262:
	global_load_u16 v4, v[1:2], off
	s_waitcnt vmcnt(0)
	v_cvt_f32_f16_e32 v4, v4
.LBB18_1263:
	s_cbranch_execnz .LBB18_1283
.LBB18_1264:
	v_cmp_gt_i16_e32 vcc_lo, 2, v9
	s_cbranch_vccnz .LBB18_1268
; %bb.1265:
	v_cmp_gt_i16_e32 vcc_lo, 3, v9
	s_cbranch_vccnz .LBB18_1269
; %bb.1266:
	v_cmp_lt_i16_e32 vcc_lo, 3, v9
	s_cbranch_vccz .LBB18_1270
; %bb.1267:
	global_load_b64 v[4:5], v[1:2], off
	s_mov_b32 s0, 0
	s_waitcnt vmcnt(0)
	v_xor_b32_e32 v6, v4, v5
	v_cls_i32_e32 v10, v5
	s_delay_alu instid0(VALU_DEP_2) | instskip(NEXT) | instid1(VALU_DEP_2)
	v_ashrrev_i32_e32 v6, 31, v6
	v_add_nc_u32_e32 v10, -1, v10
	s_delay_alu instid0(VALU_DEP_2) | instskip(NEXT) | instid1(VALU_DEP_1)
	v_add_nc_u32_e32 v6, 32, v6
	v_min_u32_e32 v6, v10, v6
	s_delay_alu instid0(VALU_DEP_1) | instskip(NEXT) | instid1(VALU_DEP_1)
	v_lshlrev_b64 v[4:5], v6, v[4:5]
	v_min_u32_e32 v4, 1, v4
	s_delay_alu instid0(VALU_DEP_1) | instskip(SKIP_1) | instid1(VALU_DEP_2)
	v_or_b32_e32 v4, v5, v4
	v_sub_nc_u32_e32 v5, 32, v6
	v_cvt_f32_i32_e32 v4, v4
	s_delay_alu instid0(VALU_DEP_1)
	v_ldexp_f32 v4, v4, v5
	s_branch .LBB18_1271
.LBB18_1268:
	s_mov_b32 s0, -1
                                        ; implicit-def: $vgpr4
	s_branch .LBB18_1277
.LBB18_1269:
	s_mov_b32 s0, -1
                                        ; implicit-def: $vgpr4
	s_branch .LBB18_1274
.LBB18_1270:
	s_mov_b32 s0, -1
                                        ; implicit-def: $vgpr4
.LBB18_1271:
	s_delay_alu instid0(SALU_CYCLE_1)
	s_and_not1_b32 vcc_lo, exec_lo, s0
	s_cbranch_vccnz .LBB18_1273
; %bb.1272:
	global_load_b32 v4, v[1:2], off
	s_waitcnt vmcnt(0)
	v_cvt_f32_i32_e32 v4, v4
.LBB18_1273:
	s_mov_b32 s0, 0
.LBB18_1274:
	s_delay_alu instid0(SALU_CYCLE_1)
	s_and_not1_b32 vcc_lo, exec_lo, s0
	s_cbranch_vccnz .LBB18_1276
; %bb.1275:
	global_load_i16 v4, v[1:2], off
	s_waitcnt vmcnt(0)
	v_cvt_f32_i32_e32 v4, v4
.LBB18_1276:
	s_mov_b32 s0, 0
.LBB18_1277:
	s_delay_alu instid0(SALU_CYCLE_1)
	s_and_not1_b32 vcc_lo, exec_lo, s0
	s_cbranch_vccnz .LBB18_1283
; %bb.1278:
	v_cmp_lt_i16_e32 vcc_lo, 0, v9
	s_mov_b32 s0, 0
	s_cbranch_vccz .LBB18_1280
; %bb.1279:
	global_load_i8 v4, v[1:2], off
	s_waitcnt vmcnt(0)
	v_cvt_f32_i32_e32 v4, v4
	s_branch .LBB18_1281
.LBB18_1280:
	s_mov_b32 s0, -1
                                        ; implicit-def: $vgpr4
.LBB18_1281:
	s_delay_alu instid0(SALU_CYCLE_1)
	s_and_not1_b32 vcc_lo, exec_lo, s0
	s_cbranch_vccnz .LBB18_1283
; %bb.1282:
	global_load_u8 v1, v[1:2], off
	s_waitcnt vmcnt(0)
	v_cvt_f32_ubyte0_e32 v4, v1
.LBB18_1283:
	s_branch .LBB18_1356
.LBB18_1284:
	s_trap 2
	s_sendmsg_rtn_b32 s0, sendmsg(MSG_RTN_GET_DOORBELL)
	s_mov_b32 ttmp2, m0
	s_waitcnt lgkmcnt(0)
	s_and_b32 s0, s0, 0x3ff
	s_delay_alu instid0(SALU_CYCLE_1) | instskip(NEXT) | instid1(SALU_CYCLE_1)
	s_bitset1_b32 s0, 10
	s_mov_b32 m0, s0
	s_sendmsg sendmsg(MSG_INTERRUPT)
	s_mov_b32 m0, ttmp2
.LBB18_1285:                            ; =>This Inner Loop Header: Depth=1
	s_sethalt 5
	s_branch .LBB18_1285
.LBB18_1286:
	s_or_saveexec_b32 s15, s15
                                        ; implicit-def: $sgpr16
	s_delay_alu instid0(SALU_CYCLE_1)
	s_xor_b32 exec_lo, exec_lo, s15
	s_cbranch_execz .LBB18_1004
.LBB18_1287:
	v_add_f32_e64 v1, 0x42800000, |v0|
	s_and_not1_b32 s14, s14, exec_lo
	s_mov_b32 s16, 0
	s_delay_alu instid0(VALU_DEP_1) | instskip(NEXT) | instid1(VALU_DEP_1)
	v_and_b32_e32 v1, 0xff, v1
	v_cmp_ne_u32_e32 vcc_lo, 0, v1
	s_and_b32 s17, vcc_lo, exec_lo
	s_delay_alu instid0(SALU_CYCLE_1)
	s_or_b32 s14, s14, s17
	s_or_b32 exec_lo, exec_lo, s15
	v_mov_b32_e32 v4, s16
	s_and_saveexec_b32 s15, s14
	s_cbranch_execnz .LBB18_1005
	s_branch .LBB18_1006
.LBB18_1288:
	s_mov_b32 s0, -1
	s_mov_b32 s11, 0
.LBB18_1289:
                                        ; implicit-def: $vgpr4
.LBB18_1290:
	s_and_b32 vcc_lo, exec_lo, s12
	s_cbranch_vccz .LBB18_1294
; %bb.1291:
	v_cmp_eq_u16_e32 vcc_lo, 44, v9
	s_cbranch_vccz .LBB18_1293
; %bb.1292:
	global_load_u8 v4, v[1:2], off
	s_mov_b32 s0, 0
	s_mov_b32 s11, -1
	s_waitcnt vmcnt(0)
	v_lshlrev_b32_e32 v5, 23, v4
	v_cmp_ne_u32_e32 vcc_lo, 0xff, v4
	s_delay_alu instid0(VALU_DEP_2) | instskip(SKIP_1) | instid1(VALU_DEP_2)
	v_cndmask_b32_e32 v5, 0x7f800001, v5, vcc_lo
	v_cmp_ne_u32_e32 vcc_lo, 0, v4
	v_cndmask_b32_e32 v4, 0x400000, v5, vcc_lo
	s_branch .LBB18_1294
.LBB18_1293:
	s_mov_b32 s0, -1
                                        ; implicit-def: $vgpr4
.LBB18_1294:
	s_mov_b32 s12, 0
.LBB18_1295:
	s_delay_alu instid0(SALU_CYCLE_1)
	s_and_b32 vcc_lo, exec_lo, s12
	s_cbranch_vccz .LBB18_1299
; %bb.1296:
	v_cmp_eq_u16_e32 vcc_lo, 29, v9
	s_cbranch_vccz .LBB18_1298
; %bb.1297:
	global_load_b64 v[4:5], v[1:2], off
	s_mov_b32 s0, 0
	s_mov_b32 s11, -1
	s_mov_b32 s12, 0
	s_waitcnt vmcnt(0)
	v_clz_i32_u32_e32 v6, v5
	s_delay_alu instid0(VALU_DEP_1) | instskip(NEXT) | instid1(VALU_DEP_1)
	v_min_u32_e32 v6, 32, v6
	v_lshlrev_b64 v[4:5], v6, v[4:5]
	s_delay_alu instid0(VALU_DEP_1) | instskip(NEXT) | instid1(VALU_DEP_1)
	v_min_u32_e32 v4, 1, v4
	v_or_b32_e32 v4, v5, v4
	v_sub_nc_u32_e32 v5, 32, v6
	s_delay_alu instid0(VALU_DEP_2) | instskip(NEXT) | instid1(VALU_DEP_1)
	v_cvt_f32_u32_e32 v4, v4
	v_ldexp_f32 v4, v4, v5
	s_branch .LBB18_1300
.LBB18_1298:
	s_mov_b32 s0, -1
                                        ; implicit-def: $vgpr4
.LBB18_1299:
	s_mov_b32 s12, 0
.LBB18_1300:
	s_delay_alu instid0(SALU_CYCLE_1)
	s_and_b32 vcc_lo, exec_lo, s12
	s_cbranch_vccz .LBB18_1318
; %bb.1301:
	v_cmp_gt_i16_e32 vcc_lo, 27, v9
	s_cbranch_vccnz .LBB18_1304
; %bb.1302:
	v_cmp_lt_i16_e32 vcc_lo, 27, v9
	s_cbranch_vccz .LBB18_1305
; %bb.1303:
	global_load_b32 v4, v[1:2], off
	s_mov_b32 s11, 0
	s_waitcnt vmcnt(0)
	v_cvt_f32_u32_e32 v4, v4
	s_branch .LBB18_1306
.LBB18_1304:
	s_mov_b32 s11, -1
                                        ; implicit-def: $vgpr4
	s_branch .LBB18_1309
.LBB18_1305:
	s_mov_b32 s11, -1
                                        ; implicit-def: $vgpr4
.LBB18_1306:
	s_delay_alu instid0(SALU_CYCLE_1)
	s_and_not1_b32 vcc_lo, exec_lo, s11
	s_cbranch_vccnz .LBB18_1308
; %bb.1307:
	global_load_u16 v4, v[1:2], off
	s_waitcnt vmcnt(0)
	v_cvt_f32_u32_e32 v4, v4
.LBB18_1308:
	s_mov_b32 s11, 0
.LBB18_1309:
	s_delay_alu instid0(SALU_CYCLE_1)
	s_and_not1_b32 vcc_lo, exec_lo, s11
	s_cbranch_vccnz .LBB18_1317
; %bb.1310:
	global_load_u8 v5, v[1:2], off
	s_mov_b32 s11, 0
	s_mov_b32 s13, exec_lo
                                        ; implicit-def: $sgpr12
	s_waitcnt vmcnt(0)
	v_cmpx_lt_i16_e32 0x7f, v5
	s_xor_b32 s13, exec_lo, s13
	s_cbranch_execz .LBB18_1330
; %bb.1311:
	s_mov_b32 s11, -1
	s_mov_b32 s14, exec_lo
                                        ; implicit-def: $sgpr12
	v_cmpx_eq_u16_e32 0x80, v5
; %bb.1312:
	s_mov_b32 s12, 0x7f800001
	s_xor_b32 s11, exec_lo, -1
; %bb.1313:
	s_or_b32 exec_lo, exec_lo, s14
	s_delay_alu instid0(SALU_CYCLE_1)
	s_and_b32 s11, s11, exec_lo
	s_or_saveexec_b32 s13, s13
	v_mov_b32_e32 v4, s12
	s_xor_b32 exec_lo, exec_lo, s13
	s_cbranch_execnz .LBB18_1331
.LBB18_1314:
	s_or_b32 exec_lo, exec_lo, s13
	s_and_saveexec_b32 s12, s11
	s_cbranch_execz .LBB18_1316
.LBB18_1315:
	v_and_b32_e32 v4, 0xffff, v5
	s_delay_alu instid0(VALU_DEP_1) | instskip(NEXT) | instid1(VALU_DEP_1)
	v_and_b32_e32 v6, 7, v4
	v_clz_i32_u32_e32 v10, v6
	s_delay_alu instid0(VALU_DEP_1) | instskip(NEXT) | instid1(VALU_DEP_1)
	v_min_u32_e32 v10, 32, v10
	v_subrev_nc_u32_e32 v11, 28, v10
	v_sub_nc_u32_e32 v10, 29, v10
	s_delay_alu instid0(VALU_DEP_2) | instskip(SKIP_1) | instid1(VALU_DEP_1)
	v_lshlrev_b32_e32 v11, v11, v4
	v_bfe_u32 v4, v4, 3, 4
	v_cmp_eq_u32_e32 vcc_lo, 0, v4
	s_delay_alu instid0(VALU_DEP_3) | instskip(SKIP_1) | instid1(VALU_DEP_2)
	v_dual_cndmask_b32 v4, v4, v10 :: v_dual_and_b32 v11, 7, v11
	v_lshlrev_b32_e32 v5, 24, v5
	v_lshl_add_u32 v4, v4, 23, 0x3b800000
	s_delay_alu instid0(VALU_DEP_2) | instskip(NEXT) | instid1(VALU_DEP_1)
	v_dual_cndmask_b32 v6, v6, v11 :: v_dual_and_b32 v5, 0x80000000, v5
	v_lshlrev_b32_e32 v6, 20, v6
	s_delay_alu instid0(VALU_DEP_1)
	v_or3_b32 v4, v5, v4, v6
.LBB18_1316:
	s_or_b32 exec_lo, exec_lo, s12
.LBB18_1317:
	s_mov_b32 s11, -1
.LBB18_1318:
	s_branch .LBB18_1351
.LBB18_1319:
	v_cmp_lt_i16_e32 vcc_lo, 22, v9
	s_cbranch_vccz .LBB18_1329
; %bb.1320:
	v_cmp_gt_i16_e32 vcc_lo, 24, v9
	s_cbranch_vccnz .LBB18_1332
; %bb.1321:
	v_cmp_lt_i16_e32 vcc_lo, 24, v9
	s_cbranch_vccz .LBB18_1333
; %bb.1322:
	global_load_u8 v5, v[1:2], off
	s_mov_b32 s12, exec_lo
                                        ; implicit-def: $sgpr11
	s_waitcnt vmcnt(0)
	v_cmpx_lt_i16_e32 0x7f, v5
	s_xor_b32 s12, exec_lo, s12
	s_cbranch_execz .LBB18_1345
; %bb.1323:
	s_mov_b32 s10, -1
	s_mov_b32 s13, exec_lo
                                        ; implicit-def: $sgpr11
	v_cmpx_eq_u16_e32 0x80, v5
; %bb.1324:
	s_mov_b32 s11, 0x7f800001
	s_xor_b32 s10, exec_lo, -1
; %bb.1325:
	s_or_b32 exec_lo, exec_lo, s13
	s_delay_alu instid0(SALU_CYCLE_1)
	s_and_b32 s10, s10, exec_lo
	s_or_saveexec_b32 s12, s12
	v_mov_b32_e32 v4, s11
	s_xor_b32 exec_lo, exec_lo, s12
	s_cbranch_execnz .LBB18_1346
.LBB18_1326:
	s_or_b32 exec_lo, exec_lo, s12
	s_and_saveexec_b32 s11, s10
	s_cbranch_execz .LBB18_1328
.LBB18_1327:
	v_and_b32_e32 v4, 0xffff, v5
	s_delay_alu instid0(VALU_DEP_1) | instskip(NEXT) | instid1(VALU_DEP_1)
	v_and_b32_e32 v6, 3, v4
	v_clz_i32_u32_e32 v10, v6
	s_delay_alu instid0(VALU_DEP_1) | instskip(NEXT) | instid1(VALU_DEP_1)
	v_min_u32_e32 v10, 32, v10
	v_subrev_nc_u32_e32 v11, 29, v10
	v_sub_nc_u32_e32 v10, 30, v10
	s_delay_alu instid0(VALU_DEP_2) | instskip(SKIP_1) | instid1(VALU_DEP_1)
	v_lshlrev_b32_e32 v11, v11, v4
	v_bfe_u32 v4, v4, 2, 5
	v_cmp_eq_u32_e32 vcc_lo, 0, v4
	s_delay_alu instid0(VALU_DEP_3) | instskip(SKIP_1) | instid1(VALU_DEP_2)
	v_dual_cndmask_b32 v4, v4, v10 :: v_dual_and_b32 v11, 3, v11
	v_lshlrev_b32_e32 v5, 24, v5
	v_lshl_add_u32 v4, v4, 23, 0x37800000
	s_delay_alu instid0(VALU_DEP_2) | instskip(NEXT) | instid1(VALU_DEP_1)
	v_dual_cndmask_b32 v6, v6, v11 :: v_dual_and_b32 v5, 0x80000000, v5
	v_lshlrev_b32_e32 v6, 21, v6
	s_delay_alu instid0(VALU_DEP_1)
	v_or3_b32 v4, v5, v4, v6
.LBB18_1328:
	s_or_b32 exec_lo, exec_lo, s11
	s_mov_b32 s10, 0
	s_branch .LBB18_1334
.LBB18_1329:
	s_mov_b32 s10, -1
                                        ; implicit-def: $vgpr4
	s_branch .LBB18_1340
.LBB18_1330:
	s_or_saveexec_b32 s13, s13
	v_mov_b32_e32 v4, s12
	s_xor_b32 exec_lo, exec_lo, s13
	s_cbranch_execz .LBB18_1314
.LBB18_1331:
	v_cmp_ne_u16_e32 vcc_lo, 0, v5
	v_mov_b32_e32 v4, 0
	s_and_not1_b32 s11, s11, exec_lo
	s_and_b32 s12, vcc_lo, exec_lo
	s_delay_alu instid0(SALU_CYCLE_1)
	s_or_b32 s11, s11, s12
	s_or_b32 exec_lo, exec_lo, s13
	s_and_saveexec_b32 s12, s11
	s_cbranch_execnz .LBB18_1315
	s_branch .LBB18_1316
.LBB18_1332:
	s_mov_b32 s10, -1
                                        ; implicit-def: $vgpr4
	s_branch .LBB18_1337
.LBB18_1333:
	s_mov_b32 s10, -1
                                        ; implicit-def: $vgpr4
.LBB18_1334:
	s_delay_alu instid0(SALU_CYCLE_1)
	s_and_b32 vcc_lo, exec_lo, s10
	s_cbranch_vccz .LBB18_1336
; %bb.1335:
	global_load_u8 v4, v[1:2], off
	s_waitcnt vmcnt(0)
	v_lshlrev_b32_e32 v4, 24, v4
	s_delay_alu instid0(VALU_DEP_1) | instskip(NEXT) | instid1(VALU_DEP_1)
	v_and_b32_e32 v5, 0x7f000000, v4
	v_clz_i32_u32_e32 v6, v5
	v_add_nc_u32_e32 v11, 0x1000000, v5
	v_cmp_ne_u32_e32 vcc_lo, 0, v5
	s_delay_alu instid0(VALU_DEP_3) | instskip(NEXT) | instid1(VALU_DEP_1)
	v_min_u32_e32 v6, 32, v6
	v_sub_nc_u32_e64 v6, v6, 4 clamp
	s_delay_alu instid0(VALU_DEP_1) | instskip(SKIP_1) | instid1(VALU_DEP_2)
	v_lshlrev_b32_e32 v10, v6, v5
	v_lshlrev_b32_e32 v6, 23, v6
	v_lshrrev_b32_e32 v10, 4, v10
	s_delay_alu instid0(VALU_DEP_1) | instskip(SKIP_1) | instid1(VALU_DEP_2)
	v_sub_nc_u32_e32 v6, v10, v6
	v_ashrrev_i32_e32 v10, 8, v11
	v_add_nc_u32_e32 v6, 0x3c000000, v6
	s_delay_alu instid0(VALU_DEP_1) | instskip(NEXT) | instid1(VALU_DEP_1)
	v_and_or_b32 v6, 0x7f800000, v10, v6
	v_cndmask_b32_e32 v5, 0, v6, vcc_lo
	s_delay_alu instid0(VALU_DEP_1)
	v_and_or_b32 v4, 0x80000000, v4, v5
.LBB18_1336:
	s_mov_b32 s10, 0
.LBB18_1337:
	s_delay_alu instid0(SALU_CYCLE_1)
	s_and_not1_b32 vcc_lo, exec_lo, s10
	s_cbranch_vccnz .LBB18_1339
; %bb.1338:
	global_load_u8 v4, v[1:2], off
	s_waitcnt vmcnt(0)
	v_lshlrev_b32_e32 v5, 25, v4
	v_lshlrev_b16 v4, 8, v4
	s_delay_alu instid0(VALU_DEP_1) | instskip(SKIP_1) | instid1(VALU_DEP_2)
	v_and_or_b32 v10, 0x7f00, v4, 0.5
	v_bfe_i32 v4, v4, 0, 16
	v_add_f32_e32 v10, -0.5, v10
	v_lshrrev_b32_e32 v6, 4, v5
	v_cmp_gt_u32_e32 vcc_lo, 0x8000000, v5
	s_delay_alu instid0(VALU_DEP_2) | instskip(NEXT) | instid1(VALU_DEP_1)
	v_or_b32_e32 v6, 0x70000000, v6
	v_mul_f32_e32 v6, 0x7800000, v6
	s_delay_alu instid0(VALU_DEP_1) | instskip(NEXT) | instid1(VALU_DEP_1)
	v_cndmask_b32_e32 v5, v6, v10, vcc_lo
	v_and_or_b32 v4, 0x80000000, v4, v5
.LBB18_1339:
	s_mov_b32 s10, 0
	s_mov_b32 s11, -1
.LBB18_1340:
	s_and_not1_b32 vcc_lo, exec_lo, s10
	s_mov_b32 s10, 0
	s_cbranch_vccnz .LBB18_1351
; %bb.1341:
	v_cmp_lt_i16_e32 vcc_lo, 14, v9
	s_cbranch_vccz .LBB18_1344
; %bb.1342:
	v_cmp_eq_u16_e32 vcc_lo, 15, v9
	s_cbranch_vccz .LBB18_1347
; %bb.1343:
	global_load_u16 v4, v[1:2], off
	s_mov_b32 s0, 0
	s_mov_b32 s11, -1
	s_waitcnt vmcnt(0)
	v_lshlrev_b32_e32 v4, 16, v4
	s_branch .LBB18_1349
.LBB18_1344:
	s_mov_b32 s10, -1
	s_branch .LBB18_1348
.LBB18_1345:
	s_or_saveexec_b32 s12, s12
	v_mov_b32_e32 v4, s11
	s_xor_b32 exec_lo, exec_lo, s12
	s_cbranch_execz .LBB18_1326
.LBB18_1346:
	v_cmp_ne_u16_e32 vcc_lo, 0, v5
	v_mov_b32_e32 v4, 0
	s_and_not1_b32 s10, s10, exec_lo
	s_and_b32 s11, vcc_lo, exec_lo
	s_delay_alu instid0(SALU_CYCLE_1)
	s_or_b32 s10, s10, s11
	s_or_b32 exec_lo, exec_lo, s12
	s_and_saveexec_b32 s11, s10
	s_cbranch_execnz .LBB18_1327
	s_branch .LBB18_1328
.LBB18_1347:
	s_mov_b32 s0, -1
.LBB18_1348:
                                        ; implicit-def: $vgpr4
.LBB18_1349:
	s_and_b32 vcc_lo, exec_lo, s10
	s_mov_b32 s10, 0
	s_cbranch_vccz .LBB18_1351
; %bb.1350:
	v_cmp_ne_u16_e64 s0, 11, v9
	s_mov_b32 s10, -1
                                        ; implicit-def: $vgpr4
.LBB18_1351:
	s_delay_alu instid0(VALU_DEP_1)
	s_and_b32 vcc_lo, exec_lo, s0
	s_cbranch_vccnz .LBB18_1387
; %bb.1352:
	s_and_not1_b32 vcc_lo, exec_lo, s10
	s_cbranch_vccnz .LBB18_1354
.LBB18_1353:
	global_load_u8 v4, v[1:2], off
	s_mov_b32 s11, -1
	s_waitcnt vmcnt(0)
	v_cmp_ne_u16_e32 vcc_lo, 0, v4
	v_cndmask_b32_e64 v4, 0, 1.0, vcc_lo
.LBB18_1354:
.LBB18_1355:
	s_and_not1_b32 vcc_lo, exec_lo, s11
	s_cbranch_vccnz .LBB18_1737
.LBB18_1356:
	s_waitcnt vmcnt(0)
	s_delay_alu instid0(VALU_DEP_1) | instskip(NEXT) | instid1(VALU_DEP_1)
	v_cmp_ge_f32_e64 s0, 0x41000000, |v4|
                                        ; implicit-def: $vgpr2
	s_and_saveexec_b32 s10, s0
	s_delay_alu instid0(SALU_CYCLE_1)
	s_xor_b32 s0, exec_lo, s10
	s_cbranch_execz .LBB18_1362
; %bb.1357:
	v_fma_f32 v1, |v4|, 0.5, -2.0
	s_mov_b32 s10, 0x224cf950
	s_delay_alu instid0(VALU_DEP_1) | instid1(SALU_CYCLE_1)
	v_fmaak_f32 v2, s10, v1, 0xa3c2be86
	s_mov_b32 s10, exec_lo
	s_delay_alu instid0(VALU_DEP_1) | instskip(NEXT) | instid1(VALU_DEP_1)
	v_fmaak_f32 v5, v1, v2, 0xa24cf950
	v_add_f32_e32 v5, 0x25331f1f, v5
	s_delay_alu instid0(VALU_DEP_1) | instskip(NEXT) | instid1(VALU_DEP_1)
	v_fma_f32 v2, v1, v5, -v2
	v_add_f32_e32 v2, 0xa69f5554, v2
	s_delay_alu instid0(VALU_DEP_1) | instskip(NEXT) | instid1(VALU_DEP_1)
	v_fma_f32 v5, v1, v2, -v5
	;; [unrolled: 3-line block ×26, first 2 shown]
                                        ; implicit-def: $vgpr2
	v_add_f32_e32 v1, 0x3e81531c, v1
	s_delay_alu instid0(VALU_DEP_1)
	v_sub_f32_e32 v1, v1, v5
	v_cmpx_ngt_f32_e32 0, v4
	s_xor_b32 s10, exec_lo, s10
	s_cbranch_execz .LBB18_1359
; %bb.1358:
	v_mul_f32_e64 v2, 0x3fb8aa3b, |v4|
	v_cmp_ngt_f32_e64 vcc_lo, 0xc2ce8ed0, |v4|
	v_mul_f32_e32 v1, 0.5, v1
	s_delay_alu instid0(VALU_DEP_3) | instskip(SKIP_1) | instid1(VALU_DEP_3)
	v_rndne_f32_e32 v5, v2
	v_fma_f32 v6, 0x3fb8aa3b, |v4|, -v2
	v_mul_f32_e64 v1, |v4|, v1
	s_delay_alu instid0(VALU_DEP_3) | instskip(NEXT) | instid1(VALU_DEP_3)
	v_sub_f32_e32 v2, v2, v5
	v_fma_f32 v6, 0x32a5705f, |v4|, v6
	v_cvt_i32_f32_e32 v5, v5
	s_delay_alu instid0(VALU_DEP_2) | instskip(NEXT) | instid1(VALU_DEP_1)
	v_add_f32_e32 v2, v2, v6
	v_exp_f32_e32 v2, v2
	s_waitcnt_depctr 0xfff
	v_ldexp_f32 v2, v2, v5
	s_delay_alu instid0(VALU_DEP_1) | instskip(SKIP_1) | instid1(VALU_DEP_2)
	v_cndmask_b32_e32 v2, 0, v2, vcc_lo
	v_cmp_nlt_f32_e64 vcc_lo, 0x42b17218, |v4|
                                        ; implicit-def: $vgpr4
	v_cndmask_b32_e32 v2, 0x7f800000, v2, vcc_lo
	s_delay_alu instid0(VALU_DEP_1)
	v_mul_f32_e32 v2, v2, v1
                                        ; implicit-def: $vgpr1
.LBB18_1359:
	s_and_not1_saveexec_b32 s10, s10
	s_cbranch_execz .LBB18_1361
; %bb.1360:
	v_mul_f32_e64 v2, 0x3fb8aa3b, |v4|
	v_cmp_ngt_f32_e64 vcc_lo, 0xc2ce8ed0, |v4|
	v_mul_f32_e32 v1, -0.5, v1
	s_delay_alu instid0(VALU_DEP_3) | instskip(SKIP_1) | instid1(VALU_DEP_3)
	v_rndne_f32_e32 v5, v2
	v_fma_f32 v6, 0x3fb8aa3b, |v4|, -v2
	v_mul_f32_e64 v1, |v4|, v1
	s_delay_alu instid0(VALU_DEP_3) | instskip(NEXT) | instid1(VALU_DEP_3)
	v_sub_f32_e32 v2, v2, v5
	v_fma_f32 v6, 0x32a5705f, |v4|, v6
	v_cvt_i32_f32_e32 v5, v5
	s_delay_alu instid0(VALU_DEP_2) | instskip(NEXT) | instid1(VALU_DEP_1)
	v_add_f32_e32 v2, v2, v6
	v_exp_f32_e32 v2, v2
	s_waitcnt_depctr 0xfff
	v_ldexp_f32 v2, v2, v5
	s_delay_alu instid0(VALU_DEP_1) | instskip(SKIP_1) | instid1(VALU_DEP_2)
	v_cndmask_b32_e32 v2, 0, v2, vcc_lo
	v_cmp_nlt_f32_e64 vcc_lo, 0x42b17218, |v4|
	v_cndmask_b32_e32 v2, 0x7f800000, v2, vcc_lo
	s_delay_alu instid0(VALU_DEP_1)
	v_mul_f32_e32 v2, v2, v1
.LBB18_1361:
	s_or_b32 exec_lo, exec_lo, s10
                                        ; implicit-def: $vgpr4
.LBB18_1362:
	s_and_not1_saveexec_b32 s10, s0
	s_cbranch_execz .LBB18_1368
; %bb.1363:
	v_and_b32_e32 v1, 0x7fffffff, v4
	s_mov_b32 s0, 0x230aab6e
	s_delay_alu instid0(VALU_DEP_1) | instskip(SKIP_1) | instid1(VALU_DEP_2)
	v_div_scale_f32 v2, null, v1, v1, 0x42000000
	v_div_scale_f32 v1, vcc_lo, 0x42000000, v1, 0x42000000
	v_rcp_f32_e32 v5, v2
	s_waitcnt_depctr 0xfff
	v_fma_f32 v6, -v2, v5, 1.0
	s_delay_alu instid0(VALU_DEP_1) | instskip(NEXT) | instid1(VALU_DEP_1)
	v_fmac_f32_e32 v5, v6, v5
	v_mul_f32_e32 v6, v1, v5
	s_delay_alu instid0(VALU_DEP_1) | instskip(NEXT) | instid1(VALU_DEP_1)
	v_fma_f32 v10, -v2, v6, v1
	v_fmac_f32_e32 v6, v10, v5
	s_delay_alu instid0(VALU_DEP_1) | instskip(NEXT) | instid1(VALU_DEP_1)
	v_fma_f32 v1, -v2, v6, v1
	v_div_fmas_f32 v1, v1, v5, v6
	v_mul_f32_e64 v6, 0x3fb8aa3b, |v4|
	v_cmp_ngt_f32_e64 vcc_lo, 0xc2ce8ed0, |v4|
	s_delay_alu instid0(VALU_DEP_3) | instskip(NEXT) | instid1(VALU_DEP_3)
	v_div_fixup_f32 v1, v1, |v4|, 0x42000000
	v_rndne_f32_e32 v10, v6
	v_fma_f32 v11, 0x3fb8aa3b, |v4|, -v6
	s_delay_alu instid0(VALU_DEP_2) | instskip(NEXT) | instid1(VALU_DEP_2)
	v_dual_add_f32 v1, -2.0, v1 :: v_dual_sub_f32 v6, v6, v10
	v_fma_f32 v11, 0x32a5705f, |v4|, v11
	v_cvt_i32_f32_e32 v10, v10
	s_delay_alu instid0(VALU_DEP_3) | instskip(SKIP_1) | instid1(VALU_DEP_2)
	v_fmaak_f32 v2, s0, v1, 0x22a2dc57
	v_cmp_nlt_f32_e64 s0, 0x42b17218, |v4|
	v_dual_add_f32 v6, v6, v11 :: v_dual_fmaak_f32 v5, v1, v2, 0xa30aab6e
	s_delay_alu instid0(VALU_DEP_1) | instskip(NEXT) | instid1(VALU_DEP_1)
	v_exp_f32_e32 v6, v6
	v_add_f32_e32 v5, 0xa456751e, v5
	s_delay_alu instid0(VALU_DEP_1) | instskip(NEXT) | instid1(VALU_DEP_1)
	v_fma_f32 v2, v1, v5, -v2
	v_add_f32_e32 v2, 0xa4140365, v2
	s_delay_alu instid0(VALU_DEP_1) | instskip(NEXT) | instid1(VALU_DEP_1)
	v_fma_f32 v5, v1, v2, -v5
	;; [unrolled: 3-line block ×21, first 2 shown]
	v_add_f32_e32 v2, 0xbc1fed03, v2
	s_delay_alu instid0(VALU_DEP_1) | instskip(SKIP_2) | instid1(VALU_DEP_2)
	v_fma_f32 v1, v1, v2, -v5
	v_ldexp_f32 v2, v6, v10
	v_mul_f32_e64 v6, 0x4f800000, |v4|
	v_dual_add_f32 v1, 0x3f4750c6, v1 :: v_dual_cndmask_b32 v2, 0, v2
	s_delay_alu instid0(VALU_DEP_1) | instskip(NEXT) | instid1(VALU_DEP_2)
	v_sub_f32_e32 v5, v1, v5
	v_cndmask_b32_e64 v1, 0x7f800000, v2, s0
                                        ; implicit-def: $vgpr2
	s_mov_b32 s0, exec_lo
	s_delay_alu instid0(VALU_DEP_2)
	v_mul_f32_e32 v5, 0.5, v5
	v_cmpx_ngt_f32_e32 0, v4
	s_xor_b32 s11, exec_lo, s0
	s_cbranch_execz .LBB18_1365
; %bb.1364:
	v_cmp_gt_f32_e64 vcc_lo, 0xf800000, |v4|
	v_mul_f32_e32 v1, v1, v5
	s_delay_alu instid0(VALU_DEP_2) | instskip(NEXT) | instid1(VALU_DEP_1)
	v_cndmask_b32_e64 v2, |v4|, v6, vcc_lo
	v_sqrt_f32_e32 v4, v2
	s_waitcnt_depctr 0xfff
	v_add_nc_u32_e32 v6, -1, v4
	v_add_nc_u32_e32 v10, 1, v4
	s_delay_alu instid0(VALU_DEP_2) | instskip(NEXT) | instid1(VALU_DEP_2)
	v_fma_f32 v11, -v6, v4, v2
	v_fma_f32 v12, -v10, v4, v2
	s_delay_alu instid0(VALU_DEP_2) | instskip(NEXT) | instid1(VALU_DEP_1)
	v_cmp_ge_f32_e64 s0, 0, v11
	v_cndmask_b32_e64 v4, v4, v6, s0
	s_delay_alu instid0(VALU_DEP_3) | instskip(NEXT) | instid1(VALU_DEP_1)
	v_cmp_lt_f32_e64 s0, 0, v12
	v_cndmask_b32_e64 v4, v4, v10, s0
	s_delay_alu instid0(VALU_DEP_1) | instskip(NEXT) | instid1(VALU_DEP_1)
	v_mul_f32_e32 v6, 0x37800000, v4
	v_cndmask_b32_e32 v4, v4, v6, vcc_lo
	v_cmp_class_f32_e64 vcc_lo, v2, 0x260
	s_delay_alu instid0(VALU_DEP_2) | instskip(NEXT) | instid1(VALU_DEP_1)
	v_cndmask_b32_e32 v2, v4, v2, vcc_lo
	v_div_scale_f32 v4, null, v2, v2, v1
	s_delay_alu instid0(VALU_DEP_1) | instskip(SKIP_2) | instid1(VALU_DEP_1)
	v_rcp_f32_e32 v5, v4
	s_waitcnt_depctr 0xfff
	v_fma_f32 v6, -v4, v5, 1.0
	v_fmac_f32_e32 v5, v6, v5
	v_div_scale_f32 v6, vcc_lo, v1, v2, v1
	s_delay_alu instid0(VALU_DEP_1) | instskip(NEXT) | instid1(VALU_DEP_1)
	v_mul_f32_e32 v10, v6, v5
	v_fma_f32 v11, -v4, v10, v6
	s_delay_alu instid0(VALU_DEP_1) | instskip(NEXT) | instid1(VALU_DEP_1)
	v_fmac_f32_e32 v10, v11, v5
	v_fma_f32 v4, -v4, v10, v6
                                        ; implicit-def: $vgpr6
	s_delay_alu instid0(VALU_DEP_1) | instskip(NEXT) | instid1(VALU_DEP_1)
	v_div_fmas_f32 v4, v4, v5, v10
                                        ; implicit-def: $vgpr5
	v_div_fixup_f32 v2, v4, v2, v1
                                        ; implicit-def: $vgpr4
                                        ; implicit-def: $vgpr1
.LBB18_1365:
	s_and_not1_saveexec_b32 s11, s11
	s_cbranch_execz .LBB18_1367
; %bb.1366:
	v_cmp_gt_f32_e64 vcc_lo, 0xf800000, |v4|
	v_mul_f32_e64 v1, v5, -v1
	s_delay_alu instid0(VALU_DEP_2) | instskip(NEXT) | instid1(VALU_DEP_1)
	v_cndmask_b32_e64 v2, |v4|, v6, vcc_lo
	v_sqrt_f32_e32 v4, v2
	s_waitcnt_depctr 0xfff
	v_add_nc_u32_e32 v6, -1, v4
	v_add_nc_u32_e32 v10, 1, v4
	s_delay_alu instid0(VALU_DEP_2) | instskip(NEXT) | instid1(VALU_DEP_2)
	v_fma_f32 v11, -v6, v4, v2
	v_fma_f32 v12, -v10, v4, v2
	s_delay_alu instid0(VALU_DEP_2) | instskip(NEXT) | instid1(VALU_DEP_1)
	v_cmp_ge_f32_e64 s0, 0, v11
	v_cndmask_b32_e64 v4, v4, v6, s0
	s_delay_alu instid0(VALU_DEP_3) | instskip(NEXT) | instid1(VALU_DEP_1)
	v_cmp_lt_f32_e64 s0, 0, v12
	v_cndmask_b32_e64 v4, v4, v10, s0
	s_delay_alu instid0(VALU_DEP_1) | instskip(NEXT) | instid1(VALU_DEP_1)
	v_mul_f32_e32 v6, 0x37800000, v4
	v_cndmask_b32_e32 v4, v4, v6, vcc_lo
	v_cmp_class_f32_e64 vcc_lo, v2, 0x260
	s_delay_alu instid0(VALU_DEP_2) | instskip(NEXT) | instid1(VALU_DEP_1)
	v_cndmask_b32_e32 v2, v4, v2, vcc_lo
	v_div_scale_f32 v4, null, v2, v2, v1
	s_delay_alu instid0(VALU_DEP_1) | instskip(SKIP_2) | instid1(VALU_DEP_1)
	v_rcp_f32_e32 v5, v4
	s_waitcnt_depctr 0xfff
	v_fma_f32 v6, -v4, v5, 1.0
	v_fmac_f32_e32 v5, v6, v5
	v_div_scale_f32 v6, vcc_lo, v1, v2, v1
	s_delay_alu instid0(VALU_DEP_1) | instskip(NEXT) | instid1(VALU_DEP_1)
	v_mul_f32_e32 v10, v6, v5
	v_fma_f32 v11, -v4, v10, v6
	s_delay_alu instid0(VALU_DEP_1) | instskip(NEXT) | instid1(VALU_DEP_1)
	v_fmac_f32_e32 v10, v11, v5
	v_fma_f32 v4, -v4, v10, v6
	s_delay_alu instid0(VALU_DEP_1) | instskip(NEXT) | instid1(VALU_DEP_1)
	v_div_fmas_f32 v4, v4, v5, v10
	v_div_fixup_f32 v2, v4, v2, v1
.LBB18_1367:
	s_or_b32 exec_lo, exec_lo, s11
.LBB18_1368:
	s_delay_alu instid0(SALU_CYCLE_1) | instskip(SKIP_2) | instid1(VALU_DEP_2)
	s_or_b32 exec_lo, exec_lo, s10
	v_add_nc_u32_e32 v1, s3, v3
	v_cmp_gt_i16_e32 vcc_lo, 11, v9
	v_ashrrev_i32_e32 v4, 31, v1
	v_add_co_u32 v3, s0, s6, v1
	s_delay_alu instid0(VALU_DEP_1)
	v_add_co_ci_u32_e64 v4, s0, s7, v4, s0
	s_cbranch_vccnz .LBB18_1375
; %bb.1369:
	v_cmp_lt_i16_e32 vcc_lo, 25, v9
	s_mov_b32 s10, 0
	s_cbranch_vccz .LBB18_1381
; %bb.1370:
	v_cmp_lt_i16_e32 vcc_lo, 28, v9
	s_cbranch_vccz .LBB18_1383
; %bb.1371:
	v_cmp_lt_i16_e32 vcc_lo, 43, v9
	;; [unrolled: 3-line block ×3, first 2 shown]
	s_cbranch_vccz .LBB18_1389
; %bb.1373:
	v_cmp_eq_u16_e32 vcc_lo, 46, v9
	s_mov_b32 s12, 0
	s_cbranch_vccz .LBB18_1432
; %bb.1374:
	global_load_b32 v5, v[3:4], off
	s_mov_b32 s0, 0
	s_mov_b32 s11, -1
	s_waitcnt vmcnt(0)
	v_lshlrev_b32_e32 v5, 16, v5
	s_branch .LBB18_1434
.LBB18_1375:
	s_mov_b32 s11, 0
                                        ; implicit-def: $vgpr5
	s_cbranch_execz .LBB18_1500
; %bb.1376:
	v_cmp_gt_i16_e32 vcc_lo, 5, v9
	s_cbranch_vccnz .LBB18_1382
; %bb.1377:
	v_cmp_gt_i16_e32 vcc_lo, 8, v9
	s_cbranch_vccnz .LBB18_1384
	;; [unrolled: 3-line block ×3, first 2 shown]
; %bb.1379:
	v_cmp_lt_i16_e32 vcc_lo, 9, v9
	s_cbranch_vccz .LBB18_1390
; %bb.1380:
	global_load_b64 v[5:6], v[3:4], off
	s_mov_b32 s0, 0
	s_waitcnt vmcnt(0)
	v_cvt_f32_f64_e32 v5, v[5:6]
	s_branch .LBB18_1391
.LBB18_1381:
	s_mov_b32 s12, -1
	s_mov_b32 s11, 0
	s_mov_b32 s0, 0
                                        ; implicit-def: $vgpr5
	s_branch .LBB18_1463
.LBB18_1382:
	s_mov_b32 s0, -1
                                        ; implicit-def: $vgpr5
	s_branch .LBB18_1409
.LBB18_1383:
	s_mov_b32 s12, -1
	s_mov_b32 s11, 0
	s_mov_b32 s0, 0
                                        ; implicit-def: $vgpr5
	s_branch .LBB18_1444
.LBB18_1384:
	s_mov_b32 s0, -1
                                        ; implicit-def: $vgpr5
	s_branch .LBB18_1397
.LBB18_1385:
	s_mov_b32 s12, -1
	s_mov_b32 s11, 0
	s_mov_b32 s0, 0
                                        ; implicit-def: $vgpr5
	s_branch .LBB18_1439
.LBB18_1386:
	s_mov_b32 s0, -1
                                        ; implicit-def: $vgpr5
	s_branch .LBB18_1394
.LBB18_1387:
	s_cbranch_execnz .LBB18_1430
; %bb.1388:
	s_or_b32 s1, s1, exec_lo
                                        ; implicit-def: $vgpr4
	s_cbranch_execz .LBB18_1353
	s_branch .LBB18_1354
.LBB18_1389:
	s_mov_b32 s12, -1
	s_mov_b32 s11, 0
	s_mov_b32 s0, 0
	s_branch .LBB18_1433
.LBB18_1390:
	s_mov_b32 s0, -1
                                        ; implicit-def: $vgpr5
.LBB18_1391:
	s_delay_alu instid0(SALU_CYCLE_1)
	s_and_not1_b32 vcc_lo, exec_lo, s0
	s_cbranch_vccnz .LBB18_1393
; %bb.1392:
	global_load_b32 v5, v[3:4], off
.LBB18_1393:
	s_mov_b32 s0, 0
.LBB18_1394:
	s_delay_alu instid0(SALU_CYCLE_1)
	s_and_not1_b32 vcc_lo, exec_lo, s0
	s_cbranch_vccnz .LBB18_1396
; %bb.1395:
	global_load_b32 v5, v[3:4], off
	s_waitcnt vmcnt(0)
	v_cvt_f32_f16_e32 v5, v5
.LBB18_1396:
	s_mov_b32 s0, 0
.LBB18_1397:
	s_delay_alu instid0(SALU_CYCLE_1)
	s_and_not1_b32 vcc_lo, exec_lo, s0
	s_cbranch_vccnz .LBB18_1408
; %bb.1398:
	v_cmp_gt_i16_e32 vcc_lo, 6, v9
	s_cbranch_vccnz .LBB18_1401
; %bb.1399:
	v_cmp_lt_i16_e32 vcc_lo, 6, v9
	s_cbranch_vccz .LBB18_1402
; %bb.1400:
	global_load_b64 v[5:6], v[3:4], off
	s_mov_b32 s0, 0
	s_waitcnt vmcnt(0)
	v_cvt_f32_f64_e32 v5, v[5:6]
	s_branch .LBB18_1403
.LBB18_1401:
	s_mov_b32 s0, -1
                                        ; implicit-def: $vgpr5
	s_branch .LBB18_1406
.LBB18_1402:
	s_mov_b32 s0, -1
                                        ; implicit-def: $vgpr5
.LBB18_1403:
	s_delay_alu instid0(SALU_CYCLE_1)
	s_and_not1_b32 vcc_lo, exec_lo, s0
	s_cbranch_vccnz .LBB18_1405
; %bb.1404:
	global_load_b32 v5, v[3:4], off
.LBB18_1405:
	s_mov_b32 s0, 0
.LBB18_1406:
	s_delay_alu instid0(SALU_CYCLE_1)
	s_and_not1_b32 vcc_lo, exec_lo, s0
	s_cbranch_vccnz .LBB18_1408
; %bb.1407:
	global_load_u16 v5, v[3:4], off
	s_waitcnt vmcnt(0)
	v_cvt_f32_f16_e32 v5, v5
.LBB18_1408:
	s_mov_b32 s0, 0
.LBB18_1409:
	s_delay_alu instid0(SALU_CYCLE_1)
	s_and_not1_b32 vcc_lo, exec_lo, s0
	s_cbranch_vccnz .LBB18_1429
; %bb.1410:
	v_cmp_gt_i16_e32 vcc_lo, 2, v9
	s_cbranch_vccnz .LBB18_1414
; %bb.1411:
	v_cmp_gt_i16_e32 vcc_lo, 3, v9
	s_cbranch_vccnz .LBB18_1415
; %bb.1412:
	v_cmp_lt_i16_e32 vcc_lo, 3, v9
	s_cbranch_vccz .LBB18_1416
; %bb.1413:
	global_load_b64 v[5:6], v[3:4], off
	s_mov_b32 s0, 0
	s_waitcnt vmcnt(0)
	v_xor_b32_e32 v10, v5, v6
	v_cls_i32_e32 v11, v6
	s_delay_alu instid0(VALU_DEP_2) | instskip(NEXT) | instid1(VALU_DEP_2)
	v_ashrrev_i32_e32 v10, 31, v10
	v_add_nc_u32_e32 v11, -1, v11
	s_delay_alu instid0(VALU_DEP_2) | instskip(NEXT) | instid1(VALU_DEP_1)
	v_add_nc_u32_e32 v10, 32, v10
	v_min_u32_e32 v10, v11, v10
	s_delay_alu instid0(VALU_DEP_1) | instskip(NEXT) | instid1(VALU_DEP_1)
	v_lshlrev_b64 v[5:6], v10, v[5:6]
	v_min_u32_e32 v5, 1, v5
	s_delay_alu instid0(VALU_DEP_1) | instskip(SKIP_1) | instid1(VALU_DEP_2)
	v_or_b32_e32 v5, v6, v5
	v_sub_nc_u32_e32 v6, 32, v10
	v_cvt_f32_i32_e32 v5, v5
	s_delay_alu instid0(VALU_DEP_1)
	v_ldexp_f32 v5, v5, v6
	s_branch .LBB18_1417
.LBB18_1414:
	s_mov_b32 s0, -1
                                        ; implicit-def: $vgpr5
	s_branch .LBB18_1423
.LBB18_1415:
	s_mov_b32 s0, -1
                                        ; implicit-def: $vgpr5
	s_branch .LBB18_1420
.LBB18_1416:
	s_mov_b32 s0, -1
                                        ; implicit-def: $vgpr5
.LBB18_1417:
	s_delay_alu instid0(SALU_CYCLE_1)
	s_and_not1_b32 vcc_lo, exec_lo, s0
	s_cbranch_vccnz .LBB18_1419
; %bb.1418:
	global_load_b32 v5, v[3:4], off
	s_waitcnt vmcnt(0)
	v_cvt_f32_i32_e32 v5, v5
.LBB18_1419:
	s_mov_b32 s0, 0
.LBB18_1420:
	s_delay_alu instid0(SALU_CYCLE_1)
	s_and_not1_b32 vcc_lo, exec_lo, s0
	s_cbranch_vccnz .LBB18_1422
; %bb.1421:
	global_load_i16 v5, v[3:4], off
	s_waitcnt vmcnt(0)
	v_cvt_f32_i32_e32 v5, v5
.LBB18_1422:
	s_mov_b32 s0, 0
.LBB18_1423:
	s_delay_alu instid0(SALU_CYCLE_1)
	s_and_not1_b32 vcc_lo, exec_lo, s0
	s_cbranch_vccnz .LBB18_1429
; %bb.1424:
	v_cmp_lt_i16_e32 vcc_lo, 0, v9
	s_mov_b32 s0, 0
	s_cbranch_vccz .LBB18_1426
; %bb.1425:
	global_load_i8 v5, v[3:4], off
	s_waitcnt vmcnt(0)
	v_cvt_f32_i32_e32 v5, v5
	s_branch .LBB18_1427
.LBB18_1426:
	s_mov_b32 s0, -1
                                        ; implicit-def: $vgpr5
.LBB18_1427:
	s_delay_alu instid0(SALU_CYCLE_1)
	s_and_not1_b32 vcc_lo, exec_lo, s0
	s_cbranch_vccnz .LBB18_1429
; %bb.1428:
	global_load_u8 v3, v[3:4], off
	s_waitcnt vmcnt(0)
	v_cvt_f32_ubyte0_e32 v5, v3
.LBB18_1429:
	s_branch .LBB18_1501
.LBB18_1430:
	s_trap 2
	s_sendmsg_rtn_b32 s0, sendmsg(MSG_RTN_GET_DOORBELL)
	s_mov_b32 ttmp2, m0
	s_waitcnt lgkmcnt(0)
	s_and_b32 s0, s0, 0x3ff
	s_delay_alu instid0(SALU_CYCLE_1) | instskip(NEXT) | instid1(SALU_CYCLE_1)
	s_bitset1_b32 s0, 10
	s_mov_b32 m0, s0
	s_sendmsg sendmsg(MSG_INTERRUPT)
	s_mov_b32 m0, ttmp2
.LBB18_1431:                            ; =>This Inner Loop Header: Depth=1
	s_sethalt 5
	s_branch .LBB18_1431
.LBB18_1432:
	s_mov_b32 s0, -1
	s_mov_b32 s11, 0
.LBB18_1433:
                                        ; implicit-def: $vgpr5
.LBB18_1434:
	s_and_b32 vcc_lo, exec_lo, s12
	s_cbranch_vccz .LBB18_1438
; %bb.1435:
	v_cmp_eq_u16_e32 vcc_lo, 44, v9
	s_cbranch_vccz .LBB18_1437
; %bb.1436:
	global_load_u8 v5, v[3:4], off
	s_mov_b32 s0, 0
	s_mov_b32 s11, -1
	s_waitcnt vmcnt(0)
	v_lshlrev_b32_e32 v6, 23, v5
	v_cmp_ne_u32_e32 vcc_lo, 0xff, v5
	s_delay_alu instid0(VALU_DEP_2) | instskip(SKIP_1) | instid1(VALU_DEP_2)
	v_cndmask_b32_e32 v6, 0x7f800001, v6, vcc_lo
	v_cmp_ne_u32_e32 vcc_lo, 0, v5
	v_cndmask_b32_e32 v5, 0x400000, v6, vcc_lo
	s_branch .LBB18_1438
.LBB18_1437:
	s_mov_b32 s0, -1
                                        ; implicit-def: $vgpr5
.LBB18_1438:
	s_mov_b32 s12, 0
.LBB18_1439:
	s_delay_alu instid0(SALU_CYCLE_1)
	s_and_b32 vcc_lo, exec_lo, s12
	s_cbranch_vccz .LBB18_1443
; %bb.1440:
	v_cmp_eq_u16_e32 vcc_lo, 29, v9
	s_cbranch_vccz .LBB18_1442
; %bb.1441:
	global_load_b64 v[5:6], v[3:4], off
	s_mov_b32 s0, 0
	s_mov_b32 s11, -1
	s_mov_b32 s12, 0
	s_waitcnt vmcnt(0)
	v_clz_i32_u32_e32 v10, v6
	s_delay_alu instid0(VALU_DEP_1) | instskip(NEXT) | instid1(VALU_DEP_1)
	v_min_u32_e32 v10, 32, v10
	v_lshlrev_b64 v[5:6], v10, v[5:6]
	s_delay_alu instid0(VALU_DEP_1) | instskip(NEXT) | instid1(VALU_DEP_1)
	v_min_u32_e32 v5, 1, v5
	v_or_b32_e32 v5, v6, v5
	v_sub_nc_u32_e32 v6, 32, v10
	s_delay_alu instid0(VALU_DEP_2) | instskip(NEXT) | instid1(VALU_DEP_1)
	v_cvt_f32_u32_e32 v5, v5
	v_ldexp_f32 v5, v5, v6
	s_branch .LBB18_1444
.LBB18_1442:
	s_mov_b32 s0, -1
                                        ; implicit-def: $vgpr5
.LBB18_1443:
	s_mov_b32 s12, 0
.LBB18_1444:
	s_delay_alu instid0(SALU_CYCLE_1)
	s_and_b32 vcc_lo, exec_lo, s12
	s_cbranch_vccz .LBB18_1462
; %bb.1445:
	v_cmp_gt_i16_e32 vcc_lo, 27, v9
	s_cbranch_vccnz .LBB18_1448
; %bb.1446:
	v_cmp_lt_i16_e32 vcc_lo, 27, v9
	s_cbranch_vccz .LBB18_1449
; %bb.1447:
	global_load_b32 v5, v[3:4], off
	s_mov_b32 s11, 0
	s_waitcnt vmcnt(0)
	v_cvt_f32_u32_e32 v5, v5
	s_branch .LBB18_1450
.LBB18_1448:
	s_mov_b32 s11, -1
                                        ; implicit-def: $vgpr5
	s_branch .LBB18_1453
.LBB18_1449:
	s_mov_b32 s11, -1
                                        ; implicit-def: $vgpr5
.LBB18_1450:
	s_delay_alu instid0(SALU_CYCLE_1)
	s_and_not1_b32 vcc_lo, exec_lo, s11
	s_cbranch_vccnz .LBB18_1452
; %bb.1451:
	global_load_u16 v5, v[3:4], off
	s_waitcnt vmcnt(0)
	v_cvt_f32_u32_e32 v5, v5
.LBB18_1452:
	s_mov_b32 s11, 0
.LBB18_1453:
	s_delay_alu instid0(SALU_CYCLE_1)
	s_and_not1_b32 vcc_lo, exec_lo, s11
	s_cbranch_vccnz .LBB18_1461
; %bb.1454:
	global_load_u8 v6, v[3:4], off
	s_mov_b32 s11, 0
	s_mov_b32 s13, exec_lo
                                        ; implicit-def: $sgpr12
	s_waitcnt vmcnt(0)
	v_cmpx_lt_i16_e32 0x7f, v6
	s_xor_b32 s13, exec_lo, s13
	s_cbranch_execz .LBB18_1475
; %bb.1455:
	s_mov_b32 s11, -1
	s_mov_b32 s14, exec_lo
                                        ; implicit-def: $sgpr12
	v_cmpx_eq_u16_e32 0x80, v6
; %bb.1456:
	s_mov_b32 s12, 0x7f800001
	s_xor_b32 s11, exec_lo, -1
; %bb.1457:
	s_or_b32 exec_lo, exec_lo, s14
	s_delay_alu instid0(SALU_CYCLE_1)
	s_and_b32 s11, s11, exec_lo
	s_or_saveexec_b32 s13, s13
	v_mov_b32_e32 v5, s12
	s_xor_b32 exec_lo, exec_lo, s13
	s_cbranch_execnz .LBB18_1476
.LBB18_1458:
	s_or_b32 exec_lo, exec_lo, s13
	s_and_saveexec_b32 s12, s11
	s_cbranch_execz .LBB18_1460
.LBB18_1459:
	v_and_b32_e32 v5, 0xffff, v6
	v_lshlrev_b32_e32 v6, 24, v6
	s_delay_alu instid0(VALU_DEP_2) | instskip(NEXT) | instid1(VALU_DEP_2)
	v_and_b32_e32 v10, 7, v5
	v_and_b32_e32 v6, 0x80000000, v6
	s_delay_alu instid0(VALU_DEP_2) | instskip(NEXT) | instid1(VALU_DEP_1)
	v_clz_i32_u32_e32 v11, v10
	v_min_u32_e32 v11, 32, v11
	s_delay_alu instid0(VALU_DEP_1) | instskip(SKIP_1) | instid1(VALU_DEP_2)
	v_subrev_nc_u32_e32 v12, 28, v11
	v_sub_nc_u32_e32 v11, 29, v11
	v_lshlrev_b32_e32 v12, v12, v5
	v_bfe_u32 v5, v5, 3, 4
	s_delay_alu instid0(VALU_DEP_2) | instskip(NEXT) | instid1(VALU_DEP_2)
	v_and_b32_e32 v12, 7, v12
	v_cmp_eq_u32_e32 vcc_lo, 0, v5
	s_delay_alu instid0(VALU_DEP_2) | instskip(NEXT) | instid1(VALU_DEP_1)
	v_dual_cndmask_b32 v5, v5, v11 :: v_dual_cndmask_b32 v10, v10, v12
	v_lshl_add_u32 v5, v5, 23, 0x3b800000
	s_delay_alu instid0(VALU_DEP_2) | instskip(NEXT) | instid1(VALU_DEP_1)
	v_lshlrev_b32_e32 v10, 20, v10
	v_or3_b32 v5, v6, v5, v10
.LBB18_1460:
	s_or_b32 exec_lo, exec_lo, s12
.LBB18_1461:
	s_mov_b32 s11, -1
.LBB18_1462:
	s_mov_b32 s12, 0
.LBB18_1463:
	s_delay_alu instid0(SALU_CYCLE_1)
	s_and_b32 vcc_lo, exec_lo, s12
	s_cbranch_vccz .LBB18_1496
; %bb.1464:
	v_cmp_lt_i16_e32 vcc_lo, 22, v9
	s_cbranch_vccz .LBB18_1474
; %bb.1465:
	v_cmp_gt_i16_e32 vcc_lo, 24, v9
	s_cbranch_vccnz .LBB18_1477
; %bb.1466:
	v_cmp_lt_i16_e32 vcc_lo, 24, v9
	s_cbranch_vccz .LBB18_1478
; %bb.1467:
	global_load_u8 v6, v[3:4], off
	s_mov_b32 s12, exec_lo
                                        ; implicit-def: $sgpr11
	s_waitcnt vmcnt(0)
	v_cmpx_lt_i16_e32 0x7f, v6
	s_xor_b32 s12, exec_lo, s12
	s_cbranch_execz .LBB18_1490
; %bb.1468:
	s_mov_b32 s10, -1
	s_mov_b32 s13, exec_lo
                                        ; implicit-def: $sgpr11
	v_cmpx_eq_u16_e32 0x80, v6
; %bb.1469:
	s_mov_b32 s11, 0x7f800001
	s_xor_b32 s10, exec_lo, -1
; %bb.1470:
	s_or_b32 exec_lo, exec_lo, s13
	s_delay_alu instid0(SALU_CYCLE_1)
	s_and_b32 s10, s10, exec_lo
	s_or_saveexec_b32 s12, s12
	v_mov_b32_e32 v5, s11
	s_xor_b32 exec_lo, exec_lo, s12
	s_cbranch_execnz .LBB18_1491
.LBB18_1471:
	s_or_b32 exec_lo, exec_lo, s12
	s_and_saveexec_b32 s11, s10
	s_cbranch_execz .LBB18_1473
.LBB18_1472:
	v_and_b32_e32 v5, 0xffff, v6
	v_lshlrev_b32_e32 v6, 24, v6
	s_delay_alu instid0(VALU_DEP_2) | instskip(NEXT) | instid1(VALU_DEP_2)
	v_and_b32_e32 v10, 3, v5
	v_and_b32_e32 v6, 0x80000000, v6
	s_delay_alu instid0(VALU_DEP_2) | instskip(NEXT) | instid1(VALU_DEP_1)
	v_clz_i32_u32_e32 v11, v10
	v_min_u32_e32 v11, 32, v11
	s_delay_alu instid0(VALU_DEP_1) | instskip(SKIP_1) | instid1(VALU_DEP_2)
	v_subrev_nc_u32_e32 v12, 29, v11
	v_sub_nc_u32_e32 v11, 30, v11
	v_lshlrev_b32_e32 v12, v12, v5
	v_bfe_u32 v5, v5, 2, 5
	s_delay_alu instid0(VALU_DEP_2) | instskip(NEXT) | instid1(VALU_DEP_2)
	v_and_b32_e32 v12, 3, v12
	v_cmp_eq_u32_e32 vcc_lo, 0, v5
	s_delay_alu instid0(VALU_DEP_2) | instskip(NEXT) | instid1(VALU_DEP_1)
	v_dual_cndmask_b32 v5, v5, v11 :: v_dual_cndmask_b32 v10, v10, v12
	v_lshl_add_u32 v5, v5, 23, 0x37800000
	s_delay_alu instid0(VALU_DEP_2) | instskip(NEXT) | instid1(VALU_DEP_1)
	v_lshlrev_b32_e32 v10, 21, v10
	v_or3_b32 v5, v6, v5, v10
.LBB18_1473:
	s_or_b32 exec_lo, exec_lo, s11
	s_mov_b32 s10, 0
	s_branch .LBB18_1479
.LBB18_1474:
	s_mov_b32 s10, -1
                                        ; implicit-def: $vgpr5
	s_branch .LBB18_1485
.LBB18_1475:
	s_or_saveexec_b32 s13, s13
	v_mov_b32_e32 v5, s12
	s_xor_b32 exec_lo, exec_lo, s13
	s_cbranch_execz .LBB18_1458
.LBB18_1476:
	v_cmp_ne_u16_e32 vcc_lo, 0, v6
	v_mov_b32_e32 v5, 0
	s_and_not1_b32 s11, s11, exec_lo
	s_and_b32 s12, vcc_lo, exec_lo
	s_delay_alu instid0(SALU_CYCLE_1)
	s_or_b32 s11, s11, s12
	s_or_b32 exec_lo, exec_lo, s13
	s_and_saveexec_b32 s12, s11
	s_cbranch_execnz .LBB18_1459
	s_branch .LBB18_1460
.LBB18_1477:
	s_mov_b32 s10, -1
                                        ; implicit-def: $vgpr5
	s_branch .LBB18_1482
.LBB18_1478:
	s_mov_b32 s10, -1
                                        ; implicit-def: $vgpr5
.LBB18_1479:
	s_delay_alu instid0(SALU_CYCLE_1)
	s_and_b32 vcc_lo, exec_lo, s10
	s_cbranch_vccz .LBB18_1481
; %bb.1480:
	global_load_u8 v5, v[3:4], off
	s_waitcnt vmcnt(0)
	v_lshlrev_b32_e32 v5, 24, v5
	s_delay_alu instid0(VALU_DEP_1) | instskip(NEXT) | instid1(VALU_DEP_1)
	v_and_b32_e32 v6, 0x7f000000, v5
	v_clz_i32_u32_e32 v10, v6
	v_add_nc_u32_e32 v12, 0x1000000, v6
	v_cmp_ne_u32_e32 vcc_lo, 0, v6
	s_delay_alu instid0(VALU_DEP_3) | instskip(NEXT) | instid1(VALU_DEP_1)
	v_min_u32_e32 v10, 32, v10
	v_sub_nc_u32_e64 v10, v10, 4 clamp
	s_delay_alu instid0(VALU_DEP_1) | instskip(SKIP_1) | instid1(VALU_DEP_2)
	v_lshlrev_b32_e32 v11, v10, v6
	v_lshlrev_b32_e32 v10, 23, v10
	v_lshrrev_b32_e32 v11, 4, v11
	s_delay_alu instid0(VALU_DEP_1) | instskip(SKIP_1) | instid1(VALU_DEP_2)
	v_sub_nc_u32_e32 v10, v11, v10
	v_ashrrev_i32_e32 v11, 8, v12
	v_add_nc_u32_e32 v10, 0x3c000000, v10
	s_delay_alu instid0(VALU_DEP_1) | instskip(NEXT) | instid1(VALU_DEP_1)
	v_and_or_b32 v10, 0x7f800000, v11, v10
	v_cndmask_b32_e32 v6, 0, v10, vcc_lo
	s_delay_alu instid0(VALU_DEP_1)
	v_and_or_b32 v5, 0x80000000, v5, v6
.LBB18_1481:
	s_mov_b32 s10, 0
.LBB18_1482:
	s_delay_alu instid0(SALU_CYCLE_1)
	s_and_not1_b32 vcc_lo, exec_lo, s10
	s_cbranch_vccnz .LBB18_1484
; %bb.1483:
	global_load_u8 v5, v[3:4], off
	s_waitcnt vmcnt(0)
	v_lshlrev_b32_e32 v6, 25, v5
	v_lshlrev_b16 v5, 8, v5
	s_delay_alu instid0(VALU_DEP_1) | instskip(SKIP_1) | instid1(VALU_DEP_2)
	v_and_or_b32 v11, 0x7f00, v5, 0.5
	v_bfe_i32 v5, v5, 0, 16
	v_add_f32_e32 v11, -0.5, v11
	v_lshrrev_b32_e32 v10, 4, v6
	v_cmp_gt_u32_e32 vcc_lo, 0x8000000, v6
	s_delay_alu instid0(VALU_DEP_2) | instskip(NEXT) | instid1(VALU_DEP_1)
	v_or_b32_e32 v10, 0x70000000, v10
	v_mul_f32_e32 v10, 0x7800000, v10
	s_delay_alu instid0(VALU_DEP_1) | instskip(NEXT) | instid1(VALU_DEP_1)
	v_cndmask_b32_e32 v6, v10, v11, vcc_lo
	v_and_or_b32 v5, 0x80000000, v5, v6
.LBB18_1484:
	s_mov_b32 s10, 0
	s_mov_b32 s11, -1
.LBB18_1485:
	s_and_not1_b32 vcc_lo, exec_lo, s10
	s_mov_b32 s10, 0
	s_cbranch_vccnz .LBB18_1496
; %bb.1486:
	v_cmp_lt_i16_e32 vcc_lo, 14, v9
	s_cbranch_vccz .LBB18_1489
; %bb.1487:
	v_cmp_eq_u16_e32 vcc_lo, 15, v9
	s_cbranch_vccz .LBB18_1492
; %bb.1488:
	global_load_u16 v5, v[3:4], off
	s_mov_b32 s0, 0
	s_mov_b32 s11, -1
	s_waitcnt vmcnt(0)
	v_lshlrev_b32_e32 v5, 16, v5
	s_branch .LBB18_1494
.LBB18_1489:
	s_mov_b32 s10, -1
	s_branch .LBB18_1493
.LBB18_1490:
	s_or_saveexec_b32 s12, s12
	v_mov_b32_e32 v5, s11
	s_xor_b32 exec_lo, exec_lo, s12
	s_cbranch_execz .LBB18_1471
.LBB18_1491:
	v_cmp_ne_u16_e32 vcc_lo, 0, v6
	v_mov_b32_e32 v5, 0
	s_and_not1_b32 s10, s10, exec_lo
	s_and_b32 s11, vcc_lo, exec_lo
	s_delay_alu instid0(SALU_CYCLE_1)
	s_or_b32 s10, s10, s11
	s_or_b32 exec_lo, exec_lo, s12
	s_and_saveexec_b32 s11, s10
	s_cbranch_execnz .LBB18_1472
	s_branch .LBB18_1473
.LBB18_1492:
	s_mov_b32 s0, -1
.LBB18_1493:
                                        ; implicit-def: $vgpr5
.LBB18_1494:
	s_and_b32 vcc_lo, exec_lo, s10
	s_mov_b32 s10, 0
	s_cbranch_vccz .LBB18_1496
; %bb.1495:
	v_cmp_ne_u16_e64 s0, 11, v9
	s_mov_b32 s10, -1
                                        ; implicit-def: $vgpr5
.LBB18_1496:
	s_delay_alu instid0(VALU_DEP_1)
	s_and_b32 vcc_lo, exec_lo, s0
	s_cbranch_vccnz .LBB18_1524
; %bb.1497:
	s_and_not1_b32 vcc_lo, exec_lo, s10
	s_cbranch_vccnz .LBB18_1499
.LBB18_1498:
	global_load_u8 v5, v[3:4], off
	s_mov_b32 s11, -1
	s_waitcnt vmcnt(0)
	v_cmp_ne_u16_e32 vcc_lo, 0, v5
	v_cndmask_b32_e64 v5, 0, 1.0, vcc_lo
.LBB18_1499:
.LBB18_1500:
	s_and_not1_b32 vcc_lo, exec_lo, s11
	s_cbranch_vccnz .LBB18_1737
.LBB18_1501:
	s_waitcnt vmcnt(0)
	s_delay_alu instid0(VALU_DEP_1) | instskip(NEXT) | instid1(VALU_DEP_1)
	v_cmp_ge_f32_e64 s0, 0x41000000, |v5|
                                        ; implicit-def: $vgpr4
	s_and_saveexec_b32 s10, s0
	s_delay_alu instid0(SALU_CYCLE_1)
	s_xor_b32 s0, exec_lo, s10
	s_cbranch_execz .LBB18_1507
; %bb.1502:
	v_fma_f32 v3, |v5|, 0.5, -2.0
	s_mov_b32 s10, 0x224cf950
	s_delay_alu instid0(VALU_DEP_1) | instid1(SALU_CYCLE_1)
	v_fmaak_f32 v4, s10, v3, 0xa3c2be86
	s_mov_b32 s10, exec_lo
	s_delay_alu instid0(VALU_DEP_1) | instskip(NEXT) | instid1(VALU_DEP_1)
	v_fmaak_f32 v6, v3, v4, 0xa24cf950
	v_add_f32_e32 v6, 0x25331f1f, v6
	s_delay_alu instid0(VALU_DEP_1) | instskip(NEXT) | instid1(VALU_DEP_1)
	v_fma_f32 v4, v3, v6, -v4
	v_add_f32_e32 v4, 0xa69f5554, v4
	s_delay_alu instid0(VALU_DEP_1) | instskip(NEXT) | instid1(VALU_DEP_1)
	v_fma_f32 v6, v3, v4, -v6
	;; [unrolled: 3-line block ×26, first 2 shown]
                                        ; implicit-def: $vgpr4
	v_add_f32_e32 v3, 0x3e81531c, v3
	s_delay_alu instid0(VALU_DEP_1)
	v_sub_f32_e32 v3, v3, v6
	v_cmpx_ngt_f32_e32 0, v5
	s_xor_b32 s10, exec_lo, s10
	s_cbranch_execz .LBB18_1504
; %bb.1503:
	v_mul_f32_e64 v4, 0x3fb8aa3b, |v5|
	v_cmp_ngt_f32_e64 vcc_lo, 0xc2ce8ed0, |v5|
	v_mul_f32_e32 v3, 0.5, v3
	s_delay_alu instid0(VALU_DEP_3) | instskip(SKIP_1) | instid1(VALU_DEP_3)
	v_rndne_f32_e32 v6, v4
	v_fma_f32 v10, 0x3fb8aa3b, |v5|, -v4
	v_mul_f32_e64 v3, |v5|, v3
	s_delay_alu instid0(VALU_DEP_3) | instskip(NEXT) | instid1(VALU_DEP_3)
	v_sub_f32_e32 v4, v4, v6
	v_fma_f32 v10, 0x32a5705f, |v5|, v10
	v_cvt_i32_f32_e32 v6, v6
	s_delay_alu instid0(VALU_DEP_2) | instskip(NEXT) | instid1(VALU_DEP_1)
	v_add_f32_e32 v4, v4, v10
	v_exp_f32_e32 v4, v4
	s_waitcnt_depctr 0xfff
	v_ldexp_f32 v4, v4, v6
	s_delay_alu instid0(VALU_DEP_1) | instskip(SKIP_1) | instid1(VALU_DEP_2)
	v_cndmask_b32_e32 v4, 0, v4, vcc_lo
	v_cmp_nlt_f32_e64 vcc_lo, 0x42b17218, |v5|
                                        ; implicit-def: $vgpr5
	v_cndmask_b32_e32 v4, 0x7f800000, v4, vcc_lo
	s_delay_alu instid0(VALU_DEP_1)
	v_mul_f32_e32 v4, v4, v3
                                        ; implicit-def: $vgpr3
.LBB18_1504:
	s_and_not1_saveexec_b32 s10, s10
	s_cbranch_execz .LBB18_1506
; %bb.1505:
	v_mul_f32_e64 v4, 0x3fb8aa3b, |v5|
	v_cmp_ngt_f32_e64 vcc_lo, 0xc2ce8ed0, |v5|
	v_mul_f32_e32 v3, -0.5, v3
	s_delay_alu instid0(VALU_DEP_3) | instskip(SKIP_1) | instid1(VALU_DEP_3)
	v_rndne_f32_e32 v6, v4
	v_fma_f32 v10, 0x3fb8aa3b, |v5|, -v4
	v_mul_f32_e64 v3, |v5|, v3
	s_delay_alu instid0(VALU_DEP_3) | instskip(NEXT) | instid1(VALU_DEP_3)
	v_sub_f32_e32 v4, v4, v6
	v_fma_f32 v10, 0x32a5705f, |v5|, v10
	v_cvt_i32_f32_e32 v6, v6
	s_delay_alu instid0(VALU_DEP_2) | instskip(NEXT) | instid1(VALU_DEP_1)
	v_add_f32_e32 v4, v4, v10
	v_exp_f32_e32 v4, v4
	s_waitcnt_depctr 0xfff
	v_ldexp_f32 v4, v4, v6
	s_delay_alu instid0(VALU_DEP_1) | instskip(SKIP_1) | instid1(VALU_DEP_2)
	v_cndmask_b32_e32 v4, 0, v4, vcc_lo
	v_cmp_nlt_f32_e64 vcc_lo, 0x42b17218, |v5|
	v_cndmask_b32_e32 v4, 0x7f800000, v4, vcc_lo
	s_delay_alu instid0(VALU_DEP_1)
	v_mul_f32_e32 v4, v4, v3
.LBB18_1506:
	s_or_b32 exec_lo, exec_lo, s10
                                        ; implicit-def: $vgpr5
.LBB18_1507:
	s_and_not1_saveexec_b32 s10, s0
	s_cbranch_execz .LBB18_1513
; %bb.1508:
	v_and_b32_e32 v3, 0x7fffffff, v5
	s_mov_b32 s0, 0x230aab6e
	s_delay_alu instid0(VALU_DEP_1) | instskip(NEXT) | instid1(VALU_DEP_1)
	v_div_scale_f32 v4, null, v3, v3, 0x42000000
	v_rcp_f32_e32 v6, v4
	s_waitcnt_depctr 0xfff
	v_fma_f32 v10, -v4, v6, 1.0
	s_delay_alu instid0(VALU_DEP_1) | instskip(SKIP_1) | instid1(VALU_DEP_1)
	v_fmac_f32_e32 v6, v10, v6
	v_div_scale_f32 v3, vcc_lo, 0x42000000, v3, 0x42000000
	v_mul_f32_e32 v10, v3, v6
	s_delay_alu instid0(VALU_DEP_1) | instskip(NEXT) | instid1(VALU_DEP_1)
	v_fma_f32 v11, -v4, v10, v3
	v_fmac_f32_e32 v10, v11, v6
	s_delay_alu instid0(VALU_DEP_1) | instskip(NEXT) | instid1(VALU_DEP_1)
	v_fma_f32 v3, -v4, v10, v3
	v_div_fmas_f32 v3, v3, v6, v10
	v_mul_f32_e64 v10, 0x3fb8aa3b, |v5|
	v_cmp_ngt_f32_e64 vcc_lo, 0xc2ce8ed0, |v5|
	s_delay_alu instid0(VALU_DEP_3) | instskip(NEXT) | instid1(VALU_DEP_3)
	v_div_fixup_f32 v3, v3, |v5|, 0x42000000
	v_rndne_f32_e32 v11, v10
	v_fma_f32 v12, 0x3fb8aa3b, |v5|, -v10
	s_delay_alu instid0(VALU_DEP_3) | instskip(NEXT) | instid1(VALU_DEP_3)
	v_add_f32_e32 v3, -2.0, v3
	v_sub_f32_e32 v10, v10, v11
	s_delay_alu instid0(VALU_DEP_3) | instskip(SKIP_1) | instid1(VALU_DEP_4)
	v_fma_f32 v12, 0x32a5705f, |v5|, v12
	v_cvt_i32_f32_e32 v11, v11
	v_fmaak_f32 v4, s0, v3, 0x22a2dc57
	v_cmp_nlt_f32_e64 s0, 0x42b17218, |v5|
	s_delay_alu instid0(VALU_DEP_4) | instskip(NEXT) | instid1(VALU_DEP_3)
	v_add_f32_e32 v10, v10, v12
	v_fmaak_f32 v6, v3, v4, 0xa30aab6e
	s_delay_alu instid0(VALU_DEP_2) | instskip(NEXT) | instid1(VALU_DEP_1)
	v_exp_f32_e32 v10, v10
	v_add_f32_e32 v6, 0xa456751e, v6
	s_delay_alu instid0(VALU_DEP_1) | instskip(NEXT) | instid1(VALU_DEP_1)
	v_fma_f32 v4, v3, v6, -v4
	v_add_f32_e32 v4, 0xa4140365, v4
	s_delay_alu instid0(VALU_DEP_1) | instskip(NEXT) | instid1(VALU_DEP_1)
	v_fma_f32 v6, v3, v4, -v6
	;; [unrolled: 3-line block ×21, first 2 shown]
	v_add_f32_e32 v4, 0xbc1fed03, v4
	s_delay_alu instid0(VALU_DEP_1) | instskip(SKIP_2) | instid1(VALU_DEP_2)
	v_fma_f32 v3, v3, v4, -v6
	v_ldexp_f32 v4, v10, v11
	v_mul_f32_e64 v10, 0x4f800000, |v5|
	v_dual_add_f32 v3, 0x3f4750c6, v3 :: v_dual_cndmask_b32 v4, 0, v4
	s_delay_alu instid0(VALU_DEP_1) | instskip(NEXT) | instid1(VALU_DEP_2)
	v_sub_f32_e32 v6, v3, v6
	v_cndmask_b32_e64 v3, 0x7f800000, v4, s0
                                        ; implicit-def: $vgpr4
	s_mov_b32 s0, exec_lo
	s_delay_alu instid0(VALU_DEP_2)
	v_mul_f32_e32 v6, 0.5, v6
	v_cmpx_ngt_f32_e32 0, v5
	s_xor_b32 s11, exec_lo, s0
	s_cbranch_execz .LBB18_1510
; %bb.1509:
	v_cmp_gt_f32_e64 vcc_lo, 0xf800000, |v5|
	v_mul_f32_e32 v3, v3, v6
	s_delay_alu instid0(VALU_DEP_2) | instskip(NEXT) | instid1(VALU_DEP_1)
	v_cndmask_b32_e64 v4, |v5|, v10, vcc_lo
	v_sqrt_f32_e32 v5, v4
	s_waitcnt_depctr 0xfff
	v_add_nc_u32_e32 v10, -1, v5
	v_add_nc_u32_e32 v11, 1, v5
	s_delay_alu instid0(VALU_DEP_2) | instskip(NEXT) | instid1(VALU_DEP_2)
	v_fma_f32 v12, -v10, v5, v4
	v_fma_f32 v13, -v11, v5, v4
	s_delay_alu instid0(VALU_DEP_2) | instskip(NEXT) | instid1(VALU_DEP_1)
	v_cmp_ge_f32_e64 s0, 0, v12
	v_cndmask_b32_e64 v5, v5, v10, s0
	s_delay_alu instid0(VALU_DEP_3) | instskip(NEXT) | instid1(VALU_DEP_1)
	v_cmp_lt_f32_e64 s0, 0, v13
	v_cndmask_b32_e64 v5, v5, v11, s0
	s_delay_alu instid0(VALU_DEP_1) | instskip(NEXT) | instid1(VALU_DEP_1)
	v_mul_f32_e32 v10, 0x37800000, v5
	v_cndmask_b32_e32 v5, v5, v10, vcc_lo
	v_cmp_class_f32_e64 vcc_lo, v4, 0x260
	s_delay_alu instid0(VALU_DEP_2) | instskip(NEXT) | instid1(VALU_DEP_1)
	v_cndmask_b32_e32 v4, v5, v4, vcc_lo
	v_div_scale_f32 v5, null, v4, v4, v3
	s_delay_alu instid0(VALU_DEP_1) | instskip(SKIP_2) | instid1(VALU_DEP_1)
	v_rcp_f32_e32 v6, v5
	s_waitcnt_depctr 0xfff
	v_fma_f32 v10, -v5, v6, 1.0
	v_fmac_f32_e32 v6, v10, v6
	v_div_scale_f32 v10, vcc_lo, v3, v4, v3
	s_delay_alu instid0(VALU_DEP_1) | instskip(NEXT) | instid1(VALU_DEP_1)
	v_mul_f32_e32 v11, v10, v6
	v_fma_f32 v12, -v5, v11, v10
	s_delay_alu instid0(VALU_DEP_1) | instskip(NEXT) | instid1(VALU_DEP_1)
	v_fmac_f32_e32 v11, v12, v6
	v_fma_f32 v5, -v5, v11, v10
                                        ; implicit-def: $vgpr10
	s_delay_alu instid0(VALU_DEP_1) | instskip(NEXT) | instid1(VALU_DEP_1)
	v_div_fmas_f32 v5, v5, v6, v11
                                        ; implicit-def: $vgpr6
	v_div_fixup_f32 v4, v5, v4, v3
                                        ; implicit-def: $vgpr5
                                        ; implicit-def: $vgpr3
.LBB18_1510:
	s_and_not1_saveexec_b32 s11, s11
	s_cbranch_execz .LBB18_1512
; %bb.1511:
	v_cmp_gt_f32_e64 vcc_lo, 0xf800000, |v5|
	v_mul_f32_e64 v3, v6, -v3
	s_delay_alu instid0(VALU_DEP_2) | instskip(NEXT) | instid1(VALU_DEP_1)
	v_cndmask_b32_e64 v4, |v5|, v10, vcc_lo
	v_sqrt_f32_e32 v5, v4
	s_waitcnt_depctr 0xfff
	v_add_nc_u32_e32 v10, -1, v5
	v_add_nc_u32_e32 v11, 1, v5
	s_delay_alu instid0(VALU_DEP_2) | instskip(NEXT) | instid1(VALU_DEP_2)
	v_fma_f32 v12, -v10, v5, v4
	v_fma_f32 v13, -v11, v5, v4
	s_delay_alu instid0(VALU_DEP_2) | instskip(NEXT) | instid1(VALU_DEP_1)
	v_cmp_ge_f32_e64 s0, 0, v12
	v_cndmask_b32_e64 v5, v5, v10, s0
	s_delay_alu instid0(VALU_DEP_3) | instskip(NEXT) | instid1(VALU_DEP_1)
	v_cmp_lt_f32_e64 s0, 0, v13
	v_cndmask_b32_e64 v5, v5, v11, s0
	s_delay_alu instid0(VALU_DEP_1) | instskip(NEXT) | instid1(VALU_DEP_1)
	v_mul_f32_e32 v10, 0x37800000, v5
	v_cndmask_b32_e32 v5, v5, v10, vcc_lo
	v_cmp_class_f32_e64 vcc_lo, v4, 0x260
	s_delay_alu instid0(VALU_DEP_2) | instskip(NEXT) | instid1(VALU_DEP_1)
	v_cndmask_b32_e32 v4, v5, v4, vcc_lo
	v_div_scale_f32 v5, null, v4, v4, v3
	s_delay_alu instid0(VALU_DEP_1) | instskip(SKIP_2) | instid1(VALU_DEP_1)
	v_rcp_f32_e32 v6, v5
	s_waitcnt_depctr 0xfff
	v_fma_f32 v10, -v5, v6, 1.0
	v_fmac_f32_e32 v6, v10, v6
	v_div_scale_f32 v10, vcc_lo, v3, v4, v3
	s_delay_alu instid0(VALU_DEP_1) | instskip(NEXT) | instid1(VALU_DEP_1)
	v_mul_f32_e32 v11, v10, v6
	v_fma_f32 v12, -v5, v11, v10
	s_delay_alu instid0(VALU_DEP_1) | instskip(NEXT) | instid1(VALU_DEP_1)
	v_fmac_f32_e32 v11, v12, v6
	v_fma_f32 v5, -v5, v11, v10
	s_delay_alu instid0(VALU_DEP_1) | instskip(NEXT) | instid1(VALU_DEP_1)
	v_div_fmas_f32 v5, v5, v6, v11
	v_div_fixup_f32 v4, v5, v4, v3
.LBB18_1512:
	s_or_b32 exec_lo, exec_lo, s11
.LBB18_1513:
	s_delay_alu instid0(SALU_CYCLE_1) | instskip(SKIP_2) | instid1(VALU_DEP_2)
	s_or_b32 exec_lo, exec_lo, s10
	v_add_nc_u32_e32 v1, s3, v1
	v_cmp_gt_i16_e32 vcc_lo, 11, v9
	v_ashrrev_i32_e32 v3, 31, v1
	v_add_co_u32 v5, s0, s6, v1
	s_delay_alu instid0(VALU_DEP_1)
	v_add_co_ci_u32_e64 v6, s0, s7, v3, s0
	s_cbranch_vccnz .LBB18_1520
; %bb.1514:
	v_cmp_lt_i16_e32 vcc_lo, 25, v9
	s_mov_b32 s3, 0
	s_cbranch_vccz .LBB18_1521
; %bb.1515:
	v_cmp_lt_i16_e32 vcc_lo, 28, v9
	s_cbranch_vccz .LBB18_1522
; %bb.1516:
	v_cmp_lt_i16_e32 vcc_lo, 43, v9
	;; [unrolled: 3-line block ×3, first 2 shown]
	s_cbranch_vccz .LBB18_1526
; %bb.1518:
	v_cmp_eq_u16_e32 vcc_lo, 46, v9
	s_mov_b32 s7, 0
	s_cbranch_vccz .LBB18_1529
; %bb.1519:
	global_load_b32 v1, v[5:6], off
	s_mov_b32 s0, 0
	s_mov_b32 s6, -1
	s_waitcnt vmcnt(0)
	v_lshlrev_b32_e32 v1, 16, v1
	s_branch .LBB18_1531
.LBB18_1520:
	s_mov_b32 s0, -1
	s_mov_b32 s6, 0
                                        ; implicit-def: $vgpr1
	s_branch .LBB18_1597
.LBB18_1521:
	s_mov_b32 s7, -1
	s_mov_b32 s6, 0
	s_mov_b32 s0, 0
                                        ; implicit-def: $vgpr1
	s_branch .LBB18_1560
.LBB18_1522:
	s_mov_b32 s7, -1
	s_mov_b32 s6, 0
	s_mov_b32 s0, 0
                                        ; implicit-def: $vgpr1
	s_branch .LBB18_1541
.LBB18_1523:
	s_mov_b32 s7, -1
	s_mov_b32 s6, 0
	s_mov_b32 s0, 0
                                        ; implicit-def: $vgpr1
	s_branch .LBB18_1536
.LBB18_1524:
	s_cbranch_execnz .LBB18_1527
; %bb.1525:
	s_or_b32 s1, s1, exec_lo
                                        ; implicit-def: $vgpr5
	s_cbranch_execz .LBB18_1498
	s_branch .LBB18_1499
.LBB18_1526:
	s_mov_b32 s7, -1
	s_mov_b32 s6, 0
	s_mov_b32 s0, 0
	s_branch .LBB18_1530
.LBB18_1527:
	s_trap 2
	s_sendmsg_rtn_b32 s0, sendmsg(MSG_RTN_GET_DOORBELL)
	s_mov_b32 ttmp2, m0
	s_waitcnt lgkmcnt(0)
	s_and_b32 s0, s0, 0x3ff
	s_delay_alu instid0(SALU_CYCLE_1) | instskip(NEXT) | instid1(SALU_CYCLE_1)
	s_bitset1_b32 s0, 10
	s_mov_b32 m0, s0
	s_sendmsg sendmsg(MSG_INTERRUPT)
	s_mov_b32 m0, ttmp2
.LBB18_1528:                            ; =>This Inner Loop Header: Depth=1
	s_sethalt 5
	s_branch .LBB18_1528
.LBB18_1529:
	s_mov_b32 s0, -1
	s_mov_b32 s6, 0
.LBB18_1530:
                                        ; implicit-def: $vgpr1
.LBB18_1531:
	s_and_b32 vcc_lo, exec_lo, s7
	s_cbranch_vccz .LBB18_1535
; %bb.1532:
	v_cmp_eq_u16_e32 vcc_lo, 44, v9
	s_cbranch_vccz .LBB18_1534
; %bb.1533:
	global_load_u8 v1, v[5:6], off
	s_mov_b32 s0, 0
	s_mov_b32 s6, -1
	s_waitcnt vmcnt(0)
	v_lshlrev_b32_e32 v3, 23, v1
	v_cmp_ne_u32_e32 vcc_lo, 0xff, v1
	s_delay_alu instid0(VALU_DEP_2) | instskip(SKIP_1) | instid1(VALU_DEP_2)
	v_cndmask_b32_e32 v3, 0x7f800001, v3, vcc_lo
	v_cmp_ne_u32_e32 vcc_lo, 0, v1
	v_cndmask_b32_e32 v1, 0x400000, v3, vcc_lo
	s_branch .LBB18_1535
.LBB18_1534:
	s_mov_b32 s0, -1
                                        ; implicit-def: $vgpr1
.LBB18_1535:
	s_mov_b32 s7, 0
.LBB18_1536:
	s_delay_alu instid0(SALU_CYCLE_1)
	s_and_b32 vcc_lo, exec_lo, s7
	s_cbranch_vccz .LBB18_1540
; %bb.1537:
	v_cmp_eq_u16_e32 vcc_lo, 29, v9
	s_cbranch_vccz .LBB18_1539
; %bb.1538:
	global_load_b64 v[10:11], v[5:6], off
	s_mov_b32 s0, 0
	s_mov_b32 s6, -1
	s_mov_b32 s7, 0
	s_waitcnt vmcnt(0)
	v_clz_i32_u32_e32 v1, v11
	s_delay_alu instid0(VALU_DEP_1) | instskip(NEXT) | instid1(VALU_DEP_1)
	v_min_u32_e32 v1, 32, v1
	v_lshlrev_b64 v[10:11], v1, v[10:11]
	v_sub_nc_u32_e32 v1, 32, v1
	s_delay_alu instid0(VALU_DEP_2) | instskip(NEXT) | instid1(VALU_DEP_1)
	v_min_u32_e32 v3, 1, v10
	v_or_b32_e32 v3, v11, v3
	s_delay_alu instid0(VALU_DEP_1) | instskip(NEXT) | instid1(VALU_DEP_1)
	v_cvt_f32_u32_e32 v3, v3
	v_ldexp_f32 v1, v3, v1
	s_branch .LBB18_1541
.LBB18_1539:
	s_mov_b32 s0, -1
                                        ; implicit-def: $vgpr1
.LBB18_1540:
	s_mov_b32 s7, 0
.LBB18_1541:
	s_delay_alu instid0(SALU_CYCLE_1)
	s_and_b32 vcc_lo, exec_lo, s7
	s_cbranch_vccz .LBB18_1559
; %bb.1542:
	v_cmp_gt_i16_e32 vcc_lo, 27, v9
	s_cbranch_vccnz .LBB18_1545
; %bb.1543:
	v_cmp_lt_i16_e32 vcc_lo, 27, v9
	s_cbranch_vccz .LBB18_1546
; %bb.1544:
	global_load_b32 v1, v[5:6], off
	s_mov_b32 s6, 0
	s_waitcnt vmcnt(0)
	v_cvt_f32_u32_e32 v1, v1
	s_branch .LBB18_1547
.LBB18_1545:
	s_mov_b32 s6, -1
                                        ; implicit-def: $vgpr1
	s_branch .LBB18_1550
.LBB18_1546:
	s_mov_b32 s6, -1
                                        ; implicit-def: $vgpr1
.LBB18_1547:
	s_delay_alu instid0(SALU_CYCLE_1)
	s_and_not1_b32 vcc_lo, exec_lo, s6
	s_cbranch_vccnz .LBB18_1549
; %bb.1548:
	global_load_u16 v1, v[5:6], off
	s_waitcnt vmcnt(0)
	v_cvt_f32_u32_e32 v1, v1
.LBB18_1549:
	s_mov_b32 s6, 0
.LBB18_1550:
	s_delay_alu instid0(SALU_CYCLE_1)
	s_and_not1_b32 vcc_lo, exec_lo, s6
	s_cbranch_vccnz .LBB18_1558
; %bb.1551:
	global_load_u8 v3, v[5:6], off
	s_mov_b32 s6, 0
	s_mov_b32 s10, exec_lo
                                        ; implicit-def: $sgpr7
	s_waitcnt vmcnt(0)
	v_cmpx_lt_i16_e32 0x7f, v3
	s_xor_b32 s10, exec_lo, s10
	s_cbranch_execz .LBB18_1572
; %bb.1552:
	s_mov_b32 s6, -1
	s_mov_b32 s11, exec_lo
                                        ; implicit-def: $sgpr7
	v_cmpx_eq_u16_e32 0x80, v3
; %bb.1553:
	s_mov_b32 s7, 0x7f800001
	s_xor_b32 s6, exec_lo, -1
; %bb.1554:
	s_or_b32 exec_lo, exec_lo, s11
	s_delay_alu instid0(SALU_CYCLE_1)
	s_and_b32 s6, s6, exec_lo
	s_or_saveexec_b32 s10, s10
	v_mov_b32_e32 v1, s7
	s_xor_b32 exec_lo, exec_lo, s10
	s_cbranch_execnz .LBB18_1573
.LBB18_1555:
	s_or_b32 exec_lo, exec_lo, s10
	s_and_saveexec_b32 s7, s6
	s_cbranch_execz .LBB18_1557
.LBB18_1556:
	v_and_b32_e32 v1, 0xffff, v3
	v_lshlrev_b32_e32 v3, 24, v3
	s_delay_alu instid0(VALU_DEP_2) | instskip(NEXT) | instid1(VALU_DEP_2)
	v_and_b32_e32 v10, 7, v1
	v_and_b32_e32 v3, 0x80000000, v3
	s_delay_alu instid0(VALU_DEP_2) | instskip(NEXT) | instid1(VALU_DEP_1)
	v_clz_i32_u32_e32 v11, v10
	v_min_u32_e32 v11, 32, v11
	s_delay_alu instid0(VALU_DEP_1) | instskip(SKIP_1) | instid1(VALU_DEP_2)
	v_subrev_nc_u32_e32 v12, 28, v11
	v_sub_nc_u32_e32 v11, 29, v11
	v_lshlrev_b32_e32 v12, v12, v1
	v_bfe_u32 v1, v1, 3, 4
	s_delay_alu instid0(VALU_DEP_2) | instskip(NEXT) | instid1(VALU_DEP_2)
	v_and_b32_e32 v12, 7, v12
	v_cmp_eq_u32_e32 vcc_lo, 0, v1
	s_delay_alu instid0(VALU_DEP_2) | instskip(NEXT) | instid1(VALU_DEP_1)
	v_dual_cndmask_b32 v1, v1, v11 :: v_dual_cndmask_b32 v10, v10, v12
	v_lshl_add_u32 v1, v1, 23, 0x3b800000
	s_delay_alu instid0(VALU_DEP_2) | instskip(NEXT) | instid1(VALU_DEP_1)
	v_lshlrev_b32_e32 v10, 20, v10
	v_or3_b32 v1, v3, v1, v10
.LBB18_1557:
	s_or_b32 exec_lo, exec_lo, s7
.LBB18_1558:
	s_mov_b32 s6, -1
.LBB18_1559:
	s_mov_b32 s7, 0
.LBB18_1560:
	s_delay_alu instid0(SALU_CYCLE_1)
	s_and_b32 vcc_lo, exec_lo, s7
	s_cbranch_vccz .LBB18_1593
; %bb.1561:
	v_cmp_lt_i16_e32 vcc_lo, 22, v9
	s_cbranch_vccz .LBB18_1571
; %bb.1562:
	v_cmp_gt_i16_e32 vcc_lo, 24, v9
	s_cbranch_vccnz .LBB18_1574
; %bb.1563:
	v_cmp_lt_i16_e32 vcc_lo, 24, v9
	s_cbranch_vccz .LBB18_1575
; %bb.1564:
	global_load_u8 v3, v[5:6], off
	s_mov_b32 s7, exec_lo
                                        ; implicit-def: $sgpr6
	s_waitcnt vmcnt(0)
	v_cmpx_lt_i16_e32 0x7f, v3
	s_xor_b32 s7, exec_lo, s7
	s_cbranch_execz .LBB18_1587
; %bb.1565:
	s_mov_b32 s3, -1
	s_mov_b32 s10, exec_lo
                                        ; implicit-def: $sgpr6
	v_cmpx_eq_u16_e32 0x80, v3
; %bb.1566:
	s_mov_b32 s6, 0x7f800001
	s_xor_b32 s3, exec_lo, -1
; %bb.1567:
	s_or_b32 exec_lo, exec_lo, s10
	s_delay_alu instid0(SALU_CYCLE_1)
	s_and_b32 s3, s3, exec_lo
	s_or_saveexec_b32 s7, s7
	v_mov_b32_e32 v1, s6
	s_xor_b32 exec_lo, exec_lo, s7
	s_cbranch_execnz .LBB18_1588
.LBB18_1568:
	s_or_b32 exec_lo, exec_lo, s7
	s_and_saveexec_b32 s6, s3
	s_cbranch_execz .LBB18_1570
.LBB18_1569:
	v_and_b32_e32 v1, 0xffff, v3
	v_lshlrev_b32_e32 v3, 24, v3
	s_delay_alu instid0(VALU_DEP_2) | instskip(NEXT) | instid1(VALU_DEP_2)
	v_and_b32_e32 v10, 3, v1
	v_and_b32_e32 v3, 0x80000000, v3
	s_delay_alu instid0(VALU_DEP_2) | instskip(NEXT) | instid1(VALU_DEP_1)
	v_clz_i32_u32_e32 v11, v10
	v_min_u32_e32 v11, 32, v11
	s_delay_alu instid0(VALU_DEP_1) | instskip(SKIP_1) | instid1(VALU_DEP_2)
	v_subrev_nc_u32_e32 v12, 29, v11
	v_sub_nc_u32_e32 v11, 30, v11
	v_lshlrev_b32_e32 v12, v12, v1
	v_bfe_u32 v1, v1, 2, 5
	s_delay_alu instid0(VALU_DEP_2) | instskip(NEXT) | instid1(VALU_DEP_2)
	v_and_b32_e32 v12, 3, v12
	v_cmp_eq_u32_e32 vcc_lo, 0, v1
	s_delay_alu instid0(VALU_DEP_2) | instskip(NEXT) | instid1(VALU_DEP_1)
	v_dual_cndmask_b32 v1, v1, v11 :: v_dual_cndmask_b32 v10, v10, v12
	v_lshl_add_u32 v1, v1, 23, 0x37800000
	s_delay_alu instid0(VALU_DEP_2) | instskip(NEXT) | instid1(VALU_DEP_1)
	v_lshlrev_b32_e32 v10, 21, v10
	v_or3_b32 v1, v3, v1, v10
.LBB18_1570:
	s_or_b32 exec_lo, exec_lo, s6
	s_mov_b32 s3, 0
	s_branch .LBB18_1576
.LBB18_1571:
	s_mov_b32 s3, -1
                                        ; implicit-def: $vgpr1
	s_branch .LBB18_1582
.LBB18_1572:
	s_or_saveexec_b32 s10, s10
	v_mov_b32_e32 v1, s7
	s_xor_b32 exec_lo, exec_lo, s10
	s_cbranch_execz .LBB18_1555
.LBB18_1573:
	v_cmp_ne_u16_e32 vcc_lo, 0, v3
	v_mov_b32_e32 v1, 0
	s_and_not1_b32 s6, s6, exec_lo
	s_and_b32 s7, vcc_lo, exec_lo
	s_delay_alu instid0(SALU_CYCLE_1)
	s_or_b32 s6, s6, s7
	s_or_b32 exec_lo, exec_lo, s10
	s_and_saveexec_b32 s7, s6
	s_cbranch_execnz .LBB18_1556
	s_branch .LBB18_1557
.LBB18_1574:
	s_mov_b32 s3, -1
                                        ; implicit-def: $vgpr1
	s_branch .LBB18_1579
.LBB18_1575:
	s_mov_b32 s3, -1
                                        ; implicit-def: $vgpr1
.LBB18_1576:
	s_delay_alu instid0(SALU_CYCLE_1)
	s_and_b32 vcc_lo, exec_lo, s3
	s_cbranch_vccz .LBB18_1578
; %bb.1577:
	global_load_u8 v1, v[5:6], off
	s_waitcnt vmcnt(0)
	v_lshlrev_b32_e32 v1, 24, v1
	s_delay_alu instid0(VALU_DEP_1) | instskip(NEXT) | instid1(VALU_DEP_1)
	v_and_b32_e32 v3, 0x7f000000, v1
	v_clz_i32_u32_e32 v10, v3
	v_cmp_ne_u32_e32 vcc_lo, 0, v3
	v_add_nc_u32_e32 v12, 0x1000000, v3
	s_delay_alu instid0(VALU_DEP_3) | instskip(NEXT) | instid1(VALU_DEP_1)
	v_min_u32_e32 v10, 32, v10
	v_sub_nc_u32_e64 v10, v10, 4 clamp
	s_delay_alu instid0(VALU_DEP_1) | instskip(SKIP_1) | instid1(VALU_DEP_2)
	v_lshlrev_b32_e32 v11, v10, v3
	v_lshlrev_b32_e32 v10, 23, v10
	v_lshrrev_b32_e32 v11, 4, v11
	s_delay_alu instid0(VALU_DEP_1) | instskip(SKIP_1) | instid1(VALU_DEP_2)
	v_sub_nc_u32_e32 v10, v11, v10
	v_ashrrev_i32_e32 v11, 8, v12
	v_add_nc_u32_e32 v10, 0x3c000000, v10
	s_delay_alu instid0(VALU_DEP_1) | instskip(NEXT) | instid1(VALU_DEP_1)
	v_and_or_b32 v10, 0x7f800000, v11, v10
	v_cndmask_b32_e32 v3, 0, v10, vcc_lo
	s_delay_alu instid0(VALU_DEP_1)
	v_and_or_b32 v1, 0x80000000, v1, v3
.LBB18_1578:
	s_mov_b32 s3, 0
.LBB18_1579:
	s_delay_alu instid0(SALU_CYCLE_1)
	s_and_not1_b32 vcc_lo, exec_lo, s3
	s_cbranch_vccnz .LBB18_1581
; %bb.1580:
	global_load_u8 v1, v[5:6], off
	s_waitcnt vmcnt(0)
	v_lshlrev_b32_e32 v3, 25, v1
	v_lshlrev_b16 v1, 8, v1
	s_delay_alu instid0(VALU_DEP_2) | instskip(NEXT) | instid1(VALU_DEP_2)
	v_lshrrev_b32_e32 v10, 4, v3
	v_and_or_b32 v11, 0x7f00, v1, 0.5
	v_bfe_i32 v1, v1, 0, 16
	s_delay_alu instid0(VALU_DEP_3) | instskip(NEXT) | instid1(VALU_DEP_1)
	v_or_b32_e32 v10, 0x70000000, v10
	v_dual_add_f32 v11, -0.5, v11 :: v_dual_mul_f32 v10, 0x7800000, v10
	v_cmp_gt_u32_e32 vcc_lo, 0x8000000, v3
	s_delay_alu instid0(VALU_DEP_2) | instskip(NEXT) | instid1(VALU_DEP_1)
	v_cndmask_b32_e32 v3, v10, v11, vcc_lo
	v_and_or_b32 v1, 0x80000000, v1, v3
.LBB18_1581:
	s_mov_b32 s3, 0
	s_mov_b32 s6, -1
.LBB18_1582:
	s_and_not1_b32 vcc_lo, exec_lo, s3
	s_mov_b32 s3, 0
	s_cbranch_vccnz .LBB18_1593
; %bb.1583:
	v_cmp_lt_i16_e32 vcc_lo, 14, v9
	s_cbranch_vccz .LBB18_1586
; %bb.1584:
	v_cmp_eq_u16_e32 vcc_lo, 15, v9
	s_cbranch_vccz .LBB18_1589
; %bb.1585:
	global_load_u16 v1, v[5:6], off
	s_mov_b32 s0, 0
	s_mov_b32 s6, -1
	s_waitcnt vmcnt(0)
	v_lshlrev_b32_e32 v1, 16, v1
	s_branch .LBB18_1591
.LBB18_1586:
	s_mov_b32 s3, -1
	s_branch .LBB18_1590
.LBB18_1587:
	s_or_saveexec_b32 s7, s7
	v_mov_b32_e32 v1, s6
	s_xor_b32 exec_lo, exec_lo, s7
	s_cbranch_execz .LBB18_1568
.LBB18_1588:
	v_cmp_ne_u16_e32 vcc_lo, 0, v3
	v_mov_b32_e32 v1, 0
	s_and_not1_b32 s3, s3, exec_lo
	s_and_b32 s6, vcc_lo, exec_lo
	s_delay_alu instid0(SALU_CYCLE_1)
	s_or_b32 s3, s3, s6
	s_or_b32 exec_lo, exec_lo, s7
	s_and_saveexec_b32 s6, s3
	s_cbranch_execnz .LBB18_1569
	s_branch .LBB18_1570
.LBB18_1589:
	s_mov_b32 s0, -1
.LBB18_1590:
                                        ; implicit-def: $vgpr1
.LBB18_1591:
	s_and_b32 vcc_lo, exec_lo, s3
	s_mov_b32 s3, 0
	s_cbranch_vccz .LBB18_1593
; %bb.1592:
	v_cmp_ne_u16_e64 s0, 11, v9
	s_mov_b32 s3, -1
                                        ; implicit-def: $vgpr1
.LBB18_1593:
	s_delay_alu instid0(VALU_DEP_1)
	s_and_b32 vcc_lo, exec_lo, s0
	s_cbranch_vccnz .LBB18_2139
; %bb.1594:
	s_and_not1_b32 vcc_lo, exec_lo, s3
	s_cbranch_vccnz .LBB18_1596
.LBB18_1595:
	global_load_u8 v1, v[5:6], off
	s_mov_b32 s6, -1
	s_waitcnt vmcnt(0)
	v_cmp_ne_u16_e32 vcc_lo, 0, v1
	v_cndmask_b32_e64 v1, 0, 1.0, vcc_lo
.LBB18_1596:
	s_mov_b32 s0, 0
.LBB18_1597:
	s_delay_alu instid0(SALU_CYCLE_1)
	s_and_b32 vcc_lo, exec_lo, s0
	s_cbranch_vccz .LBB18_1646
; %bb.1598:
	v_cmp_gt_i16_e32 vcc_lo, 5, v9
	s_cbranch_vccnz .LBB18_1603
; %bb.1599:
	v_cmp_gt_i16_e32 vcc_lo, 8, v9
	s_cbranch_vccnz .LBB18_1604
	;; [unrolled: 3-line block ×3, first 2 shown]
; %bb.1601:
	v_cmp_lt_i16_e32 vcc_lo, 9, v9
	s_cbranch_vccz .LBB18_1606
; %bb.1602:
	global_load_b64 v[10:11], v[5:6], off
	s_mov_b32 s0, 0
	s_waitcnt vmcnt(0)
	v_cvt_f32_f64_e32 v1, v[10:11]
	s_branch .LBB18_1607
.LBB18_1603:
	s_mov_b32 s0, -1
                                        ; implicit-def: $vgpr1
	s_branch .LBB18_1625
.LBB18_1604:
	s_mov_b32 s0, -1
                                        ; implicit-def: $vgpr1
	s_branch .LBB18_1613
.LBB18_1605:
	s_mov_b32 s0, -1
                                        ; implicit-def: $vgpr1
	s_branch .LBB18_1610
.LBB18_1606:
	s_mov_b32 s0, -1
                                        ; implicit-def: $vgpr1
.LBB18_1607:
	s_delay_alu instid0(SALU_CYCLE_1)
	s_and_not1_b32 vcc_lo, exec_lo, s0
	s_cbranch_vccnz .LBB18_1609
; %bb.1608:
	global_load_b32 v1, v[5:6], off
.LBB18_1609:
	s_mov_b32 s0, 0
.LBB18_1610:
	s_delay_alu instid0(SALU_CYCLE_1)
	s_and_not1_b32 vcc_lo, exec_lo, s0
	s_cbranch_vccnz .LBB18_1612
; %bb.1611:
	global_load_b32 v1, v[5:6], off
	s_waitcnt vmcnt(0)
	v_cvt_f32_f16_e32 v1, v1
.LBB18_1612:
	s_mov_b32 s0, 0
.LBB18_1613:
	s_delay_alu instid0(SALU_CYCLE_1)
	s_and_not1_b32 vcc_lo, exec_lo, s0
	s_cbranch_vccnz .LBB18_1624
; %bb.1614:
	v_cmp_gt_i16_e32 vcc_lo, 6, v9
	s_cbranch_vccnz .LBB18_1617
; %bb.1615:
	v_cmp_lt_i16_e32 vcc_lo, 6, v9
	s_cbranch_vccz .LBB18_1618
; %bb.1616:
	global_load_b64 v[10:11], v[5:6], off
	s_mov_b32 s0, 0
	s_waitcnt vmcnt(0)
	v_cvt_f32_f64_e32 v1, v[10:11]
	s_branch .LBB18_1619
.LBB18_1617:
	s_mov_b32 s0, -1
                                        ; implicit-def: $vgpr1
	s_branch .LBB18_1622
.LBB18_1618:
	s_mov_b32 s0, -1
                                        ; implicit-def: $vgpr1
.LBB18_1619:
	s_delay_alu instid0(SALU_CYCLE_1)
	s_and_not1_b32 vcc_lo, exec_lo, s0
	s_cbranch_vccnz .LBB18_1621
; %bb.1620:
	global_load_b32 v1, v[5:6], off
.LBB18_1621:
	s_mov_b32 s0, 0
.LBB18_1622:
	s_delay_alu instid0(SALU_CYCLE_1)
	s_and_not1_b32 vcc_lo, exec_lo, s0
	s_cbranch_vccnz .LBB18_1624
; %bb.1623:
	global_load_u16 v1, v[5:6], off
	s_waitcnt vmcnt(0)
	v_cvt_f32_f16_e32 v1, v1
.LBB18_1624:
	s_mov_b32 s0, 0
.LBB18_1625:
	s_delay_alu instid0(SALU_CYCLE_1)
	s_and_not1_b32 vcc_lo, exec_lo, s0
	s_cbranch_vccnz .LBB18_1645
; %bb.1626:
	v_cmp_gt_i16_e32 vcc_lo, 2, v9
	s_cbranch_vccnz .LBB18_1630
; %bb.1627:
	v_cmp_gt_i16_e32 vcc_lo, 3, v9
	s_cbranch_vccnz .LBB18_1631
; %bb.1628:
	v_cmp_lt_i16_e32 vcc_lo, 3, v9
	s_cbranch_vccz .LBB18_1632
; %bb.1629:
	global_load_b64 v[10:11], v[5:6], off
	s_mov_b32 s0, 0
	s_waitcnt vmcnt(0)
	v_xor_b32_e32 v1, v10, v11
	v_cls_i32_e32 v3, v11
	s_delay_alu instid0(VALU_DEP_2) | instskip(NEXT) | instid1(VALU_DEP_2)
	v_ashrrev_i32_e32 v1, 31, v1
	v_add_nc_u32_e32 v3, -1, v3
	s_delay_alu instid0(VALU_DEP_2) | instskip(NEXT) | instid1(VALU_DEP_1)
	v_add_nc_u32_e32 v1, 32, v1
	v_min_u32_e32 v1, v3, v1
	s_delay_alu instid0(VALU_DEP_1) | instskip(SKIP_1) | instid1(VALU_DEP_2)
	v_lshlrev_b64 v[10:11], v1, v[10:11]
	v_sub_nc_u32_e32 v1, 32, v1
	v_min_u32_e32 v3, 1, v10
	s_delay_alu instid0(VALU_DEP_1) | instskip(NEXT) | instid1(VALU_DEP_1)
	v_or_b32_e32 v3, v11, v3
	v_cvt_f32_i32_e32 v3, v3
	s_delay_alu instid0(VALU_DEP_1)
	v_ldexp_f32 v1, v3, v1
	s_branch .LBB18_1633
.LBB18_1630:
	s_mov_b32 s0, -1
                                        ; implicit-def: $vgpr1
	s_branch .LBB18_1639
.LBB18_1631:
	s_mov_b32 s0, -1
                                        ; implicit-def: $vgpr1
	s_branch .LBB18_1636
.LBB18_1632:
	s_mov_b32 s0, -1
                                        ; implicit-def: $vgpr1
.LBB18_1633:
	s_delay_alu instid0(SALU_CYCLE_1)
	s_and_not1_b32 vcc_lo, exec_lo, s0
	s_cbranch_vccnz .LBB18_1635
; %bb.1634:
	global_load_b32 v1, v[5:6], off
	s_waitcnt vmcnt(0)
	v_cvt_f32_i32_e32 v1, v1
.LBB18_1635:
	s_mov_b32 s0, 0
.LBB18_1636:
	s_delay_alu instid0(SALU_CYCLE_1)
	s_and_not1_b32 vcc_lo, exec_lo, s0
	s_cbranch_vccnz .LBB18_1638
; %bb.1637:
	global_load_i16 v1, v[5:6], off
	s_waitcnt vmcnt(0)
	v_cvt_f32_i32_e32 v1, v1
.LBB18_1638:
	s_mov_b32 s0, 0
.LBB18_1639:
	s_delay_alu instid0(SALU_CYCLE_1)
	s_and_not1_b32 vcc_lo, exec_lo, s0
	s_cbranch_vccnz .LBB18_1645
; %bb.1640:
	v_cmp_lt_i16_e32 vcc_lo, 0, v9
	s_mov_b32 s0, 0
	s_cbranch_vccz .LBB18_1642
; %bb.1641:
	global_load_i8 v1, v[5:6], off
	s_waitcnt vmcnt(0)
	v_cvt_f32_i32_e32 v1, v1
	s_branch .LBB18_1643
.LBB18_1642:
	s_mov_b32 s0, -1
                                        ; implicit-def: $vgpr1
.LBB18_1643:
	s_delay_alu instid0(SALU_CYCLE_1)
	s_and_not1_b32 vcc_lo, exec_lo, s0
	s_cbranch_vccnz .LBB18_1645
; %bb.1644:
	global_load_u8 v1, v[5:6], off
	s_waitcnt vmcnt(0)
	v_cvt_f32_ubyte0_e32 v1, v1
.LBB18_1645:
	s_mov_b32 s6, -1
.LBB18_1646:
	s_delay_alu instid0(SALU_CYCLE_1)
	s_and_not1_b32 vcc_lo, exec_lo, s6
	s_cbranch_vccnz .LBB18_1737
; %bb.1647:
	s_waitcnt vmcnt(0)
	s_delay_alu instid0(VALU_DEP_1) | instskip(NEXT) | instid1(VALU_DEP_1)
	v_cmp_ge_f32_e64 s0, 0x41000000, |v1|
                                        ; implicit-def: $vgpr6
	s_and_saveexec_b32 s3, s0
	s_delay_alu instid0(SALU_CYCLE_1)
	s_xor_b32 s0, exec_lo, s3
	s_cbranch_execz .LBB18_1653
; %bb.1648:
	v_fma_f32 v3, |v1|, 0.5, -2.0
	s_mov_b32 s3, 0x224cf950
	s_delay_alu instid0(VALU_DEP_1) | instid1(SALU_CYCLE_1)
	v_fmaak_f32 v5, s3, v3, 0xa3c2be86
	s_mov_b32 s3, exec_lo
	s_delay_alu instid0(VALU_DEP_1) | instskip(NEXT) | instid1(VALU_DEP_1)
	v_fmaak_f32 v6, v3, v5, 0xa24cf950
	v_add_f32_e32 v6, 0x25331f1f, v6
	s_delay_alu instid0(VALU_DEP_1) | instskip(NEXT) | instid1(VALU_DEP_1)
	v_fma_f32 v5, v3, v6, -v5
	v_add_f32_e32 v5, 0xa69f5554, v5
	s_delay_alu instid0(VALU_DEP_1) | instskip(NEXT) | instid1(VALU_DEP_1)
	v_fma_f32 v6, v3, v5, -v6
	;; [unrolled: 3-line block ×26, first 2 shown]
	v_add_f32_e32 v3, 0x3e81531c, v3
	s_delay_alu instid0(VALU_DEP_1)
	v_sub_f32_e32 v3, v3, v6
                                        ; implicit-def: $vgpr6
	v_cmpx_ngt_f32_e32 0, v1
	s_xor_b32 s3, exec_lo, s3
	s_cbranch_execz .LBB18_1650
; %bb.1649:
	v_mul_f32_e64 v5, 0x3fb8aa3b, |v1|
	v_mul_f32_e32 v3, 0.5, v3
	v_cmp_ngt_f32_e64 vcc_lo, 0xc2ce8ed0, |v1|
	s_delay_alu instid0(VALU_DEP_3) | instskip(SKIP_1) | instid1(VALU_DEP_4)
	v_rndne_f32_e32 v6, v5
	v_fma_f32 v9, 0x3fb8aa3b, |v1|, -v5
	v_mul_f32_e64 v3, |v1|, v3
	s_delay_alu instid0(VALU_DEP_3) | instskip(NEXT) | instid1(VALU_DEP_3)
	v_sub_f32_e32 v5, v5, v6
	v_fma_f32 v9, 0x32a5705f, |v1|, v9
	v_cvt_i32_f32_e32 v6, v6
	s_delay_alu instid0(VALU_DEP_2) | instskip(NEXT) | instid1(VALU_DEP_1)
	v_add_f32_e32 v5, v5, v9
	v_exp_f32_e32 v5, v5
	s_waitcnt_depctr 0xfff
	v_ldexp_f32 v5, v5, v6
	s_delay_alu instid0(VALU_DEP_1) | instskip(SKIP_1) | instid1(VALU_DEP_2)
	v_cndmask_b32_e32 v5, 0, v5, vcc_lo
	v_cmp_nlt_f32_e64 vcc_lo, 0x42b17218, |v1|
	v_cndmask_b32_e32 v1, 0x7f800000, v5, vcc_lo
	s_delay_alu instid0(VALU_DEP_1)
	v_mul_f32_e32 v6, v1, v3
                                        ; implicit-def: $vgpr1
                                        ; implicit-def: $vgpr3
.LBB18_1650:
	s_and_not1_saveexec_b32 s3, s3
	s_cbranch_execz .LBB18_1652
; %bb.1651:
	v_mul_f32_e64 v5, 0x3fb8aa3b, |v1|
	v_cmp_ngt_f32_e64 vcc_lo, 0xc2ce8ed0, |v1|
	s_delay_alu instid0(VALU_DEP_2) | instskip(SKIP_1) | instid1(VALU_DEP_2)
	v_rndne_f32_e32 v6, v5
	v_fma_f32 v9, 0x3fb8aa3b, |v1|, -v5
	v_sub_f32_e32 v5, v5, v6
	s_delay_alu instid0(VALU_DEP_2) | instskip(SKIP_1) | instid1(VALU_DEP_2)
	v_fma_f32 v9, 0x32a5705f, |v1|, v9
	v_cvt_i32_f32_e32 v6, v6
	v_add_f32_e32 v5, v5, v9
	s_delay_alu instid0(VALU_DEP_1) | instskip(SKIP_2) | instid1(VALU_DEP_1)
	v_exp_f32_e32 v5, v5
	s_waitcnt_depctr 0xfff
	v_ldexp_f32 v5, v5, v6
	v_cndmask_b32_e32 v5, 0, v5, vcc_lo
	v_cmp_nlt_f32_e64 vcc_lo, 0x42b17218, |v1|
	s_delay_alu instid0(VALU_DEP_2) | instskip(SKIP_1) | instid1(VALU_DEP_1)
	v_cndmask_b32_e32 v5, 0x7f800000, v5, vcc_lo
	v_mul_f32_e32 v3, -0.5, v3
	v_mul_f32_e64 v1, |v1|, v3
	s_delay_alu instid0(VALU_DEP_1)
	v_mul_f32_e32 v6, v5, v1
.LBB18_1652:
	s_or_b32 exec_lo, exec_lo, s3
                                        ; implicit-def: $vgpr1
.LBB18_1653:
	s_and_not1_saveexec_b32 s3, s0
	s_cbranch_execz .LBB18_1659
; %bb.1654:
	v_and_b32_e32 v3, 0x7fffffff, v1
	s_mov_b32 s0, 0x230aab6e
	s_delay_alu instid0(VALU_DEP_1) | instskip(NEXT) | instid1(VALU_DEP_1)
	v_div_scale_f32 v5, null, v3, v3, 0x42000000
	v_rcp_f32_e32 v6, v5
	s_waitcnt_depctr 0xfff
	v_fma_f32 v9, -v5, v6, 1.0
	s_delay_alu instid0(VALU_DEP_1) | instskip(SKIP_1) | instid1(VALU_DEP_1)
	v_fmac_f32_e32 v6, v9, v6
	v_div_scale_f32 v3, vcc_lo, 0x42000000, v3, 0x42000000
	v_mul_f32_e32 v9, v3, v6
	s_delay_alu instid0(VALU_DEP_1) | instskip(NEXT) | instid1(VALU_DEP_1)
	v_fma_f32 v10, -v5, v9, v3
	v_fmac_f32_e32 v9, v10, v6
	s_delay_alu instid0(VALU_DEP_1) | instskip(NEXT) | instid1(VALU_DEP_1)
	v_fma_f32 v3, -v5, v9, v3
	v_div_fmas_f32 v3, v3, v6, v9
	v_mul_f32_e64 v9, 0x3fb8aa3b, |v1|
	v_cmp_ngt_f32_e64 vcc_lo, 0xc2ce8ed0, |v1|
	s_delay_alu instid0(VALU_DEP_3) | instskip(NEXT) | instid1(VALU_DEP_3)
	v_div_fixup_f32 v3, v3, |v1|, 0x42000000
	v_rndne_f32_e32 v10, v9
	v_fma_f32 v11, 0x3fb8aa3b, |v1|, -v9
	s_delay_alu instid0(VALU_DEP_3) | instskip(NEXT) | instid1(VALU_DEP_3)
	v_add_f32_e32 v3, -2.0, v3
	v_sub_f32_e32 v9, v9, v10
	s_delay_alu instid0(VALU_DEP_3) | instskip(SKIP_1) | instid1(VALU_DEP_4)
	v_fma_f32 v11, 0x32a5705f, |v1|, v11
	v_cvt_i32_f32_e32 v10, v10
	v_fmaak_f32 v5, s0, v3, 0x22a2dc57
	v_cmp_nlt_f32_e64 s0, 0x42b17218, |v1|
	s_delay_alu instid0(VALU_DEP_2) | instskip(NEXT) | instid1(VALU_DEP_1)
	v_dual_add_f32 v9, v9, v11 :: v_dual_fmaak_f32 v6, v3, v5, 0xa30aab6e
	v_exp_f32_e32 v9, v9
	s_delay_alu instid0(VALU_DEP_1) | instskip(NEXT) | instid1(VALU_DEP_1)
	v_add_f32_e32 v6, 0xa456751e, v6
	v_fma_f32 v5, v3, v6, -v5
	s_delay_alu instid0(VALU_DEP_1) | instskip(NEXT) | instid1(VALU_DEP_1)
	v_add_f32_e32 v5, 0xa4140365, v5
	v_fma_f32 v6, v3, v5, -v6
	;; [unrolled: 3-line block ×22, first 2 shown]
	v_ldexp_f32 v5, v9, v10
	v_mul_f32_e64 v9, 0x4f800000, |v1|
	s_delay_alu instid0(VALU_DEP_3) | instskip(NEXT) | instid1(VALU_DEP_1)
	v_add_f32_e32 v3, 0x3f4750c6, v3
	v_dual_cndmask_b32 v5, 0, v5 :: v_dual_sub_f32 v6, v3, v6
	s_delay_alu instid0(VALU_DEP_1) | instskip(SKIP_1) | instid1(VALU_DEP_2)
	v_cndmask_b32_e64 v3, 0x7f800000, v5, s0
	s_mov_b32 s0, exec_lo
	v_mul_f32_e32 v5, 0.5, v6
                                        ; implicit-def: $vgpr6
	v_cmpx_ngt_f32_e32 0, v1
	s_xor_b32 s6, exec_lo, s0
	s_cbranch_execz .LBB18_1656
; %bb.1655:
	v_cmp_gt_f32_e64 vcc_lo, 0xf800000, |v1|
	v_mul_f32_e32 v3, v3, v5
	s_delay_alu instid0(VALU_DEP_2) | instskip(NEXT) | instid1(VALU_DEP_1)
	v_cndmask_b32_e64 v1, |v1|, v9, vcc_lo
	v_sqrt_f32_e32 v6, v1
	s_waitcnt_depctr 0xfff
	v_add_nc_u32_e32 v9, -1, v6
	v_add_nc_u32_e32 v10, 1, v6
	s_delay_alu instid0(VALU_DEP_2) | instskip(NEXT) | instid1(VALU_DEP_2)
	v_fma_f32 v11, -v9, v6, v1
	v_fma_f32 v12, -v10, v6, v1
	s_delay_alu instid0(VALU_DEP_2) | instskip(NEXT) | instid1(VALU_DEP_1)
	v_cmp_ge_f32_e64 s0, 0, v11
	v_cndmask_b32_e64 v6, v6, v9, s0
	s_delay_alu instid0(VALU_DEP_3) | instskip(NEXT) | instid1(VALU_DEP_1)
	v_cmp_lt_f32_e64 s0, 0, v12
	v_cndmask_b32_e64 v6, v6, v10, s0
	s_delay_alu instid0(VALU_DEP_1) | instskip(NEXT) | instid1(VALU_DEP_1)
	v_mul_f32_e32 v9, 0x37800000, v6
	v_cndmask_b32_e32 v6, v6, v9, vcc_lo
	v_cmp_class_f32_e64 vcc_lo, v1, 0x260
	s_delay_alu instid0(VALU_DEP_2) | instskip(NEXT) | instid1(VALU_DEP_1)
	v_cndmask_b32_e32 v1, v6, v1, vcc_lo
	v_div_scale_f32 v5, null, v1, v1, v3
	s_delay_alu instid0(VALU_DEP_1) | instskip(SKIP_2) | instid1(VALU_DEP_1)
	v_rcp_f32_e32 v6, v5
	s_waitcnt_depctr 0xfff
	v_fma_f32 v9, -v5, v6, 1.0
	v_fmac_f32_e32 v6, v9, v6
	v_div_scale_f32 v9, vcc_lo, v3, v1, v3
	s_delay_alu instid0(VALU_DEP_1) | instskip(NEXT) | instid1(VALU_DEP_1)
	v_mul_f32_e32 v10, v9, v6
	v_fma_f32 v11, -v5, v10, v9
	s_delay_alu instid0(VALU_DEP_1) | instskip(NEXT) | instid1(VALU_DEP_1)
	v_fmac_f32_e32 v10, v11, v6
	v_fma_f32 v5, -v5, v10, v9
                                        ; implicit-def: $vgpr9
	s_delay_alu instid0(VALU_DEP_1) | instskip(NEXT) | instid1(VALU_DEP_1)
	v_div_fmas_f32 v5, v5, v6, v10
	v_div_fixup_f32 v6, v5, v1, v3
                                        ; implicit-def: $vgpr1
                                        ; implicit-def: $vgpr3
                                        ; implicit-def: $vgpr5
.LBB18_1656:
	s_and_not1_saveexec_b32 s6, s6
	s_cbranch_execz .LBB18_1658
; %bb.1657:
	v_cmp_gt_f32_e64 vcc_lo, 0xf800000, |v1|
	v_mul_f32_e64 v3, v5, -v3
	s_delay_alu instid0(VALU_DEP_2) | instskip(NEXT) | instid1(VALU_DEP_1)
	v_cndmask_b32_e64 v1, |v1|, v9, vcc_lo
	v_sqrt_f32_e32 v6, v1
	s_waitcnt_depctr 0xfff
	v_add_nc_u32_e32 v9, -1, v6
	v_add_nc_u32_e32 v10, 1, v6
	s_delay_alu instid0(VALU_DEP_2) | instskip(NEXT) | instid1(VALU_DEP_2)
	v_fma_f32 v11, -v9, v6, v1
	v_fma_f32 v12, -v10, v6, v1
	s_delay_alu instid0(VALU_DEP_2) | instskip(NEXT) | instid1(VALU_DEP_1)
	v_cmp_ge_f32_e64 s0, 0, v11
	v_cndmask_b32_e64 v6, v6, v9, s0
	s_delay_alu instid0(VALU_DEP_3) | instskip(NEXT) | instid1(VALU_DEP_1)
	v_cmp_lt_f32_e64 s0, 0, v12
	v_cndmask_b32_e64 v6, v6, v10, s0
	s_delay_alu instid0(VALU_DEP_1) | instskip(NEXT) | instid1(VALU_DEP_1)
	v_mul_f32_e32 v9, 0x37800000, v6
	v_cndmask_b32_e32 v6, v6, v9, vcc_lo
	v_cmp_class_f32_e64 vcc_lo, v1, 0x260
	s_delay_alu instid0(VALU_DEP_2) | instskip(NEXT) | instid1(VALU_DEP_1)
	v_cndmask_b32_e32 v1, v6, v1, vcc_lo
	v_div_scale_f32 v5, null, v1, v1, v3
	s_delay_alu instid0(VALU_DEP_1) | instskip(SKIP_2) | instid1(VALU_DEP_1)
	v_rcp_f32_e32 v6, v5
	s_waitcnt_depctr 0xfff
	v_fma_f32 v9, -v5, v6, 1.0
	v_fmac_f32_e32 v6, v9, v6
	v_div_scale_f32 v9, vcc_lo, v3, v1, v3
	s_delay_alu instid0(VALU_DEP_1) | instskip(NEXT) | instid1(VALU_DEP_1)
	v_mul_f32_e32 v10, v9, v6
	v_fma_f32 v11, -v5, v10, v9
	s_delay_alu instid0(VALU_DEP_1) | instskip(NEXT) | instid1(VALU_DEP_1)
	v_fmac_f32_e32 v10, v11, v6
	v_fma_f32 v5, -v5, v10, v9
	s_delay_alu instid0(VALU_DEP_1) | instskip(NEXT) | instid1(VALU_DEP_1)
	v_div_fmas_f32 v5, v5, v6, v10
	v_div_fixup_f32 v6, v5, v1, v3
.LBB18_1658:
	s_or_b32 exec_lo, exec_lo, s6
.LBB18_1659:
	s_delay_alu instid0(SALU_CYCLE_1) | instskip(SKIP_2) | instid1(VALU_DEP_1)
	s_or_b32 exec_lo, exec_lo, s3
	v_mul_lo_u32 v3, s2, v8
	v_and_b32_e32 v10, 0xff, v7
	v_cmp_gt_i16_e32 vcc_lo, 11, v10
	s_delay_alu instid0(VALU_DEP_3) | instskip(SKIP_1) | instid1(VALU_DEP_1)
	v_ashrrev_i32_e32 v1, 31, v3
	v_add_co_u32 v7, s0, s4, v3
	v_add_co_ci_u32_e64 v8, s0, s5, v1, s0
	s_cbranch_vccnz .LBB18_1782
; %bb.1660:
	v_cmp_lt_i16_e32 vcc_lo, 25, v10
	s_mov_b32 s7, -1
	s_mov_b32 s3, 0
	s_mov_b32 s6, 0
	;; [unrolled: 1-line block ×3, first 2 shown]
	s_cbranch_vccz .LBB18_1693
; %bb.1661:
	v_cmp_lt_i16_e32 vcc_lo, 28, v10
	s_cbranch_vccz .LBB18_1676
; %bb.1662:
	v_cmp_lt_i16_e32 vcc_lo, 43, v10
	;; [unrolled: 3-line block ×3, first 2 shown]
	s_cbranch_vccz .LBB18_1666
; %bb.1664:
	v_cmp_eq_u16_e32 vcc_lo, 46, v10
	s_mov_b32 s0, -1
	s_mov_b32 s7, 0
	s_cbranch_vccz .LBB18_1666
; %bb.1665:
	v_bfe_u32 v1, v0, 16, 1
	v_cmp_o_f32_e32 vcc_lo, v0, v0
	s_mov_b32 s0, 0
	s_mov_b32 s6, -1
	s_delay_alu instid0(VALU_DEP_2) | instskip(NEXT) | instid1(VALU_DEP_1)
	v_add3_u32 v1, v0, v1, 0x7fff
	v_lshrrev_b32_e32 v1, 16, v1
	s_delay_alu instid0(VALU_DEP_1)
	v_cndmask_b32_e32 v1, 0x7fc0, v1, vcc_lo
	global_store_b32 v[7:8], v1, off
.LBB18_1666:
	s_and_b32 vcc_lo, exec_lo, s7
	s_cbranch_vccz .LBB18_1671
; %bb.1667:
	v_cmp_eq_u16_e32 vcc_lo, 44, v10
	s_mov_b32 s0, -1
	s_cbranch_vccz .LBB18_1671
; %bb.1668:
	v_bfe_u32 v5, v0, 23, 8
	v_mov_b32_e32 v1, 0xff
	s_mov_b32 s6, exec_lo
	s_delay_alu instid0(VALU_DEP_2)
	v_cmpx_ne_u32_e32 0xff, v5
; %bb.1669:
	v_and_b32_e32 v1, 0x400000, v0
	v_and_or_b32 v5, 0x3fffff, v0, v5
	s_delay_alu instid0(VALU_DEP_2) | instskip(NEXT) | instid1(VALU_DEP_2)
	v_cmp_ne_u32_e32 vcc_lo, 0, v1
	v_cmp_ne_u32_e64 s0, 0, v5
	v_lshrrev_b32_e32 v1, 23, v0
	s_delay_alu instid0(VALU_DEP_2) | instskip(NEXT) | instid1(SALU_CYCLE_1)
	s_and_b32 s0, vcc_lo, s0
	v_cndmask_b32_e64 v5, 0, 1, s0
	s_delay_alu instid0(VALU_DEP_1)
	v_add_nc_u32_e32 v1, v1, v5
; %bb.1670:
	s_or_b32 exec_lo, exec_lo, s6
	s_mov_b32 s0, 0
	s_mov_b32 s6, -1
	global_store_b8 v[7:8], v1, off
.LBB18_1671:
	s_mov_b32 s7, 0
.LBB18_1672:
	s_delay_alu instid0(SALU_CYCLE_1)
	s_and_b32 vcc_lo, exec_lo, s7
	s_cbranch_vccz .LBB18_1675
; %bb.1673:
	v_cmp_eq_u16_e32 vcc_lo, 29, v10
	s_mov_b32 s0, -1
	s_cbranch_vccz .LBB18_1675
; %bb.1674:
	v_trunc_f32_e32 v1, v0
	s_mov_b32 s0, 0
	s_mov_b32 s6, -1
	s_delay_alu instid0(VALU_DEP_1) | instskip(NEXT) | instid1(VALU_DEP_1)
	v_mul_f32_e32 v5, 0x2f800000, v1
	v_floor_f32_e32 v5, v5
	s_delay_alu instid0(VALU_DEP_1) | instskip(SKIP_1) | instid1(VALU_DEP_2)
	v_fmamk_f32 v1, v5, 0xcf800000, v1
	v_cvt_u32_f32_e32 v12, v5
	v_cvt_u32_f32_e32 v11, v1
	global_store_b64 v[7:8], v[11:12], off
.LBB18_1675:
	s_mov_b32 s7, 0
.LBB18_1676:
	s_delay_alu instid0(SALU_CYCLE_1)
	s_and_b32 vcc_lo, exec_lo, s7
	s_cbranch_vccz .LBB18_1692
; %bb.1677:
	v_cmp_gt_i16_e32 vcc_lo, 27, v10
	s_mov_b32 s6, -1
	s_cbranch_vccnz .LBB18_1683
; %bb.1678:
	v_cmp_lt_i16_e32 vcc_lo, 27, v10
	v_cvt_u32_f32_e32 v1, v0
	s_cbranch_vccz .LBB18_1680
; %bb.1679:
	s_mov_b32 s6, 0
	global_store_b32 v[7:8], v1, off
.LBB18_1680:
	s_and_not1_b32 vcc_lo, exec_lo, s6
	s_cbranch_vccnz .LBB18_1682
; %bb.1681:
	global_store_b16 v[7:8], v1, off
.LBB18_1682:
	s_mov_b32 s6, 0
.LBB18_1683:
	s_delay_alu instid0(SALU_CYCLE_1)
	s_and_not1_b32 vcc_lo, exec_lo, s6
	s_cbranch_vccnz .LBB18_1691
; %bb.1684:
	v_and_b32_e32 v1, 0x7fffffff, v0
	v_mov_b32_e32 v5, 0x80
	s_mov_b32 s6, exec_lo
	s_delay_alu instid0(VALU_DEP_2)
	v_cmpx_gt_u32_e32 0x43800000, v1
	s_cbranch_execz .LBB18_1690
; %bb.1685:
	v_cmp_lt_u32_e32 vcc_lo, 0x3bffffff, v1
	s_mov_b32 s7, 0
                                        ; implicit-def: $vgpr1
	s_and_saveexec_b32 s10, vcc_lo
	s_delay_alu instid0(SALU_CYCLE_1)
	s_xor_b32 s10, exec_lo, s10
	s_cbranch_execz .LBB18_2141
; %bb.1686:
	v_bfe_u32 v1, v0, 20, 1
	s_mov_b32 s7, exec_lo
	s_delay_alu instid0(VALU_DEP_1) | instskip(NEXT) | instid1(VALU_DEP_1)
	v_add3_u32 v1, v0, v1, 0x487ffff
	v_lshrrev_b32_e32 v1, 20, v1
	s_or_saveexec_b32 s10, s10
                                        ; implicit-def: $sgpr11
	s_delay_alu instid0(SALU_CYCLE_1)
	s_xor_b32 exec_lo, exec_lo, s10
	s_cbranch_execnz .LBB18_2142
.LBB18_1687:
	s_or_b32 exec_lo, exec_lo, s10
	v_mov_b32_e32 v5, s11
	s_and_saveexec_b32 s10, s7
.LBB18_1688:
	v_lshrrev_b32_e32 v5, 24, v0
	s_delay_alu instid0(VALU_DEP_1)
	v_and_or_b32 v5, 0x80, v5, v1
.LBB18_1689:
	s_or_b32 exec_lo, exec_lo, s10
.LBB18_1690:
	s_delay_alu instid0(SALU_CYCLE_1)
	s_or_b32 exec_lo, exec_lo, s6
	global_store_b8 v[7:8], v5, off
.LBB18_1691:
	s_mov_b32 s6, -1
.LBB18_1692:
	s_mov_b32 s7, 0
.LBB18_1693:
	s_delay_alu instid0(SALU_CYCLE_1)
	s_and_b32 vcc_lo, exec_lo, s7
	s_cbranch_vccz .LBB18_1733
; %bb.1694:
	v_cmp_lt_i16_e32 vcc_lo, 22, v10
	s_mov_b32 s3, -1
	s_cbranch_vccz .LBB18_1726
; %bb.1695:
	v_cmp_gt_i16_e32 vcc_lo, 24, v10
	s_cbranch_vccnz .LBB18_1715
; %bb.1696:
	v_cmp_lt_i16_e32 vcc_lo, 24, v10
	s_cbranch_vccz .LBB18_1704
; %bb.1697:
	v_and_b32_e32 v1, 0x7fffffff, v0
	v_mov_b32_e32 v5, 0x80
	s_mov_b32 s3, exec_lo
	s_delay_alu instid0(VALU_DEP_2)
	v_cmpx_gt_u32_e32 0x47800000, v1
	s_cbranch_execz .LBB18_1703
; %bb.1698:
	v_cmp_lt_u32_e32 vcc_lo, 0x37ffffff, v1
	s_mov_b32 s6, 0
                                        ; implicit-def: $vgpr1
	s_and_saveexec_b32 s7, vcc_lo
	s_delay_alu instid0(SALU_CYCLE_1)
	s_xor_b32 s7, exec_lo, s7
	s_cbranch_execz .LBB18_2147
; %bb.1699:
	v_bfe_u32 v1, v0, 21, 1
	s_mov_b32 s6, exec_lo
	s_delay_alu instid0(VALU_DEP_1) | instskip(NEXT) | instid1(VALU_DEP_1)
	v_add3_u32 v1, v0, v1, 0x88fffff
	v_lshrrev_b32_e32 v1, 21, v1
	s_or_saveexec_b32 s7, s7
                                        ; implicit-def: $sgpr10
	s_delay_alu instid0(SALU_CYCLE_1)
	s_xor_b32 exec_lo, exec_lo, s7
	s_cbranch_execnz .LBB18_2148
.LBB18_1700:
	s_or_b32 exec_lo, exec_lo, s7
	v_mov_b32_e32 v5, s10
	s_and_saveexec_b32 s7, s6
.LBB18_1701:
	v_lshrrev_b32_e32 v5, 24, v0
	s_delay_alu instid0(VALU_DEP_1)
	v_and_or_b32 v5, 0x80, v5, v1
.LBB18_1702:
	s_or_b32 exec_lo, exec_lo, s7
.LBB18_1703:
	s_delay_alu instid0(SALU_CYCLE_1)
	s_or_b32 exec_lo, exec_lo, s3
	s_mov_b32 s3, 0
	global_store_b8 v[7:8], v5, off
.LBB18_1704:
	s_and_b32 vcc_lo, exec_lo, s3
	s_cbranch_vccz .LBB18_1714
; %bb.1705:
	v_and_b32_e32 v5, 0x7fffffff, v0
	s_mov_b32 s3, exec_lo
                                        ; implicit-def: $vgpr1
	s_delay_alu instid0(VALU_DEP_1)
	v_cmpx_gt_u32_e32 0x43f00000, v5
	s_xor_b32 s3, exec_lo, s3
	s_cbranch_execz .LBB18_1711
; %bb.1706:
	s_mov_b32 s6, exec_lo
                                        ; implicit-def: $vgpr1
	v_cmpx_lt_u32_e32 0x3c7fffff, v5
	s_xor_b32 s6, exec_lo, s6
; %bb.1707:
	v_bfe_u32 v1, v0, 20, 1
	s_delay_alu instid0(VALU_DEP_1) | instskip(NEXT) | instid1(VALU_DEP_1)
	v_add3_u32 v1, v0, v1, 0x407ffff
	v_and_b32_e32 v5, 0xff00000, v1
	v_lshrrev_b32_e32 v1, 20, v1
	s_delay_alu instid0(VALU_DEP_2) | instskip(NEXT) | instid1(VALU_DEP_2)
	v_cmp_ne_u32_e32 vcc_lo, 0x7f00000, v5
	v_cndmask_b32_e32 v1, 0x7e, v1, vcc_lo
; %bb.1708:
	s_and_not1_saveexec_b32 s6, s6
; %bb.1709:
	v_add_f32_e64 v1, 0x46800000, |v0|
; %bb.1710:
	s_or_b32 exec_lo, exec_lo, s6
                                        ; implicit-def: $vgpr5
.LBB18_1711:
	s_and_not1_saveexec_b32 s3, s3
; %bb.1712:
	v_mov_b32_e32 v1, 0x7f
	v_cmp_lt_u32_e32 vcc_lo, 0x7f800000, v5
	s_delay_alu instid0(VALU_DEP_2)
	v_cndmask_b32_e32 v1, 0x7e, v1, vcc_lo
; %bb.1713:
	s_or_b32 exec_lo, exec_lo, s3
	v_lshrrev_b32_e32 v5, 24, v0
	s_delay_alu instid0(VALU_DEP_1)
	v_and_or_b32 v1, 0x80, v5, v1
	global_store_b8 v[7:8], v1, off
.LBB18_1714:
	s_mov_b32 s3, 0
.LBB18_1715:
	s_delay_alu instid0(SALU_CYCLE_1)
	s_and_not1_b32 vcc_lo, exec_lo, s3
	s_cbranch_vccnz .LBB18_1725
; %bb.1716:
	v_and_b32_e32 v5, 0x7fffffff, v0
	s_mov_b32 s3, exec_lo
                                        ; implicit-def: $vgpr1
	s_delay_alu instid0(VALU_DEP_1)
	v_cmpx_gt_u32_e32 0x47800000, v5
	s_xor_b32 s3, exec_lo, s3
	s_cbranch_execz .LBB18_1722
; %bb.1717:
	s_mov_b32 s6, exec_lo
                                        ; implicit-def: $vgpr1
	v_cmpx_lt_u32_e32 0x387fffff, v5
	s_xor_b32 s6, exec_lo, s6
; %bb.1718:
	v_bfe_u32 v1, v0, 21, 1
	s_delay_alu instid0(VALU_DEP_1) | instskip(NEXT) | instid1(VALU_DEP_1)
	v_add3_u32 v1, v0, v1, 0x80fffff
	v_lshrrev_b32_e32 v1, 21, v1
; %bb.1719:
	s_and_not1_saveexec_b32 s6, s6
; %bb.1720:
	v_add_f32_e64 v1, 0x43000000, |v0|
; %bb.1721:
	s_or_b32 exec_lo, exec_lo, s6
                                        ; implicit-def: $vgpr5
.LBB18_1722:
	s_and_not1_saveexec_b32 s3, s3
; %bb.1723:
	v_mov_b32_e32 v1, 0x7f
	v_cmp_lt_u32_e32 vcc_lo, 0x7f800000, v5
	s_delay_alu instid0(VALU_DEP_2)
	v_cndmask_b32_e32 v1, 0x7c, v1, vcc_lo
; %bb.1724:
	s_or_b32 exec_lo, exec_lo, s3
	v_lshrrev_b32_e32 v5, 24, v0
	s_delay_alu instid0(VALU_DEP_1)
	v_and_or_b32 v1, 0x80, v5, v1
	global_store_b8 v[7:8], v1, off
.LBB18_1725:
	s_mov_b32 s3, 0
	s_mov_b32 s6, -1
.LBB18_1726:
	s_and_not1_b32 vcc_lo, exec_lo, s3
	s_mov_b32 s3, 0
	s_cbranch_vccnz .LBB18_1733
; %bb.1727:
	v_cmp_lt_i16_e32 vcc_lo, 14, v10
	s_mov_b32 s3, -1
	s_cbranch_vccz .LBB18_1731
; %bb.1728:
	v_cmp_eq_u16_e32 vcc_lo, 15, v10
	s_mov_b32 s0, -1
	s_cbranch_vccz .LBB18_1730
; %bb.1729:
	v_bfe_u32 v1, v0, 16, 1
	v_cmp_o_f32_e32 vcc_lo, v0, v0
	s_mov_b32 s0, 0
	s_mov_b32 s6, -1
	s_delay_alu instid0(VALU_DEP_2) | instskip(NEXT) | instid1(VALU_DEP_1)
	v_add3_u32 v1, v0, v1, 0x7fff
	v_lshrrev_b32_e32 v1, 16, v1
	s_delay_alu instid0(VALU_DEP_1)
	v_cndmask_b32_e32 v1, 0x7fc0, v1, vcc_lo
	global_store_b16 v[7:8], v1, off
.LBB18_1730:
	s_mov_b32 s3, 0
.LBB18_1731:
	s_delay_alu instid0(SALU_CYCLE_1)
	s_and_b32 vcc_lo, exec_lo, s3
	s_mov_b32 s3, 0
	s_cbranch_vccz .LBB18_1733
; %bb.1732:
	v_cmp_ne_u16_e64 s0, 11, v10
	s_mov_b32 s3, -1
.LBB18_1733:
	s_delay_alu instid0(VALU_DEP_1)
	s_and_b32 vcc_lo, exec_lo, s0
	s_cbranch_vccnz .LBB18_2145
; %bb.1734:
	s_and_not1_b32 vcc_lo, exec_lo, s3
	s_cbranch_vccnz .LBB18_1736
.LBB18_1735:
	v_cmp_neq_f32_e32 vcc_lo, 0, v0
	s_mov_b32 s6, -1
	v_cndmask_b32_e64 v1, 0, 1, vcc_lo
	global_store_b8 v[7:8], v1, off
.LBB18_1736:
	s_mov_b32 s0, 0
	s_branch .LBB18_1783
.LBB18_1737:
	s_mov_b32 s0, 0
	s_mov_b32 s2, 0
                                        ; implicit-def: $vgpr10
                                        ; implicit-def: $vgpr0_vgpr1
                                        ; implicit-def: $vgpr6
.LBB18_1738:
	s_and_not1_b32 s3, s9, exec_lo
	s_and_b32 s4, s1, exec_lo
	s_and_b32 s0, s0, exec_lo
	;; [unrolled: 1-line block ×3, first 2 shown]
	s_or_b32 s9, s3, s4
.LBB18_1739:
	s_or_b32 exec_lo, exec_lo, s8
	s_and_saveexec_b32 s2, s9
	s_cbranch_execz .LBB18_1742
; %bb.1740:
	; divergent unreachable
	s_or_b32 exec_lo, exec_lo, s2
	s_and_saveexec_b32 s2, s1
	s_delay_alu instid0(SALU_CYCLE_1)
	s_xor_b32 s1, exec_lo, s2
	s_cbranch_execnz .LBB18_1743
.LBB18_1741:
	s_or_b32 exec_lo, exec_lo, s1
	s_and_saveexec_b32 s1, s0
	s_cbranch_execnz .LBB18_1744
	s_branch .LBB18_1781
.LBB18_1742:
	s_or_b32 exec_lo, exec_lo, s2
	s_and_saveexec_b32 s2, s1
	s_delay_alu instid0(SALU_CYCLE_1)
	s_xor_b32 s1, exec_lo, s2
	s_cbranch_execz .LBB18_1741
.LBB18_1743:
	v_cmp_neq_f32_e32 vcc_lo, 0, v6
	s_waitcnt vmcnt(0)
	v_cndmask_b32_e64 v2, 0, 1, vcc_lo
	global_store_b8 v[0:1], v2, off
	s_or_b32 exec_lo, exec_lo, s1
	s_and_saveexec_b32 s1, s0
	s_cbranch_execz .LBB18_1781
.LBB18_1744:
	v_cmp_gt_i16_e32 vcc_lo, 5, v10
	s_mov_b32 s0, -1
	s_cbranch_vccnz .LBB18_1765
; %bb.1745:
	v_cmp_gt_i16_e32 vcc_lo, 8, v10
	s_cbranch_vccnz .LBB18_1755
; %bb.1746:
	v_cmp_gt_i16_e32 vcc_lo, 9, v10
	s_cbranch_vccnz .LBB18_1752
; %bb.1747:
	v_cmp_lt_i16_e32 vcc_lo, 9, v10
	s_cbranch_vccz .LBB18_1749
; %bb.1748:
	s_waitcnt vmcnt(0)
	v_cvt_f64_f32_e32 v[2:3], v6
	v_mov_b32_e32 v4, 0
	s_mov_b32 s0, 0
	s_delay_alu instid0(VALU_DEP_1)
	v_mov_b32_e32 v5, v4
	global_store_b128 v[0:1], v[2:5], off
.LBB18_1749:
	s_and_not1_b32 vcc_lo, exec_lo, s0
	s_cbranch_vccnz .LBB18_1751
; %bb.1750:
	v_mov_b32_e32 v7, 0
	s_waitcnt vmcnt(0)
	global_store_b64 v[0:1], v[6:7], off
.LBB18_1751:
	s_mov_b32 s0, 0
.LBB18_1752:
	s_delay_alu instid0(SALU_CYCLE_1)
	s_and_not1_b32 vcc_lo, exec_lo, s0
	s_cbranch_vccnz .LBB18_1754
; %bb.1753:
	s_waitcnt vmcnt(0)
	v_cvt_f16_f32_e32 v2, v6
	s_delay_alu instid0(VALU_DEP_1)
	v_and_b32_e32 v2, 0xffff, v2
	global_store_b32 v[0:1], v2, off
.LBB18_1754:
	s_mov_b32 s0, 0
.LBB18_1755:
	s_delay_alu instid0(SALU_CYCLE_1)
	s_and_not1_b32 vcc_lo, exec_lo, s0
	s_cbranch_vccnz .LBB18_1764
; %bb.1756:
	v_cmp_gt_i16_e32 vcc_lo, 6, v10
	s_mov_b32 s0, -1
	s_cbranch_vccnz .LBB18_1762
; %bb.1757:
	v_cmp_lt_i16_e32 vcc_lo, 6, v10
	s_cbranch_vccz .LBB18_1759
; %bb.1758:
	s_waitcnt vmcnt(0)
	v_cvt_f64_f32_e32 v[2:3], v6
	s_mov_b32 s0, 0
	global_store_b64 v[0:1], v[2:3], off
.LBB18_1759:
	s_and_not1_b32 vcc_lo, exec_lo, s0
	s_cbranch_vccnz .LBB18_1761
; %bb.1760:
	s_waitcnt vmcnt(0)
	global_store_b32 v[0:1], v6, off
.LBB18_1761:
	s_mov_b32 s0, 0
.LBB18_1762:
	s_delay_alu instid0(SALU_CYCLE_1)
	s_and_not1_b32 vcc_lo, exec_lo, s0
	s_cbranch_vccnz .LBB18_1764
; %bb.1763:
	s_waitcnt vmcnt(0)
	v_cvt_f16_f32_e32 v2, v6
	global_store_b16 v[0:1], v2, off
.LBB18_1764:
	s_mov_b32 s0, 0
.LBB18_1765:
	s_delay_alu instid0(SALU_CYCLE_1)
	s_and_not1_b32 vcc_lo, exec_lo, s0
	s_cbranch_vccnz .LBB18_1781
; %bb.1766:
	v_cmp_gt_i16_e32 vcc_lo, 2, v10
	s_mov_b32 s0, -1
	s_cbranch_vccnz .LBB18_1776
; %bb.1767:
	v_cmp_gt_i16_e32 vcc_lo, 3, v10
	s_cbranch_vccnz .LBB18_1773
; %bb.1768:
	v_cmp_lt_i16_e32 vcc_lo, 3, v10
	s_cbranch_vccz .LBB18_1770
; %bb.1769:
	s_waitcnt vmcnt(0)
	v_trunc_f32_e32 v2, v6
	s_mov_b32 s0, 0
	s_delay_alu instid0(VALU_DEP_1) | instskip(SKIP_1) | instid1(VALU_DEP_2)
	v_mul_f32_e64 v3, 0x2f800000, |v2|
	v_ashrrev_i32_e32 v5, 31, v2
	v_floor_f32_e32 v3, v3
	s_delay_alu instid0(VALU_DEP_1) | instskip(SKIP_1) | instid1(VALU_DEP_2)
	v_fma_f32 v4, 0xcf800000, v3, |v2|
	v_cvt_u32_f32_e32 v3, v3
	v_cvt_u32_f32_e32 v2, v4
	s_delay_alu instid0(VALU_DEP_2) | instskip(NEXT) | instid1(VALU_DEP_2)
	v_xor_b32_e32 v3, v3, v5
	v_xor_b32_e32 v2, v2, v5
	s_delay_alu instid0(VALU_DEP_1) | instskip(NEXT) | instid1(VALU_DEP_3)
	v_sub_co_u32 v2, vcc_lo, v2, v5
	v_sub_co_ci_u32_e32 v3, vcc_lo, v3, v5, vcc_lo
	global_store_b64 v[0:1], v[2:3], off
.LBB18_1770:
	s_and_not1_b32 vcc_lo, exec_lo, s0
	s_cbranch_vccnz .LBB18_1772
; %bb.1771:
	s_waitcnt vmcnt(0)
	v_cvt_i32_f32_e32 v2, v6
	global_store_b32 v[0:1], v2, off
.LBB18_1772:
	s_mov_b32 s0, 0
.LBB18_1773:
	s_delay_alu instid0(SALU_CYCLE_1)
	s_and_not1_b32 vcc_lo, exec_lo, s0
	s_cbranch_vccnz .LBB18_1775
; %bb.1774:
	s_waitcnt vmcnt(0)
	v_cvt_i32_f32_e32 v2, v6
	global_store_b16 v[0:1], v2, off
.LBB18_1775:
	s_mov_b32 s0, 0
.LBB18_1776:
	s_delay_alu instid0(SALU_CYCLE_1)
	s_and_not1_b32 vcc_lo, exec_lo, s0
	s_cbranch_vccnz .LBB18_1781
; %bb.1777:
	v_cmp_lt_i16_e32 vcc_lo, 0, v10
	s_mov_b32 s0, -1
	s_cbranch_vccz .LBB18_1779
; %bb.1778:
	s_waitcnt vmcnt(0)
	v_cvt_i32_f32_e32 v2, v6
	s_mov_b32 s0, 0
	global_store_b8 v[0:1], v2, off
.LBB18_1779:
	s_and_not1_b32 vcc_lo, exec_lo, s0
	s_cbranch_vccnz .LBB18_1781
; %bb.1780:
	s_waitcnt vmcnt(0)
	v_trunc_f32_e32 v2, v6
	s_delay_alu instid0(VALU_DEP_1) | instskip(NEXT) | instid1(VALU_DEP_1)
	v_mul_f32_e64 v3, 0x2f800000, |v2|
	v_floor_f32_e32 v3, v3
	s_delay_alu instid0(VALU_DEP_1) | instskip(SKIP_1) | instid1(VALU_DEP_2)
	v_fma_f32 v3, 0xcf800000, v3, |v2|
	v_ashrrev_i32_e32 v2, 31, v2
	v_cvt_u32_f32_e32 v3, v3
	s_delay_alu instid0(VALU_DEP_1) | instskip(NEXT) | instid1(VALU_DEP_1)
	v_xor_b32_e32 v3, v3, v2
	v_sub_nc_u32_e32 v2, v3, v2
	global_store_b8 v[0:1], v2, off
	s_nop 0
	s_sendmsg sendmsg(MSG_DEALLOC_VGPRS)
	s_endpgm
.LBB18_1781:
	s_nop 0
	s_sendmsg sendmsg(MSG_DEALLOC_VGPRS)
	s_endpgm
.LBB18_1782:
	s_mov_b32 s0, -1
	s_mov_b32 s6, 0
.LBB18_1783:
	s_and_b32 vcc_lo, exec_lo, s0
	s_cbranch_vccz .LBB18_1822
; %bb.1784:
	v_cmp_gt_i16_e32 vcc_lo, 5, v10
	s_mov_b32 s0, -1
	s_cbranch_vccnz .LBB18_1805
; %bb.1785:
	v_cmp_gt_i16_e32 vcc_lo, 8, v10
	s_cbranch_vccnz .LBB18_1795
; %bb.1786:
	v_cmp_gt_i16_e32 vcc_lo, 9, v10
	s_cbranch_vccnz .LBB18_1792
; %bb.1787:
	v_cmp_lt_i16_e32 vcc_lo, 9, v10
	s_cbranch_vccz .LBB18_1789
; %bb.1788:
	v_cvt_f64_f32_e32 v[11:12], v0
	v_mov_b32_e32 v13, 0
	s_mov_b32 s0, 0
	s_delay_alu instid0(VALU_DEP_1)
	v_mov_b32_e32 v14, v13
	global_store_b128 v[7:8], v[11:14], off
.LBB18_1789:
	s_and_not1_b32 vcc_lo, exec_lo, s0
	s_cbranch_vccnz .LBB18_1791
; %bb.1790:
	v_mov_b32_e32 v1, 0
	global_store_b64 v[7:8], v[0:1], off
.LBB18_1791:
	s_mov_b32 s0, 0
.LBB18_1792:
	s_delay_alu instid0(SALU_CYCLE_1)
	s_and_not1_b32 vcc_lo, exec_lo, s0
	s_cbranch_vccnz .LBB18_1794
; %bb.1793:
	v_cvt_f16_f32_e32 v1, v0
	s_delay_alu instid0(VALU_DEP_1)
	v_and_b32_e32 v1, 0xffff, v1
	global_store_b32 v[7:8], v1, off
.LBB18_1794:
	s_mov_b32 s0, 0
.LBB18_1795:
	s_delay_alu instid0(SALU_CYCLE_1)
	s_and_not1_b32 vcc_lo, exec_lo, s0
	s_cbranch_vccnz .LBB18_1804
; %bb.1796:
	v_cmp_gt_i16_e32 vcc_lo, 6, v10
	s_mov_b32 s0, -1
	s_cbranch_vccnz .LBB18_1802
; %bb.1797:
	v_cmp_lt_i16_e32 vcc_lo, 6, v10
	s_cbranch_vccz .LBB18_1799
; %bb.1798:
	v_cvt_f64_f32_e32 v[11:12], v0
	s_mov_b32 s0, 0
	global_store_b64 v[7:8], v[11:12], off
.LBB18_1799:
	s_and_not1_b32 vcc_lo, exec_lo, s0
	s_cbranch_vccnz .LBB18_1801
; %bb.1800:
	global_store_b32 v[7:8], v0, off
.LBB18_1801:
	s_mov_b32 s0, 0
.LBB18_1802:
	s_delay_alu instid0(SALU_CYCLE_1)
	s_and_not1_b32 vcc_lo, exec_lo, s0
	s_cbranch_vccnz .LBB18_1804
; %bb.1803:
	v_cvt_f16_f32_e32 v1, v0
	global_store_b16 v[7:8], v1, off
.LBB18_1804:
	s_mov_b32 s0, 0
.LBB18_1805:
	s_delay_alu instid0(SALU_CYCLE_1)
	s_and_not1_b32 vcc_lo, exec_lo, s0
	s_cbranch_vccnz .LBB18_1821
; %bb.1806:
	v_cmp_gt_i16_e32 vcc_lo, 2, v10
	s_mov_b32 s0, -1
	s_cbranch_vccnz .LBB18_1816
; %bb.1807:
	v_cmp_gt_i16_e32 vcc_lo, 3, v10
	s_cbranch_vccnz .LBB18_1813
; %bb.1808:
	v_cmp_lt_i16_e32 vcc_lo, 3, v10
	s_cbranch_vccz .LBB18_1810
; %bb.1809:
	v_trunc_f32_e32 v1, v0
	s_mov_b32 s0, 0
	s_delay_alu instid0(VALU_DEP_1) | instskip(NEXT) | instid1(VALU_DEP_1)
	v_mul_f32_e64 v5, 0x2f800000, |v1|
	v_floor_f32_e32 v5, v5
	s_delay_alu instid0(VALU_DEP_1) | instskip(SKIP_2) | instid1(VALU_DEP_3)
	v_fma_f32 v9, 0xcf800000, v5, |v1|
	v_ashrrev_i32_e32 v1, 31, v1
	v_cvt_u32_f32_e32 v5, v5
	v_cvt_u32_f32_e32 v9, v9
	s_delay_alu instid0(VALU_DEP_2) | instskip(NEXT) | instid1(VALU_DEP_2)
	v_xor_b32_e32 v5, v5, v1
	v_xor_b32_e32 v9, v9, v1
	s_delay_alu instid0(VALU_DEP_1) | instskip(NEXT) | instid1(VALU_DEP_3)
	v_sub_co_u32 v11, vcc_lo, v9, v1
	v_sub_co_ci_u32_e32 v12, vcc_lo, v5, v1, vcc_lo
	global_store_b64 v[7:8], v[11:12], off
.LBB18_1810:
	s_and_not1_b32 vcc_lo, exec_lo, s0
	s_cbranch_vccnz .LBB18_1812
; %bb.1811:
	v_cvt_i32_f32_e32 v1, v0
	global_store_b32 v[7:8], v1, off
.LBB18_1812:
	s_mov_b32 s0, 0
.LBB18_1813:
	s_delay_alu instid0(SALU_CYCLE_1)
	s_and_not1_b32 vcc_lo, exec_lo, s0
	s_cbranch_vccnz .LBB18_1815
; %bb.1814:
	v_cvt_i32_f32_e32 v1, v0
	global_store_b16 v[7:8], v1, off
.LBB18_1815:
	s_mov_b32 s0, 0
.LBB18_1816:
	s_delay_alu instid0(SALU_CYCLE_1)
	s_and_not1_b32 vcc_lo, exec_lo, s0
	s_cbranch_vccnz .LBB18_1821
; %bb.1817:
	v_cmp_lt_i16_e32 vcc_lo, 0, v10
	s_mov_b32 s0, -1
	s_cbranch_vccz .LBB18_1819
; %bb.1818:
	v_cvt_i32_f32_e32 v1, v0
	s_mov_b32 s0, 0
	global_store_b8 v[7:8], v1, off
.LBB18_1819:
	s_and_not1_b32 vcc_lo, exec_lo, s0
	s_cbranch_vccnz .LBB18_1821
; %bb.1820:
	v_trunc_f32_e32 v0, v0
	s_delay_alu instid0(VALU_DEP_1) | instskip(NEXT) | instid1(VALU_DEP_1)
	v_mul_f32_e64 v1, 0x2f800000, |v0|
	v_floor_f32_e32 v1, v1
	s_delay_alu instid0(VALU_DEP_1) | instskip(SKIP_1) | instid1(VALU_DEP_2)
	v_fma_f32 v1, 0xcf800000, v1, |v0|
	v_ashrrev_i32_e32 v0, 31, v0
	v_cvt_u32_f32_e32 v1, v1
	s_delay_alu instid0(VALU_DEP_1) | instskip(NEXT) | instid1(VALU_DEP_1)
	v_xor_b32_e32 v1, v1, v0
	v_sub_nc_u32_e32 v0, v1, v0
	global_store_b8 v[7:8], v0, off
.LBB18_1821:
	s_mov_b32 s6, -1
.LBB18_1822:
	s_delay_alu instid0(SALU_CYCLE_1)
	s_and_not1_b32 vcc_lo, exec_lo, s6
	s_cbranch_vccnz .LBB18_2137
; %bb.1823:
	s_lshl_b32 s2, s2, 7
	v_cmp_gt_i16_e32 vcc_lo, 11, v10
	v_add_nc_u32_e32 v5, s2, v3
	s_delay_alu instid0(VALU_DEP_1) | instskip(SKIP_1) | instid1(VALU_DEP_1)
	v_ashrrev_i32_e32 v1, 31, v5
	v_add_co_u32 v0, s0, s4, v5
	v_add_co_ci_u32_e64 v1, s0, s5, v1, s0
	s_cbranch_vccnz .LBB18_1901
; %bb.1824:
	v_cmp_lt_i16_e32 vcc_lo, 25, v10
	s_mov_b32 s7, -1
	s_mov_b32 s3, 0
	s_mov_b32 s6, 0
	;; [unrolled: 1-line block ×3, first 2 shown]
	s_cbranch_vccz .LBB18_1857
; %bb.1825:
	v_cmp_lt_i16_e32 vcc_lo, 28, v10
	s_cbranch_vccz .LBB18_1840
; %bb.1826:
	v_cmp_lt_i16_e32 vcc_lo, 43, v10
	;; [unrolled: 3-line block ×3, first 2 shown]
	s_cbranch_vccz .LBB18_1830
; %bb.1828:
	v_cmp_eq_u16_e32 vcc_lo, 46, v10
	s_mov_b32 s0, -1
	s_mov_b32 s7, 0
	s_cbranch_vccz .LBB18_1830
; %bb.1829:
	v_bfe_u32 v3, v2, 16, 1
	v_cmp_o_f32_e32 vcc_lo, v2, v2
	s_mov_b32 s0, 0
	s_mov_b32 s6, -1
	s_delay_alu instid0(VALU_DEP_2) | instskip(NEXT) | instid1(VALU_DEP_1)
	v_add3_u32 v3, v2, v3, 0x7fff
	v_lshrrev_b32_e32 v3, 16, v3
	s_delay_alu instid0(VALU_DEP_1)
	v_cndmask_b32_e32 v3, 0x7fc0, v3, vcc_lo
	global_store_b32 v[0:1], v3, off
.LBB18_1830:
	s_and_b32 vcc_lo, exec_lo, s7
	s_cbranch_vccz .LBB18_1835
; %bb.1831:
	v_cmp_eq_u16_e32 vcc_lo, 44, v10
	s_mov_b32 s0, -1
	s_cbranch_vccz .LBB18_1835
; %bb.1832:
	v_bfe_u32 v7, v2, 23, 8
	v_mov_b32_e32 v3, 0xff
	s_mov_b32 s6, exec_lo
	s_delay_alu instid0(VALU_DEP_2)
	v_cmpx_ne_u32_e32 0xff, v7
; %bb.1833:
	v_and_b32_e32 v3, 0x400000, v2
	v_and_or_b32 v7, 0x3fffff, v2, v7
	s_delay_alu instid0(VALU_DEP_2) | instskip(NEXT) | instid1(VALU_DEP_2)
	v_cmp_ne_u32_e32 vcc_lo, 0, v3
	v_cmp_ne_u32_e64 s0, 0, v7
	v_lshrrev_b32_e32 v3, 23, v2
	s_delay_alu instid0(VALU_DEP_2) | instskip(NEXT) | instid1(SALU_CYCLE_1)
	s_and_b32 s0, vcc_lo, s0
	v_cndmask_b32_e64 v7, 0, 1, s0
	s_delay_alu instid0(VALU_DEP_1)
	v_add_nc_u32_e32 v3, v3, v7
; %bb.1834:
	s_or_b32 exec_lo, exec_lo, s6
	s_mov_b32 s0, 0
	s_mov_b32 s6, -1
	global_store_b8 v[0:1], v3, off
.LBB18_1835:
	s_mov_b32 s7, 0
.LBB18_1836:
	s_delay_alu instid0(SALU_CYCLE_1)
	s_and_b32 vcc_lo, exec_lo, s7
	s_cbranch_vccz .LBB18_1839
; %bb.1837:
	v_cmp_eq_u16_e32 vcc_lo, 29, v10
	s_mov_b32 s0, -1
	s_cbranch_vccz .LBB18_1839
; %bb.1838:
	v_trunc_f32_e32 v3, v2
	s_mov_b32 s0, 0
	s_mov_b32 s6, -1
	s_delay_alu instid0(VALU_DEP_1) | instskip(NEXT) | instid1(VALU_DEP_1)
	v_mul_f32_e32 v7, 0x2f800000, v3
	v_floor_f32_e32 v7, v7
	s_delay_alu instid0(VALU_DEP_1) | instskip(SKIP_1) | instid1(VALU_DEP_2)
	v_fmamk_f32 v3, v7, 0xcf800000, v3
	v_cvt_u32_f32_e32 v8, v7
	v_cvt_u32_f32_e32 v7, v3
	global_store_b64 v[0:1], v[7:8], off
.LBB18_1839:
	s_mov_b32 s7, 0
.LBB18_1840:
	s_delay_alu instid0(SALU_CYCLE_1)
	s_and_b32 vcc_lo, exec_lo, s7
	s_cbranch_vccz .LBB18_1856
; %bb.1841:
	v_cmp_gt_i16_e32 vcc_lo, 27, v10
	s_mov_b32 s6, -1
	s_cbranch_vccnz .LBB18_1847
; %bb.1842:
	v_cmp_lt_i16_e32 vcc_lo, 27, v10
	v_cvt_u32_f32_e32 v3, v2
	s_cbranch_vccz .LBB18_1844
; %bb.1843:
	s_mov_b32 s6, 0
	global_store_b32 v[0:1], v3, off
.LBB18_1844:
	s_and_not1_b32 vcc_lo, exec_lo, s6
	s_cbranch_vccnz .LBB18_1846
; %bb.1845:
	global_store_b16 v[0:1], v3, off
.LBB18_1846:
	s_mov_b32 s6, 0
.LBB18_1847:
	s_delay_alu instid0(SALU_CYCLE_1)
	s_and_not1_b32 vcc_lo, exec_lo, s6
	s_cbranch_vccnz .LBB18_1855
; %bb.1848:
	v_and_b32_e32 v3, 0x7fffffff, v2
	v_mov_b32_e32 v7, 0x80
	s_mov_b32 s6, exec_lo
	s_delay_alu instid0(VALU_DEP_2)
	v_cmpx_gt_u32_e32 0x43800000, v3
	s_cbranch_execz .LBB18_1854
; %bb.1849:
	v_cmp_lt_u32_e32 vcc_lo, 0x3bffffff, v3
	s_mov_b32 s7, 0
                                        ; implicit-def: $vgpr3
	s_and_saveexec_b32 s10, vcc_lo
	s_delay_alu instid0(SALU_CYCLE_1)
	s_xor_b32 s10, exec_lo, s10
	s_cbranch_execz .LBB18_2149
; %bb.1850:
	v_bfe_u32 v3, v2, 20, 1
	s_mov_b32 s7, exec_lo
	s_delay_alu instid0(VALU_DEP_1) | instskip(NEXT) | instid1(VALU_DEP_1)
	v_add3_u32 v3, v2, v3, 0x487ffff
	v_lshrrev_b32_e32 v3, 20, v3
	s_or_saveexec_b32 s10, s10
                                        ; implicit-def: $sgpr11
	s_delay_alu instid0(SALU_CYCLE_1)
	s_xor_b32 exec_lo, exec_lo, s10
	s_cbranch_execnz .LBB18_2150
.LBB18_1851:
	s_or_b32 exec_lo, exec_lo, s10
	v_mov_b32_e32 v7, s11
	s_and_saveexec_b32 s10, s7
.LBB18_1852:
	v_lshrrev_b32_e32 v7, 24, v2
	s_delay_alu instid0(VALU_DEP_1)
	v_and_or_b32 v7, 0x80, v7, v3
.LBB18_1853:
	s_or_b32 exec_lo, exec_lo, s10
.LBB18_1854:
	s_delay_alu instid0(SALU_CYCLE_1)
	s_or_b32 exec_lo, exec_lo, s6
	global_store_b8 v[0:1], v7, off
.LBB18_1855:
	s_mov_b32 s6, -1
.LBB18_1856:
	s_mov_b32 s7, 0
.LBB18_1857:
	s_delay_alu instid0(SALU_CYCLE_1)
	s_and_b32 vcc_lo, exec_lo, s7
	s_cbranch_vccz .LBB18_1897
; %bb.1858:
	v_cmp_lt_i16_e32 vcc_lo, 22, v10
	s_mov_b32 s3, -1
	s_cbranch_vccz .LBB18_1890
; %bb.1859:
	v_cmp_gt_i16_e32 vcc_lo, 24, v10
	s_cbranch_vccnz .LBB18_1879
; %bb.1860:
	v_cmp_lt_i16_e32 vcc_lo, 24, v10
	s_cbranch_vccz .LBB18_1868
; %bb.1861:
	v_and_b32_e32 v3, 0x7fffffff, v2
	v_mov_b32_e32 v7, 0x80
	s_mov_b32 s3, exec_lo
	s_delay_alu instid0(VALU_DEP_2)
	v_cmpx_gt_u32_e32 0x47800000, v3
	s_cbranch_execz .LBB18_1867
; %bb.1862:
	v_cmp_lt_u32_e32 vcc_lo, 0x37ffffff, v3
	s_mov_b32 s6, 0
                                        ; implicit-def: $vgpr3
	s_and_saveexec_b32 s7, vcc_lo
	s_delay_alu instid0(SALU_CYCLE_1)
	s_xor_b32 s7, exec_lo, s7
	s_cbranch_execz .LBB18_2155
; %bb.1863:
	v_bfe_u32 v3, v2, 21, 1
	s_mov_b32 s6, exec_lo
	s_delay_alu instid0(VALU_DEP_1) | instskip(NEXT) | instid1(VALU_DEP_1)
	v_add3_u32 v3, v2, v3, 0x88fffff
	v_lshrrev_b32_e32 v3, 21, v3
	s_or_saveexec_b32 s7, s7
                                        ; implicit-def: $sgpr10
	s_delay_alu instid0(SALU_CYCLE_1)
	s_xor_b32 exec_lo, exec_lo, s7
	s_cbranch_execnz .LBB18_2156
.LBB18_1864:
	s_or_b32 exec_lo, exec_lo, s7
	v_mov_b32_e32 v7, s10
	s_and_saveexec_b32 s7, s6
.LBB18_1865:
	v_lshrrev_b32_e32 v7, 24, v2
	s_delay_alu instid0(VALU_DEP_1)
	v_and_or_b32 v7, 0x80, v7, v3
.LBB18_1866:
	s_or_b32 exec_lo, exec_lo, s7
.LBB18_1867:
	s_delay_alu instid0(SALU_CYCLE_1)
	s_or_b32 exec_lo, exec_lo, s3
	s_mov_b32 s3, 0
	global_store_b8 v[0:1], v7, off
.LBB18_1868:
	s_and_b32 vcc_lo, exec_lo, s3
	s_cbranch_vccz .LBB18_1878
; %bb.1869:
	v_and_b32_e32 v7, 0x7fffffff, v2
	s_mov_b32 s3, exec_lo
                                        ; implicit-def: $vgpr3
	s_delay_alu instid0(VALU_DEP_1)
	v_cmpx_gt_u32_e32 0x43f00000, v7
	s_xor_b32 s3, exec_lo, s3
	s_cbranch_execz .LBB18_1875
; %bb.1870:
	s_mov_b32 s6, exec_lo
                                        ; implicit-def: $vgpr3
	v_cmpx_lt_u32_e32 0x3c7fffff, v7
	s_xor_b32 s6, exec_lo, s6
; %bb.1871:
	v_bfe_u32 v3, v2, 20, 1
	s_delay_alu instid0(VALU_DEP_1) | instskip(NEXT) | instid1(VALU_DEP_1)
	v_add3_u32 v3, v2, v3, 0x407ffff
	v_and_b32_e32 v7, 0xff00000, v3
	v_lshrrev_b32_e32 v3, 20, v3
	s_delay_alu instid0(VALU_DEP_2) | instskip(NEXT) | instid1(VALU_DEP_2)
	v_cmp_ne_u32_e32 vcc_lo, 0x7f00000, v7
	v_cndmask_b32_e32 v3, 0x7e, v3, vcc_lo
; %bb.1872:
	s_and_not1_saveexec_b32 s6, s6
; %bb.1873:
	v_add_f32_e64 v3, 0x46800000, |v2|
; %bb.1874:
	s_or_b32 exec_lo, exec_lo, s6
                                        ; implicit-def: $vgpr7
.LBB18_1875:
	s_and_not1_saveexec_b32 s3, s3
; %bb.1876:
	v_mov_b32_e32 v3, 0x7f
	v_cmp_lt_u32_e32 vcc_lo, 0x7f800000, v7
	s_delay_alu instid0(VALU_DEP_2)
	v_cndmask_b32_e32 v3, 0x7e, v3, vcc_lo
; %bb.1877:
	s_or_b32 exec_lo, exec_lo, s3
	v_lshrrev_b32_e32 v7, 24, v2
	s_delay_alu instid0(VALU_DEP_1)
	v_and_or_b32 v3, 0x80, v7, v3
	global_store_b8 v[0:1], v3, off
.LBB18_1878:
	s_mov_b32 s3, 0
.LBB18_1879:
	s_delay_alu instid0(SALU_CYCLE_1)
	s_and_not1_b32 vcc_lo, exec_lo, s3
	s_cbranch_vccnz .LBB18_1889
; %bb.1880:
	v_and_b32_e32 v7, 0x7fffffff, v2
	s_mov_b32 s3, exec_lo
                                        ; implicit-def: $vgpr3
	s_delay_alu instid0(VALU_DEP_1)
	v_cmpx_gt_u32_e32 0x47800000, v7
	s_xor_b32 s3, exec_lo, s3
	s_cbranch_execz .LBB18_1886
; %bb.1881:
	s_mov_b32 s6, exec_lo
                                        ; implicit-def: $vgpr3
	v_cmpx_lt_u32_e32 0x387fffff, v7
	s_xor_b32 s6, exec_lo, s6
; %bb.1882:
	v_bfe_u32 v3, v2, 21, 1
	s_delay_alu instid0(VALU_DEP_1) | instskip(NEXT) | instid1(VALU_DEP_1)
	v_add3_u32 v3, v2, v3, 0x80fffff
	v_lshrrev_b32_e32 v3, 21, v3
; %bb.1883:
	s_and_not1_saveexec_b32 s6, s6
; %bb.1884:
	v_add_f32_e64 v3, 0x43000000, |v2|
; %bb.1885:
	s_or_b32 exec_lo, exec_lo, s6
                                        ; implicit-def: $vgpr7
.LBB18_1886:
	s_and_not1_saveexec_b32 s3, s3
; %bb.1887:
	v_mov_b32_e32 v3, 0x7f
	v_cmp_lt_u32_e32 vcc_lo, 0x7f800000, v7
	s_delay_alu instid0(VALU_DEP_2)
	v_cndmask_b32_e32 v3, 0x7c, v3, vcc_lo
; %bb.1888:
	s_or_b32 exec_lo, exec_lo, s3
	v_lshrrev_b32_e32 v7, 24, v2
	s_delay_alu instid0(VALU_DEP_1)
	v_and_or_b32 v3, 0x80, v7, v3
	global_store_b8 v[0:1], v3, off
.LBB18_1889:
	s_mov_b32 s3, 0
	s_mov_b32 s6, -1
.LBB18_1890:
	s_and_not1_b32 vcc_lo, exec_lo, s3
	s_mov_b32 s3, 0
	s_cbranch_vccnz .LBB18_1897
; %bb.1891:
	v_cmp_lt_i16_e32 vcc_lo, 14, v10
	s_mov_b32 s3, -1
	s_cbranch_vccz .LBB18_1895
; %bb.1892:
	v_cmp_eq_u16_e32 vcc_lo, 15, v10
	s_mov_b32 s0, -1
	s_cbranch_vccz .LBB18_1894
; %bb.1893:
	v_bfe_u32 v3, v2, 16, 1
	v_cmp_o_f32_e32 vcc_lo, v2, v2
	s_mov_b32 s0, 0
	s_mov_b32 s6, -1
	s_delay_alu instid0(VALU_DEP_2) | instskip(NEXT) | instid1(VALU_DEP_1)
	v_add3_u32 v3, v2, v3, 0x7fff
	v_lshrrev_b32_e32 v3, 16, v3
	s_delay_alu instid0(VALU_DEP_1)
	v_cndmask_b32_e32 v3, 0x7fc0, v3, vcc_lo
	global_store_b16 v[0:1], v3, off
.LBB18_1894:
	s_mov_b32 s3, 0
.LBB18_1895:
	s_delay_alu instid0(SALU_CYCLE_1)
	s_and_b32 vcc_lo, exec_lo, s3
	s_mov_b32 s3, 0
	s_cbranch_vccz .LBB18_1897
; %bb.1896:
	v_cmp_ne_u16_e64 s0, 11, v10
	s_mov_b32 s3, -1
.LBB18_1897:
	s_delay_alu instid0(VALU_DEP_1)
	s_and_b32 vcc_lo, exec_lo, s0
	s_cbranch_vccnz .LBB18_2153
; %bb.1898:
	s_and_not1_b32 vcc_lo, exec_lo, s3
	s_cbranch_vccnz .LBB18_1900
.LBB18_1899:
	v_cmp_neq_f32_e32 vcc_lo, 0, v2
	s_mov_b32 s6, -1
	v_cndmask_b32_e64 v3, 0, 1, vcc_lo
	global_store_b8 v[0:1], v3, off
.LBB18_1900:
	s_mov_b32 s0, 0
	s_branch .LBB18_1902
.LBB18_1901:
	s_mov_b32 s0, -1
	s_mov_b32 s6, 0
.LBB18_1902:
	s_and_b32 vcc_lo, exec_lo, s0
	s_cbranch_vccz .LBB18_1941
; %bb.1903:
	v_cmp_gt_i16_e32 vcc_lo, 5, v10
	s_mov_b32 s0, -1
	s_cbranch_vccnz .LBB18_1924
; %bb.1904:
	v_cmp_gt_i16_e32 vcc_lo, 8, v10
	s_cbranch_vccnz .LBB18_1914
; %bb.1905:
	v_cmp_gt_i16_e32 vcc_lo, 9, v10
	s_cbranch_vccnz .LBB18_1911
; %bb.1906:
	v_cmp_lt_i16_e32 vcc_lo, 9, v10
	s_cbranch_vccz .LBB18_1908
; %bb.1907:
	v_cvt_f64_f32_e32 v[11:12], v2
	v_mov_b32_e32 v13, 0
	s_mov_b32 s0, 0
	s_delay_alu instid0(VALU_DEP_1)
	v_mov_b32_e32 v14, v13
	global_store_b128 v[0:1], v[11:14], off
.LBB18_1908:
	s_and_not1_b32 vcc_lo, exec_lo, s0
	s_cbranch_vccnz .LBB18_1910
; %bb.1909:
	v_mov_b32_e32 v3, 0
	global_store_b64 v[0:1], v[2:3], off
.LBB18_1910:
	s_mov_b32 s0, 0
.LBB18_1911:
	s_delay_alu instid0(SALU_CYCLE_1)
	s_and_not1_b32 vcc_lo, exec_lo, s0
	s_cbranch_vccnz .LBB18_1913
; %bb.1912:
	v_cvt_f16_f32_e32 v3, v2
	s_delay_alu instid0(VALU_DEP_1)
	v_and_b32_e32 v3, 0xffff, v3
	global_store_b32 v[0:1], v3, off
.LBB18_1913:
	s_mov_b32 s0, 0
.LBB18_1914:
	s_delay_alu instid0(SALU_CYCLE_1)
	s_and_not1_b32 vcc_lo, exec_lo, s0
	s_cbranch_vccnz .LBB18_1923
; %bb.1915:
	v_cmp_gt_i16_e32 vcc_lo, 6, v10
	s_mov_b32 s0, -1
	s_cbranch_vccnz .LBB18_1921
; %bb.1916:
	v_cmp_lt_i16_e32 vcc_lo, 6, v10
	s_cbranch_vccz .LBB18_1918
; %bb.1917:
	v_cvt_f64_f32_e32 v[7:8], v2
	s_mov_b32 s0, 0
	global_store_b64 v[0:1], v[7:8], off
.LBB18_1918:
	s_and_not1_b32 vcc_lo, exec_lo, s0
	s_cbranch_vccnz .LBB18_1920
; %bb.1919:
	global_store_b32 v[0:1], v2, off
.LBB18_1920:
	s_mov_b32 s0, 0
.LBB18_1921:
	s_delay_alu instid0(SALU_CYCLE_1)
	s_and_not1_b32 vcc_lo, exec_lo, s0
	s_cbranch_vccnz .LBB18_1923
; %bb.1922:
	v_cvt_f16_f32_e32 v3, v2
	global_store_b16 v[0:1], v3, off
.LBB18_1923:
	s_mov_b32 s0, 0
.LBB18_1924:
	s_delay_alu instid0(SALU_CYCLE_1)
	s_and_not1_b32 vcc_lo, exec_lo, s0
	s_cbranch_vccnz .LBB18_1940
; %bb.1925:
	v_cmp_gt_i16_e32 vcc_lo, 2, v10
	s_mov_b32 s0, -1
	s_cbranch_vccnz .LBB18_1935
; %bb.1926:
	v_cmp_gt_i16_e32 vcc_lo, 3, v10
	s_cbranch_vccnz .LBB18_1932
; %bb.1927:
	v_cmp_lt_i16_e32 vcc_lo, 3, v10
	s_cbranch_vccz .LBB18_1929
; %bb.1928:
	v_trunc_f32_e32 v3, v2
	s_mov_b32 s0, 0
	s_delay_alu instid0(VALU_DEP_1) | instskip(NEXT) | instid1(VALU_DEP_1)
	v_mul_f32_e64 v7, 0x2f800000, |v3|
	v_floor_f32_e32 v7, v7
	s_delay_alu instid0(VALU_DEP_1) | instskip(SKIP_2) | instid1(VALU_DEP_3)
	v_fma_f32 v8, 0xcf800000, v7, |v3|
	v_ashrrev_i32_e32 v3, 31, v3
	v_cvt_u32_f32_e32 v7, v7
	v_cvt_u32_f32_e32 v8, v8
	s_delay_alu instid0(VALU_DEP_2) | instskip(NEXT) | instid1(VALU_DEP_2)
	v_xor_b32_e32 v9, v7, v3
	v_xor_b32_e32 v8, v8, v3
	s_delay_alu instid0(VALU_DEP_1) | instskip(NEXT) | instid1(VALU_DEP_3)
	v_sub_co_u32 v7, vcc_lo, v8, v3
	v_sub_co_ci_u32_e32 v8, vcc_lo, v9, v3, vcc_lo
	global_store_b64 v[0:1], v[7:8], off
.LBB18_1929:
	s_and_not1_b32 vcc_lo, exec_lo, s0
	s_cbranch_vccnz .LBB18_1931
; %bb.1930:
	v_cvt_i32_f32_e32 v3, v2
	global_store_b32 v[0:1], v3, off
.LBB18_1931:
	s_mov_b32 s0, 0
.LBB18_1932:
	s_delay_alu instid0(SALU_CYCLE_1)
	s_and_not1_b32 vcc_lo, exec_lo, s0
	s_cbranch_vccnz .LBB18_1934
; %bb.1933:
	v_cvt_i32_f32_e32 v3, v2
	global_store_b16 v[0:1], v3, off
.LBB18_1934:
	s_mov_b32 s0, 0
.LBB18_1935:
	s_delay_alu instid0(SALU_CYCLE_1)
	s_and_not1_b32 vcc_lo, exec_lo, s0
	s_cbranch_vccnz .LBB18_1940
; %bb.1936:
	v_cmp_lt_i16_e32 vcc_lo, 0, v10
	s_mov_b32 s0, -1
	s_cbranch_vccz .LBB18_1938
; %bb.1937:
	v_cvt_i32_f32_e32 v3, v2
	s_mov_b32 s0, 0
	global_store_b8 v[0:1], v3, off
.LBB18_1938:
	s_and_not1_b32 vcc_lo, exec_lo, s0
	s_cbranch_vccnz .LBB18_1940
; %bb.1939:
	v_trunc_f32_e32 v2, v2
	s_delay_alu instid0(VALU_DEP_1) | instskip(NEXT) | instid1(VALU_DEP_1)
	v_mul_f32_e64 v3, 0x2f800000, |v2|
	v_floor_f32_e32 v3, v3
	s_delay_alu instid0(VALU_DEP_1) | instskip(SKIP_1) | instid1(VALU_DEP_2)
	v_fma_f32 v3, 0xcf800000, v3, |v2|
	v_ashrrev_i32_e32 v2, 31, v2
	v_cvt_u32_f32_e32 v3, v3
	s_delay_alu instid0(VALU_DEP_1) | instskip(NEXT) | instid1(VALU_DEP_1)
	v_xor_b32_e32 v3, v3, v2
	v_sub_nc_u32_e32 v2, v3, v2
	global_store_b8 v[0:1], v2, off
.LBB18_1940:
	s_mov_b32 s6, -1
.LBB18_1941:
	s_delay_alu instid0(SALU_CYCLE_1)
	s_and_not1_b32 vcc_lo, exec_lo, s6
	s_cbranch_vccnz .LBB18_2137
; %bb.1942:
	v_add_nc_u32_e32 v2, s2, v5
	v_cmp_gt_i16_e32 vcc_lo, 11, v10
	s_delay_alu instid0(VALU_DEP_2) | instskip(SKIP_1) | instid1(VALU_DEP_1)
	v_ashrrev_i32_e32 v1, 31, v2
	v_add_co_u32 v0, s0, s4, v2
	v_add_co_ci_u32_e64 v1, s0, s5, v1, s0
	s_cbranch_vccnz .LBB18_2020
; %bb.1943:
	v_cmp_lt_i16_e32 vcc_lo, 25, v10
	s_mov_b32 s7, -1
	s_mov_b32 s3, 0
	s_mov_b32 s6, 0
	;; [unrolled: 1-line block ×3, first 2 shown]
	s_cbranch_vccz .LBB18_1976
; %bb.1944:
	v_cmp_lt_i16_e32 vcc_lo, 28, v10
	s_cbranch_vccz .LBB18_1959
; %bb.1945:
	v_cmp_lt_i16_e32 vcc_lo, 43, v10
	;; [unrolled: 3-line block ×3, first 2 shown]
	s_cbranch_vccz .LBB18_1949
; %bb.1947:
	v_cmp_eq_u16_e32 vcc_lo, 46, v10
	s_mov_b32 s0, -1
	s_mov_b32 s7, 0
	s_cbranch_vccz .LBB18_1949
; %bb.1948:
	v_bfe_u32 v3, v4, 16, 1
	v_cmp_o_f32_e32 vcc_lo, v4, v4
	s_mov_b32 s0, 0
	s_mov_b32 s6, -1
	s_delay_alu instid0(VALU_DEP_2) | instskip(NEXT) | instid1(VALU_DEP_1)
	v_add3_u32 v3, v4, v3, 0x7fff
	v_lshrrev_b32_e32 v3, 16, v3
	s_delay_alu instid0(VALU_DEP_1)
	v_cndmask_b32_e32 v3, 0x7fc0, v3, vcc_lo
	global_store_b32 v[0:1], v3, off
.LBB18_1949:
	s_and_b32 vcc_lo, exec_lo, s7
	s_cbranch_vccz .LBB18_1954
; %bb.1950:
	v_cmp_eq_u16_e32 vcc_lo, 44, v10
	s_mov_b32 s0, -1
	s_cbranch_vccz .LBB18_1954
; %bb.1951:
	v_bfe_u32 v5, v4, 23, 8
	v_mov_b32_e32 v3, 0xff
	s_mov_b32 s6, exec_lo
	s_delay_alu instid0(VALU_DEP_2)
	v_cmpx_ne_u32_e32 0xff, v5
; %bb.1952:
	v_and_b32_e32 v3, 0x400000, v4
	v_and_or_b32 v5, 0x3fffff, v4, v5
	s_delay_alu instid0(VALU_DEP_2) | instskip(NEXT) | instid1(VALU_DEP_2)
	v_cmp_ne_u32_e32 vcc_lo, 0, v3
	v_cmp_ne_u32_e64 s0, 0, v5
	v_lshrrev_b32_e32 v3, 23, v4
	s_delay_alu instid0(VALU_DEP_2) | instskip(NEXT) | instid1(SALU_CYCLE_1)
	s_and_b32 s0, vcc_lo, s0
	v_cndmask_b32_e64 v5, 0, 1, s0
	s_delay_alu instid0(VALU_DEP_1)
	v_add_nc_u32_e32 v3, v3, v5
; %bb.1953:
	s_or_b32 exec_lo, exec_lo, s6
	s_mov_b32 s0, 0
	s_mov_b32 s6, -1
	global_store_b8 v[0:1], v3, off
.LBB18_1954:
	s_mov_b32 s7, 0
.LBB18_1955:
	s_delay_alu instid0(SALU_CYCLE_1)
	s_and_b32 vcc_lo, exec_lo, s7
	s_cbranch_vccz .LBB18_1958
; %bb.1956:
	v_cmp_eq_u16_e32 vcc_lo, 29, v10
	s_mov_b32 s0, -1
	s_cbranch_vccz .LBB18_1958
; %bb.1957:
	v_trunc_f32_e32 v3, v4
	s_mov_b32 s0, 0
	s_mov_b32 s6, -1
	s_delay_alu instid0(VALU_DEP_1) | instskip(NEXT) | instid1(VALU_DEP_1)
	v_mul_f32_e32 v5, 0x2f800000, v3
	v_floor_f32_e32 v5, v5
	s_delay_alu instid0(VALU_DEP_1) | instskip(SKIP_1) | instid1(VALU_DEP_2)
	v_fmamk_f32 v3, v5, 0xcf800000, v3
	v_cvt_u32_f32_e32 v8, v5
	v_cvt_u32_f32_e32 v7, v3
	global_store_b64 v[0:1], v[7:8], off
.LBB18_1958:
	s_mov_b32 s7, 0
.LBB18_1959:
	s_delay_alu instid0(SALU_CYCLE_1)
	s_and_b32 vcc_lo, exec_lo, s7
	s_cbranch_vccz .LBB18_1975
; %bb.1960:
	v_cmp_gt_i16_e32 vcc_lo, 27, v10
	s_mov_b32 s6, -1
	s_cbranch_vccnz .LBB18_1966
; %bb.1961:
	v_cmp_lt_i16_e32 vcc_lo, 27, v10
	v_cvt_u32_f32_e32 v3, v4
	s_cbranch_vccz .LBB18_1963
; %bb.1962:
	s_mov_b32 s6, 0
	global_store_b32 v[0:1], v3, off
.LBB18_1963:
	s_and_not1_b32 vcc_lo, exec_lo, s6
	s_cbranch_vccnz .LBB18_1965
; %bb.1964:
	global_store_b16 v[0:1], v3, off
.LBB18_1965:
	s_mov_b32 s6, 0
.LBB18_1966:
	s_delay_alu instid0(SALU_CYCLE_1)
	s_and_not1_b32 vcc_lo, exec_lo, s6
	s_cbranch_vccnz .LBB18_1974
; %bb.1967:
	v_and_b32_e32 v3, 0x7fffffff, v4
	v_mov_b32_e32 v5, 0x80
	s_mov_b32 s6, exec_lo
	s_delay_alu instid0(VALU_DEP_2)
	v_cmpx_gt_u32_e32 0x43800000, v3
	s_cbranch_execz .LBB18_1973
; %bb.1968:
	v_cmp_lt_u32_e32 vcc_lo, 0x3bffffff, v3
	s_mov_b32 s7, 0
                                        ; implicit-def: $vgpr3
	s_and_saveexec_b32 s10, vcc_lo
	s_delay_alu instid0(SALU_CYCLE_1)
	s_xor_b32 s10, exec_lo, s10
	s_cbranch_execz .LBB18_2157
; %bb.1969:
	v_bfe_u32 v3, v4, 20, 1
	s_mov_b32 s7, exec_lo
	s_delay_alu instid0(VALU_DEP_1) | instskip(NEXT) | instid1(VALU_DEP_1)
	v_add3_u32 v3, v4, v3, 0x487ffff
	v_lshrrev_b32_e32 v3, 20, v3
	s_or_saveexec_b32 s10, s10
                                        ; implicit-def: $sgpr11
	s_delay_alu instid0(SALU_CYCLE_1)
	s_xor_b32 exec_lo, exec_lo, s10
	s_cbranch_execnz .LBB18_2158
.LBB18_1970:
	s_or_b32 exec_lo, exec_lo, s10
	v_mov_b32_e32 v5, s11
	s_and_saveexec_b32 s10, s7
.LBB18_1971:
	v_lshrrev_b32_e32 v5, 24, v4
	s_delay_alu instid0(VALU_DEP_1)
	v_and_or_b32 v5, 0x80, v5, v3
.LBB18_1972:
	s_or_b32 exec_lo, exec_lo, s10
.LBB18_1973:
	s_delay_alu instid0(SALU_CYCLE_1)
	s_or_b32 exec_lo, exec_lo, s6
	global_store_b8 v[0:1], v5, off
.LBB18_1974:
	s_mov_b32 s6, -1
.LBB18_1975:
	s_mov_b32 s7, 0
.LBB18_1976:
	s_delay_alu instid0(SALU_CYCLE_1)
	s_and_b32 vcc_lo, exec_lo, s7
	s_cbranch_vccz .LBB18_2016
; %bb.1977:
	v_cmp_lt_i16_e32 vcc_lo, 22, v10
	s_mov_b32 s3, -1
	s_cbranch_vccz .LBB18_2009
; %bb.1978:
	v_cmp_gt_i16_e32 vcc_lo, 24, v10
	s_cbranch_vccnz .LBB18_1998
; %bb.1979:
	v_cmp_lt_i16_e32 vcc_lo, 24, v10
	s_cbranch_vccz .LBB18_1987
; %bb.1980:
	v_and_b32_e32 v3, 0x7fffffff, v4
	v_mov_b32_e32 v5, 0x80
	s_mov_b32 s3, exec_lo
	s_delay_alu instid0(VALU_DEP_2)
	v_cmpx_gt_u32_e32 0x47800000, v3
	s_cbranch_execz .LBB18_1986
; %bb.1981:
	v_cmp_lt_u32_e32 vcc_lo, 0x37ffffff, v3
	s_mov_b32 s6, 0
                                        ; implicit-def: $vgpr3
	s_and_saveexec_b32 s7, vcc_lo
	s_delay_alu instid0(SALU_CYCLE_1)
	s_xor_b32 s7, exec_lo, s7
	s_cbranch_execz .LBB18_2163
; %bb.1982:
	v_bfe_u32 v3, v4, 21, 1
	s_mov_b32 s6, exec_lo
	s_delay_alu instid0(VALU_DEP_1) | instskip(NEXT) | instid1(VALU_DEP_1)
	v_add3_u32 v3, v4, v3, 0x88fffff
	v_lshrrev_b32_e32 v3, 21, v3
	s_or_saveexec_b32 s7, s7
                                        ; implicit-def: $sgpr10
	s_delay_alu instid0(SALU_CYCLE_1)
	s_xor_b32 exec_lo, exec_lo, s7
	s_cbranch_execnz .LBB18_2164
.LBB18_1983:
	s_or_b32 exec_lo, exec_lo, s7
	v_mov_b32_e32 v5, s10
	s_and_saveexec_b32 s7, s6
.LBB18_1984:
	v_lshrrev_b32_e32 v5, 24, v4
	s_delay_alu instid0(VALU_DEP_1)
	v_and_or_b32 v5, 0x80, v5, v3
.LBB18_1985:
	s_or_b32 exec_lo, exec_lo, s7
.LBB18_1986:
	s_delay_alu instid0(SALU_CYCLE_1)
	s_or_b32 exec_lo, exec_lo, s3
	s_mov_b32 s3, 0
	global_store_b8 v[0:1], v5, off
.LBB18_1987:
	s_and_b32 vcc_lo, exec_lo, s3
	s_cbranch_vccz .LBB18_1997
; %bb.1988:
	v_and_b32_e32 v5, 0x7fffffff, v4
	s_mov_b32 s3, exec_lo
                                        ; implicit-def: $vgpr3
	s_delay_alu instid0(VALU_DEP_1)
	v_cmpx_gt_u32_e32 0x43f00000, v5
	s_xor_b32 s3, exec_lo, s3
	s_cbranch_execz .LBB18_1994
; %bb.1989:
	s_mov_b32 s6, exec_lo
                                        ; implicit-def: $vgpr3
	v_cmpx_lt_u32_e32 0x3c7fffff, v5
	s_xor_b32 s6, exec_lo, s6
; %bb.1990:
	v_bfe_u32 v3, v4, 20, 1
	s_delay_alu instid0(VALU_DEP_1) | instskip(NEXT) | instid1(VALU_DEP_1)
	v_add3_u32 v3, v4, v3, 0x407ffff
	v_and_b32_e32 v5, 0xff00000, v3
	v_lshrrev_b32_e32 v3, 20, v3
	s_delay_alu instid0(VALU_DEP_2) | instskip(NEXT) | instid1(VALU_DEP_2)
	v_cmp_ne_u32_e32 vcc_lo, 0x7f00000, v5
	v_cndmask_b32_e32 v3, 0x7e, v3, vcc_lo
; %bb.1991:
	s_and_not1_saveexec_b32 s6, s6
; %bb.1992:
	v_add_f32_e64 v3, 0x46800000, |v4|
; %bb.1993:
	s_or_b32 exec_lo, exec_lo, s6
                                        ; implicit-def: $vgpr5
.LBB18_1994:
	s_and_not1_saveexec_b32 s3, s3
; %bb.1995:
	v_mov_b32_e32 v3, 0x7f
	v_cmp_lt_u32_e32 vcc_lo, 0x7f800000, v5
	s_delay_alu instid0(VALU_DEP_2)
	v_cndmask_b32_e32 v3, 0x7e, v3, vcc_lo
; %bb.1996:
	s_or_b32 exec_lo, exec_lo, s3
	v_lshrrev_b32_e32 v5, 24, v4
	s_delay_alu instid0(VALU_DEP_1)
	v_and_or_b32 v3, 0x80, v5, v3
	global_store_b8 v[0:1], v3, off
.LBB18_1997:
	s_mov_b32 s3, 0
.LBB18_1998:
	s_delay_alu instid0(SALU_CYCLE_1)
	s_and_not1_b32 vcc_lo, exec_lo, s3
	s_cbranch_vccnz .LBB18_2008
; %bb.1999:
	v_and_b32_e32 v5, 0x7fffffff, v4
	s_mov_b32 s3, exec_lo
                                        ; implicit-def: $vgpr3
	s_delay_alu instid0(VALU_DEP_1)
	v_cmpx_gt_u32_e32 0x47800000, v5
	s_xor_b32 s3, exec_lo, s3
	s_cbranch_execz .LBB18_2005
; %bb.2000:
	s_mov_b32 s6, exec_lo
                                        ; implicit-def: $vgpr3
	v_cmpx_lt_u32_e32 0x387fffff, v5
	s_xor_b32 s6, exec_lo, s6
; %bb.2001:
	v_bfe_u32 v3, v4, 21, 1
	s_delay_alu instid0(VALU_DEP_1) | instskip(NEXT) | instid1(VALU_DEP_1)
	v_add3_u32 v3, v4, v3, 0x80fffff
	v_lshrrev_b32_e32 v3, 21, v3
; %bb.2002:
	s_and_not1_saveexec_b32 s6, s6
; %bb.2003:
	v_add_f32_e64 v3, 0x43000000, |v4|
; %bb.2004:
	s_or_b32 exec_lo, exec_lo, s6
                                        ; implicit-def: $vgpr5
.LBB18_2005:
	s_and_not1_saveexec_b32 s3, s3
; %bb.2006:
	v_mov_b32_e32 v3, 0x7f
	v_cmp_lt_u32_e32 vcc_lo, 0x7f800000, v5
	s_delay_alu instid0(VALU_DEP_2)
	v_cndmask_b32_e32 v3, 0x7c, v3, vcc_lo
; %bb.2007:
	s_or_b32 exec_lo, exec_lo, s3
	v_lshrrev_b32_e32 v5, 24, v4
	s_delay_alu instid0(VALU_DEP_1)
	v_and_or_b32 v3, 0x80, v5, v3
	global_store_b8 v[0:1], v3, off
.LBB18_2008:
	s_mov_b32 s3, 0
	s_mov_b32 s6, -1
.LBB18_2009:
	s_and_not1_b32 vcc_lo, exec_lo, s3
	s_mov_b32 s3, 0
	s_cbranch_vccnz .LBB18_2016
; %bb.2010:
	v_cmp_lt_i16_e32 vcc_lo, 14, v10
	s_mov_b32 s3, -1
	s_cbranch_vccz .LBB18_2014
; %bb.2011:
	v_cmp_eq_u16_e32 vcc_lo, 15, v10
	s_mov_b32 s0, -1
	s_cbranch_vccz .LBB18_2013
; %bb.2012:
	v_bfe_u32 v3, v4, 16, 1
	v_cmp_o_f32_e32 vcc_lo, v4, v4
	s_mov_b32 s0, 0
	s_mov_b32 s6, -1
	s_delay_alu instid0(VALU_DEP_2) | instskip(NEXT) | instid1(VALU_DEP_1)
	v_add3_u32 v3, v4, v3, 0x7fff
	v_lshrrev_b32_e32 v3, 16, v3
	s_delay_alu instid0(VALU_DEP_1)
	v_cndmask_b32_e32 v3, 0x7fc0, v3, vcc_lo
	global_store_b16 v[0:1], v3, off
.LBB18_2013:
	s_mov_b32 s3, 0
.LBB18_2014:
	s_delay_alu instid0(SALU_CYCLE_1)
	s_and_b32 vcc_lo, exec_lo, s3
	s_mov_b32 s3, 0
	s_cbranch_vccz .LBB18_2016
; %bb.2015:
	v_cmp_ne_u16_e64 s0, 11, v10
	s_mov_b32 s3, -1
.LBB18_2016:
	s_delay_alu instid0(VALU_DEP_1)
	s_and_b32 vcc_lo, exec_lo, s0
	s_cbranch_vccnz .LBB18_2161
; %bb.2017:
	s_and_not1_b32 vcc_lo, exec_lo, s3
	s_cbranch_vccnz .LBB18_2019
.LBB18_2018:
	v_cmp_neq_f32_e32 vcc_lo, 0, v4
	s_mov_b32 s6, -1
	v_cndmask_b32_e64 v3, 0, 1, vcc_lo
	global_store_b8 v[0:1], v3, off
.LBB18_2019:
	s_mov_b32 s0, 0
	s_branch .LBB18_2021
.LBB18_2020:
	s_mov_b32 s0, -1
	s_mov_b32 s6, 0
.LBB18_2021:
	s_and_b32 vcc_lo, exec_lo, s0
	s_cbranch_vccz .LBB18_2060
; %bb.2022:
	v_cmp_gt_i16_e32 vcc_lo, 5, v10
	s_mov_b32 s0, -1
	s_cbranch_vccnz .LBB18_2043
; %bb.2023:
	v_cmp_gt_i16_e32 vcc_lo, 8, v10
	s_cbranch_vccnz .LBB18_2033
; %bb.2024:
	v_cmp_gt_i16_e32 vcc_lo, 9, v10
	s_cbranch_vccnz .LBB18_2030
; %bb.2025:
	v_cmp_lt_i16_e32 vcc_lo, 9, v10
	s_cbranch_vccz .LBB18_2027
; %bb.2026:
	v_cvt_f64_f32_e32 v[11:12], v4
	v_mov_b32_e32 v13, 0
	s_mov_b32 s0, 0
	s_delay_alu instid0(VALU_DEP_1)
	v_mov_b32_e32 v14, v13
	global_store_b128 v[0:1], v[11:14], off
.LBB18_2027:
	s_and_not1_b32 vcc_lo, exec_lo, s0
	s_cbranch_vccnz .LBB18_2029
; %bb.2028:
	v_mov_b32_e32 v5, 0
	global_store_b64 v[0:1], v[4:5], off
.LBB18_2029:
	s_mov_b32 s0, 0
.LBB18_2030:
	s_delay_alu instid0(SALU_CYCLE_1)
	s_and_not1_b32 vcc_lo, exec_lo, s0
	s_cbranch_vccnz .LBB18_2032
; %bb.2031:
	v_cvt_f16_f32_e32 v3, v4
	s_delay_alu instid0(VALU_DEP_1)
	v_and_b32_e32 v3, 0xffff, v3
	global_store_b32 v[0:1], v3, off
.LBB18_2032:
	s_mov_b32 s0, 0
.LBB18_2033:
	s_delay_alu instid0(SALU_CYCLE_1)
	s_and_not1_b32 vcc_lo, exec_lo, s0
	s_cbranch_vccnz .LBB18_2042
; %bb.2034:
	v_cmp_gt_i16_e32 vcc_lo, 6, v10
	s_mov_b32 s0, -1
	s_cbranch_vccnz .LBB18_2040
; %bb.2035:
	v_cmp_lt_i16_e32 vcc_lo, 6, v10
	s_cbranch_vccz .LBB18_2037
; %bb.2036:
	v_cvt_f64_f32_e32 v[7:8], v4
	s_mov_b32 s0, 0
	global_store_b64 v[0:1], v[7:8], off
.LBB18_2037:
	s_and_not1_b32 vcc_lo, exec_lo, s0
	s_cbranch_vccnz .LBB18_2039
; %bb.2038:
	global_store_b32 v[0:1], v4, off
.LBB18_2039:
	s_mov_b32 s0, 0
.LBB18_2040:
	s_delay_alu instid0(SALU_CYCLE_1)
	s_and_not1_b32 vcc_lo, exec_lo, s0
	s_cbranch_vccnz .LBB18_2042
; %bb.2041:
	v_cvt_f16_f32_e32 v3, v4
	global_store_b16 v[0:1], v3, off
.LBB18_2042:
	s_mov_b32 s0, 0
.LBB18_2043:
	s_delay_alu instid0(SALU_CYCLE_1)
	s_and_not1_b32 vcc_lo, exec_lo, s0
	s_cbranch_vccnz .LBB18_2059
; %bb.2044:
	v_cmp_gt_i16_e32 vcc_lo, 2, v10
	s_mov_b32 s0, -1
	s_cbranch_vccnz .LBB18_2054
; %bb.2045:
	v_cmp_gt_i16_e32 vcc_lo, 3, v10
	s_cbranch_vccnz .LBB18_2051
; %bb.2046:
	v_cmp_lt_i16_e32 vcc_lo, 3, v10
	s_cbranch_vccz .LBB18_2048
; %bb.2047:
	v_trunc_f32_e32 v3, v4
	s_mov_b32 s0, 0
	s_delay_alu instid0(VALU_DEP_1) | instskip(NEXT) | instid1(VALU_DEP_1)
	v_mul_f32_e64 v5, 0x2f800000, |v3|
	v_floor_f32_e32 v5, v5
	s_delay_alu instid0(VALU_DEP_1) | instskip(SKIP_2) | instid1(VALU_DEP_3)
	v_fma_f32 v7, 0xcf800000, v5, |v3|
	v_ashrrev_i32_e32 v3, 31, v3
	v_cvt_u32_f32_e32 v5, v5
	v_cvt_u32_f32_e32 v7, v7
	s_delay_alu instid0(VALU_DEP_2) | instskip(NEXT) | instid1(VALU_DEP_2)
	v_xor_b32_e32 v5, v5, v3
	v_xor_b32_e32 v7, v7, v3
	s_delay_alu instid0(VALU_DEP_1) | instskip(NEXT) | instid1(VALU_DEP_3)
	v_sub_co_u32 v7, vcc_lo, v7, v3
	v_sub_co_ci_u32_e32 v8, vcc_lo, v5, v3, vcc_lo
	global_store_b64 v[0:1], v[7:8], off
.LBB18_2048:
	s_and_not1_b32 vcc_lo, exec_lo, s0
	s_cbranch_vccnz .LBB18_2050
; %bb.2049:
	v_cvt_i32_f32_e32 v3, v4
	global_store_b32 v[0:1], v3, off
.LBB18_2050:
	s_mov_b32 s0, 0
.LBB18_2051:
	s_delay_alu instid0(SALU_CYCLE_1)
	s_and_not1_b32 vcc_lo, exec_lo, s0
	s_cbranch_vccnz .LBB18_2053
; %bb.2052:
	v_cvt_i32_f32_e32 v3, v4
	global_store_b16 v[0:1], v3, off
.LBB18_2053:
	s_mov_b32 s0, 0
.LBB18_2054:
	s_delay_alu instid0(SALU_CYCLE_1)
	s_and_not1_b32 vcc_lo, exec_lo, s0
	s_cbranch_vccnz .LBB18_2059
; %bb.2055:
	v_cmp_lt_i16_e32 vcc_lo, 0, v10
	s_mov_b32 s0, -1
	s_cbranch_vccz .LBB18_2057
; %bb.2056:
	v_cvt_i32_f32_e32 v3, v4
	s_mov_b32 s0, 0
	global_store_b8 v[0:1], v3, off
.LBB18_2057:
	s_and_not1_b32 vcc_lo, exec_lo, s0
	s_cbranch_vccnz .LBB18_2059
; %bb.2058:
	v_trunc_f32_e32 v3, v4
	s_delay_alu instid0(VALU_DEP_1) | instskip(NEXT) | instid1(VALU_DEP_1)
	v_mul_f32_e64 v4, 0x2f800000, |v3|
	v_floor_f32_e32 v4, v4
	s_delay_alu instid0(VALU_DEP_1) | instskip(SKIP_1) | instid1(VALU_DEP_2)
	v_fma_f32 v4, 0xcf800000, v4, |v3|
	v_ashrrev_i32_e32 v3, 31, v3
	v_cvt_u32_f32_e32 v4, v4
	s_delay_alu instid0(VALU_DEP_1) | instskip(NEXT) | instid1(VALU_DEP_1)
	v_xor_b32_e32 v4, v4, v3
	v_sub_nc_u32_e32 v3, v4, v3
	global_store_b8 v[0:1], v3, off
.LBB18_2059:
	s_mov_b32 s6, -1
.LBB18_2060:
	s_delay_alu instid0(SALU_CYCLE_1)
	s_and_not1_b32 vcc_lo, exec_lo, s6
	s_cbranch_vccnz .LBB18_2137
; %bb.2061:
	v_add_nc_u32_e32 v0, s2, v2
	v_cmp_gt_i16_e32 vcc_lo, 11, v10
	s_delay_alu instid0(VALU_DEP_2) | instskip(SKIP_1) | instid1(VALU_DEP_1)
	v_ashrrev_i32_e32 v1, 31, v0
	v_add_co_u32 v0, s0, s4, v0
	v_add_co_ci_u32_e64 v1, s0, s5, v1, s0
	s_cbranch_vccnz .LBB18_2138
; %bb.2062:
	v_cmp_lt_i16_e32 vcc_lo, 25, v10
	s_mov_b32 s3, -1
	s_mov_b32 s2, 0
	s_mov_b32 s0, 0
	s_cbranch_vccz .LBB18_2095
; %bb.2063:
	v_cmp_lt_i16_e32 vcc_lo, 28, v10
	s_cbranch_vccz .LBB18_2079
; %bb.2064:
	v_cmp_lt_i16_e32 vcc_lo, 43, v10
	;; [unrolled: 3-line block ×3, first 2 shown]
	s_cbranch_vccz .LBB18_2069
; %bb.2066:
	v_cmp_eq_u16_e32 vcc_lo, 46, v10
	s_mov_b32 s0, -1
	s_cbranch_vccz .LBB18_2068
; %bb.2067:
	v_bfe_u32 v2, v6, 16, 1
	v_cmp_o_f32_e32 vcc_lo, v6, v6
	s_mov_b32 s0, 0
	s_delay_alu instid0(VALU_DEP_2) | instskip(NEXT) | instid1(VALU_DEP_1)
	v_add3_u32 v2, v6, v2, 0x7fff
	v_lshrrev_b32_e32 v2, 16, v2
	s_delay_alu instid0(VALU_DEP_1)
	v_cndmask_b32_e32 v2, 0x7fc0, v2, vcc_lo
	global_store_b32 v[0:1], v2, off
.LBB18_2068:
	s_mov_b32 s3, 0
.LBB18_2069:
	s_delay_alu instid0(SALU_CYCLE_1)
	s_and_b32 vcc_lo, exec_lo, s3
	s_cbranch_vccz .LBB18_2074
; %bb.2070:
	v_cmp_eq_u16_e32 vcc_lo, 44, v10
	s_mov_b32 s0, -1
	s_cbranch_vccz .LBB18_2074
; %bb.2071:
	v_bfe_u32 v3, v6, 23, 8
	v_mov_b32_e32 v2, 0xff
	s_mov_b32 s3, exec_lo
	s_delay_alu instid0(VALU_DEP_2)
	v_cmpx_ne_u32_e32 0xff, v3
; %bb.2072:
	v_and_b32_e32 v2, 0x400000, v6
	v_and_or_b32 v3, 0x3fffff, v6, v3
	s_delay_alu instid0(VALU_DEP_2) | instskip(NEXT) | instid1(VALU_DEP_2)
	v_cmp_ne_u32_e32 vcc_lo, 0, v2
	v_cmp_ne_u32_e64 s0, 0, v3
	v_lshrrev_b32_e32 v2, 23, v6
	s_delay_alu instid0(VALU_DEP_2) | instskip(NEXT) | instid1(SALU_CYCLE_1)
	s_and_b32 s0, vcc_lo, s0
	v_cndmask_b32_e64 v3, 0, 1, s0
	s_delay_alu instid0(VALU_DEP_1)
	v_add_nc_u32_e32 v2, v2, v3
; %bb.2073:
	s_or_b32 exec_lo, exec_lo, s3
	s_mov_b32 s0, 0
	global_store_b8 v[0:1], v2, off
.LBB18_2074:
	s_mov_b32 s3, 0
.LBB18_2075:
	s_delay_alu instid0(SALU_CYCLE_1)
	s_and_b32 vcc_lo, exec_lo, s3
	s_cbranch_vccz .LBB18_2078
; %bb.2076:
	v_cmp_eq_u16_e32 vcc_lo, 29, v10
	s_mov_b32 s0, -1
	s_cbranch_vccz .LBB18_2078
; %bb.2077:
	v_trunc_f32_e32 v2, v6
	s_mov_b32 s0, 0
	s_delay_alu instid0(VALU_DEP_1) | instskip(NEXT) | instid1(VALU_DEP_1)
	v_mul_f32_e32 v3, 0x2f800000, v2
	v_floor_f32_e32 v3, v3
	s_delay_alu instid0(VALU_DEP_1) | instskip(SKIP_1) | instid1(VALU_DEP_2)
	v_fmamk_f32 v2, v3, 0xcf800000, v2
	v_cvt_u32_f32_e32 v3, v3
	v_cvt_u32_f32_e32 v2, v2
	global_store_b64 v[0:1], v[2:3], off
.LBB18_2078:
	s_mov_b32 s3, 0
.LBB18_2079:
	s_delay_alu instid0(SALU_CYCLE_1)
	s_and_b32 vcc_lo, exec_lo, s3
	s_cbranch_vccz .LBB18_2094
; %bb.2080:
	v_cmp_gt_i16_e32 vcc_lo, 27, v10
	s_mov_b32 s3, -1
	s_cbranch_vccnz .LBB18_2086
; %bb.2081:
	v_cmp_lt_i16_e32 vcc_lo, 27, v10
	v_cvt_u32_f32_e32 v2, v6
	s_cbranch_vccz .LBB18_2083
; %bb.2082:
	s_mov_b32 s3, 0
	global_store_b32 v[0:1], v2, off
.LBB18_2083:
	s_and_not1_b32 vcc_lo, exec_lo, s3
	s_cbranch_vccnz .LBB18_2085
; %bb.2084:
	global_store_b16 v[0:1], v2, off
.LBB18_2085:
	s_mov_b32 s3, 0
.LBB18_2086:
	s_delay_alu instid0(SALU_CYCLE_1)
	s_and_not1_b32 vcc_lo, exec_lo, s3
	s_cbranch_vccnz .LBB18_2094
; %bb.2087:
	v_and_b32_e32 v2, 0x7fffffff, v6
	v_mov_b32_e32 v3, 0x80
	s_mov_b32 s3, exec_lo
	s_delay_alu instid0(VALU_DEP_2)
	v_cmpx_gt_u32_e32 0x43800000, v2
	s_cbranch_execz .LBB18_2093
; %bb.2088:
	v_cmp_lt_u32_e32 vcc_lo, 0x3bffffff, v2
	s_mov_b32 s4, 0
                                        ; implicit-def: $vgpr2
	s_and_saveexec_b32 s5, vcc_lo
	s_delay_alu instid0(SALU_CYCLE_1)
	s_xor_b32 s5, exec_lo, s5
	s_cbranch_execz .LBB18_2165
; %bb.2089:
	v_bfe_u32 v2, v6, 20, 1
	s_mov_b32 s4, exec_lo
	s_delay_alu instid0(VALU_DEP_1) | instskip(NEXT) | instid1(VALU_DEP_1)
	v_add3_u32 v2, v6, v2, 0x487ffff
	v_lshrrev_b32_e32 v2, 20, v2
	s_or_saveexec_b32 s5, s5
                                        ; implicit-def: $sgpr6
	s_delay_alu instid0(SALU_CYCLE_1)
	s_xor_b32 exec_lo, exec_lo, s5
	s_cbranch_execnz .LBB18_2166
.LBB18_2090:
	s_or_b32 exec_lo, exec_lo, s5
	v_mov_b32_e32 v3, s6
	s_and_saveexec_b32 s5, s4
.LBB18_2091:
	v_lshrrev_b32_e32 v3, 24, v6
	s_delay_alu instid0(VALU_DEP_1)
	v_and_or_b32 v3, 0x80, v3, v2
.LBB18_2092:
	s_or_b32 exec_lo, exec_lo, s5
.LBB18_2093:
	s_delay_alu instid0(SALU_CYCLE_1)
	s_or_b32 exec_lo, exec_lo, s3
	global_store_b8 v[0:1], v3, off
.LBB18_2094:
	s_mov_b32 s3, 0
.LBB18_2095:
	s_delay_alu instid0(SALU_CYCLE_1)
	s_and_b32 vcc_lo, exec_lo, s3
	s_cbranch_vccz .LBB18_2135
; %bb.2096:
	v_cmp_lt_i16_e32 vcc_lo, 22, v10
	s_mov_b32 s2, -1
	s_cbranch_vccz .LBB18_2128
; %bb.2097:
	v_cmp_gt_i16_e32 vcc_lo, 24, v10
	s_cbranch_vccnz .LBB18_2117
; %bb.2098:
	v_cmp_lt_i16_e32 vcc_lo, 24, v10
	s_cbranch_vccz .LBB18_2106
; %bb.2099:
	v_and_b32_e32 v2, 0x7fffffff, v6
	v_mov_b32_e32 v3, 0x80
	s_mov_b32 s2, exec_lo
	s_delay_alu instid0(VALU_DEP_2)
	v_cmpx_gt_u32_e32 0x47800000, v2
	s_cbranch_execz .LBB18_2105
; %bb.2100:
	v_cmp_lt_u32_e32 vcc_lo, 0x37ffffff, v2
	s_mov_b32 s3, 0
                                        ; implicit-def: $vgpr2
	s_and_saveexec_b32 s4, vcc_lo
	s_delay_alu instid0(SALU_CYCLE_1)
	s_xor_b32 s4, exec_lo, s4
	s_cbranch_execz .LBB18_2171
; %bb.2101:
	v_bfe_u32 v2, v6, 21, 1
	s_mov_b32 s3, exec_lo
	s_delay_alu instid0(VALU_DEP_1) | instskip(NEXT) | instid1(VALU_DEP_1)
	v_add3_u32 v2, v6, v2, 0x88fffff
	v_lshrrev_b32_e32 v2, 21, v2
	s_or_saveexec_b32 s4, s4
                                        ; implicit-def: $sgpr5
	s_delay_alu instid0(SALU_CYCLE_1)
	s_xor_b32 exec_lo, exec_lo, s4
	s_cbranch_execnz .LBB18_2172
.LBB18_2102:
	s_or_b32 exec_lo, exec_lo, s4
	v_mov_b32_e32 v3, s5
	s_and_saveexec_b32 s4, s3
.LBB18_2103:
	v_lshrrev_b32_e32 v3, 24, v6
	s_delay_alu instid0(VALU_DEP_1)
	v_and_or_b32 v3, 0x80, v3, v2
.LBB18_2104:
	s_or_b32 exec_lo, exec_lo, s4
.LBB18_2105:
	s_delay_alu instid0(SALU_CYCLE_1)
	s_or_b32 exec_lo, exec_lo, s2
	s_mov_b32 s2, 0
	global_store_b8 v[0:1], v3, off
.LBB18_2106:
	s_and_b32 vcc_lo, exec_lo, s2
	s_cbranch_vccz .LBB18_2116
; %bb.2107:
	v_and_b32_e32 v3, 0x7fffffff, v6
	s_mov_b32 s2, exec_lo
                                        ; implicit-def: $vgpr2
	s_delay_alu instid0(VALU_DEP_1)
	v_cmpx_gt_u32_e32 0x43f00000, v3
	s_xor_b32 s2, exec_lo, s2
	s_cbranch_execz .LBB18_2113
; %bb.2108:
	s_mov_b32 s3, exec_lo
                                        ; implicit-def: $vgpr2
	v_cmpx_lt_u32_e32 0x3c7fffff, v3
	s_xor_b32 s3, exec_lo, s3
; %bb.2109:
	v_bfe_u32 v2, v6, 20, 1
	s_delay_alu instid0(VALU_DEP_1) | instskip(NEXT) | instid1(VALU_DEP_1)
	v_add3_u32 v2, v6, v2, 0x407ffff
	v_and_b32_e32 v3, 0xff00000, v2
	v_lshrrev_b32_e32 v2, 20, v2
	s_delay_alu instid0(VALU_DEP_2) | instskip(NEXT) | instid1(VALU_DEP_2)
	v_cmp_ne_u32_e32 vcc_lo, 0x7f00000, v3
	v_cndmask_b32_e32 v2, 0x7e, v2, vcc_lo
; %bb.2110:
	s_and_not1_saveexec_b32 s3, s3
; %bb.2111:
	v_add_f32_e64 v2, 0x46800000, |v6|
; %bb.2112:
	s_or_b32 exec_lo, exec_lo, s3
                                        ; implicit-def: $vgpr3
.LBB18_2113:
	s_and_not1_saveexec_b32 s2, s2
; %bb.2114:
	v_mov_b32_e32 v2, 0x7f
	v_cmp_lt_u32_e32 vcc_lo, 0x7f800000, v3
	s_delay_alu instid0(VALU_DEP_2)
	v_cndmask_b32_e32 v2, 0x7e, v2, vcc_lo
; %bb.2115:
	s_or_b32 exec_lo, exec_lo, s2
	v_lshrrev_b32_e32 v3, 24, v6
	s_delay_alu instid0(VALU_DEP_1)
	v_and_or_b32 v2, 0x80, v3, v2
	global_store_b8 v[0:1], v2, off
.LBB18_2116:
	s_mov_b32 s2, 0
.LBB18_2117:
	s_delay_alu instid0(SALU_CYCLE_1)
	s_and_not1_b32 vcc_lo, exec_lo, s2
	s_cbranch_vccnz .LBB18_2127
; %bb.2118:
	v_and_b32_e32 v3, 0x7fffffff, v6
	s_mov_b32 s2, exec_lo
                                        ; implicit-def: $vgpr2
	s_delay_alu instid0(VALU_DEP_1)
	v_cmpx_gt_u32_e32 0x47800000, v3
	s_xor_b32 s2, exec_lo, s2
	s_cbranch_execz .LBB18_2124
; %bb.2119:
	s_mov_b32 s3, exec_lo
                                        ; implicit-def: $vgpr2
	v_cmpx_lt_u32_e32 0x387fffff, v3
	s_xor_b32 s3, exec_lo, s3
; %bb.2120:
	v_bfe_u32 v2, v6, 21, 1
	s_delay_alu instid0(VALU_DEP_1) | instskip(NEXT) | instid1(VALU_DEP_1)
	v_add3_u32 v2, v6, v2, 0x80fffff
	v_lshrrev_b32_e32 v2, 21, v2
; %bb.2121:
	s_and_not1_saveexec_b32 s3, s3
; %bb.2122:
	v_add_f32_e64 v2, 0x43000000, |v6|
; %bb.2123:
	s_or_b32 exec_lo, exec_lo, s3
                                        ; implicit-def: $vgpr3
.LBB18_2124:
	s_and_not1_saveexec_b32 s2, s2
; %bb.2125:
	v_mov_b32_e32 v2, 0x7f
	v_cmp_lt_u32_e32 vcc_lo, 0x7f800000, v3
	s_delay_alu instid0(VALU_DEP_2)
	v_cndmask_b32_e32 v2, 0x7c, v2, vcc_lo
; %bb.2126:
	s_or_b32 exec_lo, exec_lo, s2
	v_lshrrev_b32_e32 v3, 24, v6
	s_delay_alu instid0(VALU_DEP_1)
	v_and_or_b32 v2, 0x80, v3, v2
	global_store_b8 v[0:1], v2, off
.LBB18_2127:
	s_mov_b32 s2, 0
.LBB18_2128:
	s_delay_alu instid0(SALU_CYCLE_1)
	s_and_not1_b32 vcc_lo, exec_lo, s2
	s_mov_b32 s2, 0
	s_cbranch_vccnz .LBB18_2135
; %bb.2129:
	v_cmp_lt_i16_e32 vcc_lo, 14, v10
	s_mov_b32 s2, -1
	s_cbranch_vccz .LBB18_2133
; %bb.2130:
	v_cmp_eq_u16_e32 vcc_lo, 15, v10
	s_mov_b32 s0, -1
	s_cbranch_vccz .LBB18_2132
; %bb.2131:
	v_bfe_u32 v2, v6, 16, 1
	v_cmp_o_f32_e32 vcc_lo, v6, v6
	s_mov_b32 s0, 0
	s_delay_alu instid0(VALU_DEP_2) | instskip(NEXT) | instid1(VALU_DEP_1)
	v_add3_u32 v2, v6, v2, 0x7fff
	v_lshrrev_b32_e32 v2, 16, v2
	s_delay_alu instid0(VALU_DEP_1)
	v_cndmask_b32_e32 v2, 0x7fc0, v2, vcc_lo
	global_store_b16 v[0:1], v2, off
.LBB18_2132:
	s_mov_b32 s2, 0
.LBB18_2133:
	s_delay_alu instid0(SALU_CYCLE_1)
	s_and_b32 vcc_lo, exec_lo, s2
	s_mov_b32 s2, 0
	s_cbranch_vccz .LBB18_2135
; %bb.2134:
	v_cmp_ne_u16_e64 s0, 11, v10
	s_mov_b32 s2, -1
.LBB18_2135:
	s_delay_alu instid0(VALU_DEP_1)
	s_and_b32 vcc_lo, exec_lo, s0
	s_cbranch_vccnz .LBB18_2169
.LBB18_2136:
	s_mov_b32 s0, 0
	s_branch .LBB18_1738
.LBB18_2137:
	s_mov_b32 s0, 0
	s_mov_b32 s2, 0
                                        ; implicit-def: $vgpr10
                                        ; implicit-def: $vgpr0_vgpr1
	s_branch .LBB18_1738
.LBB18_2138:
	s_mov_b32 s2, 0
	s_mov_b32 s0, -1
	s_branch .LBB18_1738
.LBB18_2139:
	s_cbranch_execnz .LBB18_2143
; %bb.2140:
	s_or_b32 s1, s1, exec_lo
                                        ; implicit-def: $vgpr1
	s_cbranch_execz .LBB18_1595
	s_branch .LBB18_1596
.LBB18_2141:
	s_or_saveexec_b32 s10, s10
                                        ; implicit-def: $sgpr11
	s_delay_alu instid0(SALU_CYCLE_1)
	s_xor_b32 exec_lo, exec_lo, s10
	s_cbranch_execz .LBB18_1687
.LBB18_2142:
	v_add_f32_e64 v1, 0x46000000, |v0|
	s_and_not1_b32 s7, s7, exec_lo
	s_mov_b32 s11, 0
	s_delay_alu instid0(VALU_DEP_1) | instskip(NEXT) | instid1(VALU_DEP_1)
	v_and_b32_e32 v1, 0xff, v1
	v_cmp_ne_u32_e32 vcc_lo, 0, v1
	s_and_b32 s12, vcc_lo, exec_lo
	s_delay_alu instid0(SALU_CYCLE_1)
	s_or_b32 s7, s7, s12
	s_or_b32 exec_lo, exec_lo, s10
	v_mov_b32_e32 v5, s11
	s_and_saveexec_b32 s10, s7
	s_cbranch_execnz .LBB18_1688
	s_branch .LBB18_1689
.LBB18_2143:
	s_trap 2
	s_sendmsg_rtn_b32 s0, sendmsg(MSG_RTN_GET_DOORBELL)
	s_mov_b32 ttmp2, m0
	s_waitcnt lgkmcnt(0)
	s_and_b32 s0, s0, 0x3ff
	s_delay_alu instid0(SALU_CYCLE_1) | instskip(NEXT) | instid1(SALU_CYCLE_1)
	s_bitset1_b32 s0, 10
	s_mov_b32 m0, s0
	s_sendmsg sendmsg(MSG_INTERRUPT)
	s_mov_b32 m0, ttmp2
.LBB18_2144:                            ; =>This Inner Loop Header: Depth=1
	s_sethalt 5
	s_branch .LBB18_2144
.LBB18_2145:
	s_cbranch_execnz .LBB18_2151
; %bb.2146:
	s_or_b32 s1, s1, exec_lo
	s_cbranch_execz .LBB18_1735
	s_branch .LBB18_1736
.LBB18_2147:
	s_or_saveexec_b32 s7, s7
                                        ; implicit-def: $sgpr10
	s_delay_alu instid0(SALU_CYCLE_1)
	s_xor_b32 exec_lo, exec_lo, s7
	s_cbranch_execz .LBB18_1700
.LBB18_2148:
	v_add_f32_e64 v1, 0x42800000, |v0|
	s_and_not1_b32 s6, s6, exec_lo
	s_mov_b32 s10, 0
	s_delay_alu instid0(VALU_DEP_1) | instskip(NEXT) | instid1(VALU_DEP_1)
	v_and_b32_e32 v1, 0xff, v1
	v_cmp_ne_u32_e32 vcc_lo, 0, v1
	s_and_b32 s11, vcc_lo, exec_lo
	s_delay_alu instid0(SALU_CYCLE_1)
	s_or_b32 s6, s6, s11
	s_or_b32 exec_lo, exec_lo, s7
	v_mov_b32_e32 v5, s10
	s_and_saveexec_b32 s7, s6
	s_cbranch_execnz .LBB18_1701
	s_branch .LBB18_1702
.LBB18_2149:
	s_or_saveexec_b32 s10, s10
                                        ; implicit-def: $sgpr11
	s_delay_alu instid0(SALU_CYCLE_1)
	s_xor_b32 exec_lo, exec_lo, s10
	s_cbranch_execz .LBB18_1851
.LBB18_2150:
	v_add_f32_e64 v3, 0x46000000, |v2|
	s_and_not1_b32 s7, s7, exec_lo
	s_mov_b32 s11, 0
	s_delay_alu instid0(VALU_DEP_1) | instskip(NEXT) | instid1(VALU_DEP_1)
	v_and_b32_e32 v3, 0xff, v3
	v_cmp_ne_u32_e32 vcc_lo, 0, v3
	s_and_b32 s12, vcc_lo, exec_lo
	s_delay_alu instid0(SALU_CYCLE_1)
	s_or_b32 s7, s7, s12
	s_or_b32 exec_lo, exec_lo, s10
	v_mov_b32_e32 v7, s11
	s_and_saveexec_b32 s10, s7
	s_cbranch_execnz .LBB18_1852
	s_branch .LBB18_1853
.LBB18_2151:
	s_trap 2
	s_sendmsg_rtn_b32 s0, sendmsg(MSG_RTN_GET_DOORBELL)
	s_mov_b32 ttmp2, m0
	s_waitcnt lgkmcnt(0)
	s_and_b32 s0, s0, 0x3ff
	s_delay_alu instid0(SALU_CYCLE_1) | instskip(NEXT) | instid1(SALU_CYCLE_1)
	s_bitset1_b32 s0, 10
	s_mov_b32 m0, s0
	s_sendmsg sendmsg(MSG_INTERRUPT)
	s_mov_b32 m0, ttmp2
.LBB18_2152:                            ; =>This Inner Loop Header: Depth=1
	s_sethalt 5
	s_branch .LBB18_2152
.LBB18_2153:
	s_cbranch_execnz .LBB18_2159
; %bb.2154:
	s_or_b32 s1, s1, exec_lo
	s_cbranch_execz .LBB18_1899
	s_branch .LBB18_1900
.LBB18_2155:
	s_or_saveexec_b32 s7, s7
                                        ; implicit-def: $sgpr10
	s_delay_alu instid0(SALU_CYCLE_1)
	s_xor_b32 exec_lo, exec_lo, s7
	s_cbranch_execz .LBB18_1864
.LBB18_2156:
	v_add_f32_e64 v3, 0x42800000, |v2|
	s_and_not1_b32 s6, s6, exec_lo
	s_mov_b32 s10, 0
	s_delay_alu instid0(VALU_DEP_1) | instskip(NEXT) | instid1(VALU_DEP_1)
	v_and_b32_e32 v3, 0xff, v3
	v_cmp_ne_u32_e32 vcc_lo, 0, v3
	s_and_b32 s11, vcc_lo, exec_lo
	s_delay_alu instid0(SALU_CYCLE_1)
	s_or_b32 s6, s6, s11
	s_or_b32 exec_lo, exec_lo, s7
	v_mov_b32_e32 v7, s10
	s_and_saveexec_b32 s7, s6
	s_cbranch_execnz .LBB18_1865
	s_branch .LBB18_1866
.LBB18_2157:
	s_or_saveexec_b32 s10, s10
                                        ; implicit-def: $sgpr11
	s_delay_alu instid0(SALU_CYCLE_1)
	s_xor_b32 exec_lo, exec_lo, s10
	s_cbranch_execz .LBB18_1970
.LBB18_2158:
	v_add_f32_e64 v3, 0x46000000, |v4|
	s_and_not1_b32 s7, s7, exec_lo
	s_mov_b32 s11, 0
	s_delay_alu instid0(VALU_DEP_1) | instskip(NEXT) | instid1(VALU_DEP_1)
	v_and_b32_e32 v3, 0xff, v3
	v_cmp_ne_u32_e32 vcc_lo, 0, v3
	s_and_b32 s12, vcc_lo, exec_lo
	s_delay_alu instid0(SALU_CYCLE_1)
	s_or_b32 s7, s7, s12
	s_or_b32 exec_lo, exec_lo, s10
	v_mov_b32_e32 v5, s11
	s_and_saveexec_b32 s10, s7
	s_cbranch_execnz .LBB18_1971
	s_branch .LBB18_1972
.LBB18_2159:
	s_trap 2
	s_sendmsg_rtn_b32 s0, sendmsg(MSG_RTN_GET_DOORBELL)
	s_mov_b32 ttmp2, m0
	s_waitcnt lgkmcnt(0)
	s_and_b32 s0, s0, 0x3ff
	s_delay_alu instid0(SALU_CYCLE_1) | instskip(NEXT) | instid1(SALU_CYCLE_1)
	s_bitset1_b32 s0, 10
	s_mov_b32 m0, s0
	s_sendmsg sendmsg(MSG_INTERRUPT)
	s_mov_b32 m0, ttmp2
.LBB18_2160:                            ; =>This Inner Loop Header: Depth=1
	s_sethalt 5
	s_branch .LBB18_2160
.LBB18_2161:
	s_cbranch_execnz .LBB18_2167
; %bb.2162:
	s_or_b32 s1, s1, exec_lo
	s_cbranch_execz .LBB18_2018
	s_branch .LBB18_2019
.LBB18_2163:
	s_or_saveexec_b32 s7, s7
                                        ; implicit-def: $sgpr10
	s_delay_alu instid0(SALU_CYCLE_1)
	s_xor_b32 exec_lo, exec_lo, s7
	s_cbranch_execz .LBB18_1983
.LBB18_2164:
	v_add_f32_e64 v3, 0x42800000, |v4|
	s_and_not1_b32 s6, s6, exec_lo
	s_mov_b32 s10, 0
	s_delay_alu instid0(VALU_DEP_1) | instskip(NEXT) | instid1(VALU_DEP_1)
	v_and_b32_e32 v3, 0xff, v3
	v_cmp_ne_u32_e32 vcc_lo, 0, v3
	s_and_b32 s11, vcc_lo, exec_lo
	s_delay_alu instid0(SALU_CYCLE_1)
	s_or_b32 s6, s6, s11
	s_or_b32 exec_lo, exec_lo, s7
	v_mov_b32_e32 v5, s10
	s_and_saveexec_b32 s7, s6
	s_cbranch_execnz .LBB18_1984
	s_branch .LBB18_1985
.LBB18_2165:
	s_or_saveexec_b32 s5, s5
                                        ; implicit-def: $sgpr6
	s_delay_alu instid0(SALU_CYCLE_1)
	s_xor_b32 exec_lo, exec_lo, s5
	s_cbranch_execz .LBB18_2090
.LBB18_2166:
	v_add_f32_e64 v2, 0x46000000, |v6|
	s_and_not1_b32 s4, s4, exec_lo
	s_mov_b32 s6, 0
	s_delay_alu instid0(VALU_DEP_1) | instskip(NEXT) | instid1(VALU_DEP_1)
	v_and_b32_e32 v2, 0xff, v2
	v_cmp_ne_u32_e32 vcc_lo, 0, v2
	s_and_b32 s7, vcc_lo, exec_lo
	s_delay_alu instid0(SALU_CYCLE_1)
	s_or_b32 s4, s4, s7
	s_or_b32 exec_lo, exec_lo, s5
	v_mov_b32_e32 v3, s6
	s_and_saveexec_b32 s5, s4
	s_cbranch_execnz .LBB18_2091
	s_branch .LBB18_2092
.LBB18_2167:
	s_trap 2
	s_sendmsg_rtn_b32 s0, sendmsg(MSG_RTN_GET_DOORBELL)
	s_mov_b32 ttmp2, m0
	s_waitcnt lgkmcnt(0)
	s_and_b32 s0, s0, 0x3ff
	s_delay_alu instid0(SALU_CYCLE_1) | instskip(NEXT) | instid1(SALU_CYCLE_1)
	s_bitset1_b32 s0, 10
	s_mov_b32 m0, s0
	s_sendmsg sendmsg(MSG_INTERRUPT)
	s_mov_b32 m0, ttmp2
.LBB18_2168:                            ; =>This Inner Loop Header: Depth=1
	s_sethalt 5
	s_branch .LBB18_2168
.LBB18_2169:
	s_cbranch_execnz .LBB18_2173
; %bb.2170:
	s_mov_b32 s2, 0
	s_or_b32 s1, s1, exec_lo
	s_branch .LBB18_2136
.LBB18_2171:
	s_or_saveexec_b32 s4, s4
                                        ; implicit-def: $sgpr5
	s_delay_alu instid0(SALU_CYCLE_1)
	s_xor_b32 exec_lo, exec_lo, s4
	s_cbranch_execz .LBB18_2102
.LBB18_2172:
	v_add_f32_e64 v2, 0x42800000, |v6|
	s_and_not1_b32 s3, s3, exec_lo
	s_mov_b32 s5, 0
	s_delay_alu instid0(VALU_DEP_1) | instskip(NEXT) | instid1(VALU_DEP_1)
	v_and_b32_e32 v2, 0xff, v2
	v_cmp_ne_u32_e32 vcc_lo, 0, v2
	s_and_b32 s6, vcc_lo, exec_lo
	s_delay_alu instid0(SALU_CYCLE_1)
	s_or_b32 s3, s3, s6
	s_or_b32 exec_lo, exec_lo, s4
	v_mov_b32_e32 v3, s5
	s_and_saveexec_b32 s4, s3
	s_cbranch_execnz .LBB18_2103
	s_branch .LBB18_2104
.LBB18_2173:
	s_trap 2
	s_sendmsg_rtn_b32 s0, sendmsg(MSG_RTN_GET_DOORBELL)
	s_mov_b32 ttmp2, m0
	s_waitcnt lgkmcnt(0)
	s_and_b32 s0, s0, 0x3ff
	s_delay_alu instid0(SALU_CYCLE_1) | instskip(NEXT) | instid1(SALU_CYCLE_1)
	s_bitset1_b32 s0, 10
	s_mov_b32 m0, s0
	s_sendmsg sendmsg(MSG_INTERRUPT)
	s_mov_b32 m0, ttmp2
.LBB18_2174:                            ; =>This Inner Loop Header: Depth=1
	s_sethalt 5
	s_branch .LBB18_2174
	.section	.rodata,"a",@progbits
	.p2align	6, 0x0
	.amdhsa_kernel _ZN2at6native32elementwise_kernel_manual_unrollILi128ELi4EZNS0_15gpu_kernel_implIZZZNS0_12_GLOBAL__N_130modified_bessel_i1_kernel_cudaERNS_18TensorIteratorBaseEENKUlvE_clEvENKUlvE0_clEvEUlfE_EEvS5_RKT_EUlibE_EEviT1_
		.amdhsa_group_segment_fixed_size 0
		.amdhsa_private_segment_fixed_size 0
		.amdhsa_kernarg_size 40
		.amdhsa_user_sgpr_count 15
		.amdhsa_user_sgpr_dispatch_ptr 0
		.amdhsa_user_sgpr_queue_ptr 0
		.amdhsa_user_sgpr_kernarg_segment_ptr 1
		.amdhsa_user_sgpr_dispatch_id 0
		.amdhsa_user_sgpr_private_segment_size 0
		.amdhsa_wavefront_size32 1
		.amdhsa_uses_dynamic_stack 0
		.amdhsa_enable_private_segment 0
		.amdhsa_system_sgpr_workgroup_id_x 1
		.amdhsa_system_sgpr_workgroup_id_y 0
		.amdhsa_system_sgpr_workgroup_id_z 0
		.amdhsa_system_sgpr_workgroup_info 0
		.amdhsa_system_vgpr_workitem_id 0
		.amdhsa_next_free_vgpr 15
		.amdhsa_next_free_sgpr 24
		.amdhsa_reserve_vcc 1
		.amdhsa_float_round_mode_32 0
		.amdhsa_float_round_mode_16_64 0
		.amdhsa_float_denorm_mode_32 3
		.amdhsa_float_denorm_mode_16_64 3
		.amdhsa_dx10_clamp 1
		.amdhsa_ieee_mode 1
		.amdhsa_fp16_overflow 0
		.amdhsa_workgroup_processor_mode 1
		.amdhsa_memory_ordered 1
		.amdhsa_forward_progress 0
		.amdhsa_shared_vgpr_count 0
		.amdhsa_exception_fp_ieee_invalid_op 0
		.amdhsa_exception_fp_denorm_src 0
		.amdhsa_exception_fp_ieee_div_zero 0
		.amdhsa_exception_fp_ieee_overflow 0
		.amdhsa_exception_fp_ieee_underflow 0
		.amdhsa_exception_fp_ieee_inexact 0
		.amdhsa_exception_int_div_zero 0
	.end_amdhsa_kernel
	.section	.text._ZN2at6native32elementwise_kernel_manual_unrollILi128ELi4EZNS0_15gpu_kernel_implIZZZNS0_12_GLOBAL__N_130modified_bessel_i1_kernel_cudaERNS_18TensorIteratorBaseEENKUlvE_clEvENKUlvE0_clEvEUlfE_EEvS5_RKT_EUlibE_EEviT1_,"axG",@progbits,_ZN2at6native32elementwise_kernel_manual_unrollILi128ELi4EZNS0_15gpu_kernel_implIZZZNS0_12_GLOBAL__N_130modified_bessel_i1_kernel_cudaERNS_18TensorIteratorBaseEENKUlvE_clEvENKUlvE0_clEvEUlfE_EEvS5_RKT_EUlibE_EEviT1_,comdat
.Lfunc_end18:
	.size	_ZN2at6native32elementwise_kernel_manual_unrollILi128ELi4EZNS0_15gpu_kernel_implIZZZNS0_12_GLOBAL__N_130modified_bessel_i1_kernel_cudaERNS_18TensorIteratorBaseEENKUlvE_clEvENKUlvE0_clEvEUlfE_EEvS5_RKT_EUlibE_EEviT1_, .Lfunc_end18-_ZN2at6native32elementwise_kernel_manual_unrollILi128ELi4EZNS0_15gpu_kernel_implIZZZNS0_12_GLOBAL__N_130modified_bessel_i1_kernel_cudaERNS_18TensorIteratorBaseEENKUlvE_clEvENKUlvE0_clEvEUlfE_EEvS5_RKT_EUlibE_EEviT1_
                                        ; -- End function
	.section	.AMDGPU.csdata,"",@progbits
; Kernel info:
; codeLenInByte = 52832
; NumSgprs: 26
; NumVgprs: 15
; ScratchSize: 0
; MemoryBound: 1
; FloatMode: 240
; IeeeMode: 1
; LDSByteSize: 0 bytes/workgroup (compile time only)
; SGPRBlocks: 3
; VGPRBlocks: 1
; NumSGPRsForWavesPerEU: 26
; NumVGPRsForWavesPerEU: 15
; Occupancy: 16
; WaveLimiterHint : 0
; COMPUTE_PGM_RSRC2:SCRATCH_EN: 0
; COMPUTE_PGM_RSRC2:USER_SGPR: 15
; COMPUTE_PGM_RSRC2:TRAP_HANDLER: 0
; COMPUTE_PGM_RSRC2:TGID_X_EN: 1
; COMPUTE_PGM_RSRC2:TGID_Y_EN: 0
; COMPUTE_PGM_RSRC2:TGID_Z_EN: 0
; COMPUTE_PGM_RSRC2:TIDIG_COMP_CNT: 0
	.section	.text._ZN2at6native32elementwise_kernel_manual_unrollILi128ELi4EZNS0_15gpu_kernel_implIZZZNS0_12_GLOBAL__N_130modified_bessel_i1_kernel_cudaERNS_18TensorIteratorBaseEENKUlvE_clEvENKUlvE0_clEvEUlfE_EEvS5_RKT_EUlibE0_EEviT1_,"axG",@progbits,_ZN2at6native32elementwise_kernel_manual_unrollILi128ELi4EZNS0_15gpu_kernel_implIZZZNS0_12_GLOBAL__N_130modified_bessel_i1_kernel_cudaERNS_18TensorIteratorBaseEENKUlvE_clEvENKUlvE0_clEvEUlfE_EEvS5_RKT_EUlibE0_EEviT1_,comdat
	.globl	_ZN2at6native32elementwise_kernel_manual_unrollILi128ELi4EZNS0_15gpu_kernel_implIZZZNS0_12_GLOBAL__N_130modified_bessel_i1_kernel_cudaERNS_18TensorIteratorBaseEENKUlvE_clEvENKUlvE0_clEvEUlfE_EEvS5_RKT_EUlibE0_EEviT1_ ; -- Begin function _ZN2at6native32elementwise_kernel_manual_unrollILi128ELi4EZNS0_15gpu_kernel_implIZZZNS0_12_GLOBAL__N_130modified_bessel_i1_kernel_cudaERNS_18TensorIteratorBaseEENKUlvE_clEvENKUlvE0_clEvEUlfE_EEvS5_RKT_EUlibE0_EEviT1_
	.p2align	8
	.type	_ZN2at6native32elementwise_kernel_manual_unrollILi128ELi4EZNS0_15gpu_kernel_implIZZZNS0_12_GLOBAL__N_130modified_bessel_i1_kernel_cudaERNS_18TensorIteratorBaseEENKUlvE_clEvENKUlvE0_clEvEUlfE_EEvS5_RKT_EUlibE0_EEviT1_,@function
_ZN2at6native32elementwise_kernel_manual_unrollILi128ELi4EZNS0_15gpu_kernel_implIZZZNS0_12_GLOBAL__N_130modified_bessel_i1_kernel_cudaERNS_18TensorIteratorBaseEENKUlvE_clEvENKUlvE0_clEvEUlfE_EEvS5_RKT_EUlibE0_EEviT1_: ; @_ZN2at6native32elementwise_kernel_manual_unrollILi128ELi4EZNS0_15gpu_kernel_implIZZZNS0_12_GLOBAL__N_130modified_bessel_i1_kernel_cudaERNS_18TensorIteratorBaseEENKUlvE_clEvENKUlvE0_clEvEUlfE_EEvS5_RKT_EUlibE0_EEviT1_
; %bb.0:
	s_clause 0x1
	s_load_b32 s24, s[0:1], 0x8
	s_load_b32 s30, s[0:1], 0x0
	v_lshl_or_b32 v7, s15, 9, v0
	s_or_b32 s16, s0, 8
	s_mov_b32 s3, -1
	s_mov_b32 s26, 0
	s_mov_b32 s17, s1
	v_or_b32_e32 v8, 0x180, v7
	s_mov_b32 s8, 0
	s_mov_b32 s2, exec_lo
	s_waitcnt lgkmcnt(0)
	s_add_i32 s25, s24, -1
	s_delay_alu instid0(SALU_CYCLE_1)
	s_cmp_gt_u32 s25, 1
	s_cselect_b32 s27, -1, 0
	v_cmpx_le_i32_e64 s30, v8
	s_xor_b32 s28, exec_lo, s2
	s_cbranch_execz .LBB19_1124
; %bb.1:
	v_mov_b32_e32 v0, 0
	s_clause 0x3
	s_load_b128 s[12:15], s[16:17], 0x4
	s_load_b64 s[18:19], s[16:17], 0x14
	s_load_b128 s[8:11], s[16:17], 0xc4
	s_load_b128 s[4:7], s[16:17], 0x148
	s_cmp_lg_u32 s24, 0
	s_mov_b32 s37, 0
	s_cselect_b32 s33, -1, 0
	global_load_u16 v5, v0, s[16:17] offset:345
	s_add_u32 s20, s16, 0xc4
	s_addc_u32 s21, s17, 0
	s_min_u32 s31, s25, 15
	s_cmp_gt_u32 s24, 1
	s_mov_b32 s35, 0
	s_cselect_b32 s29, -1, 0
	s_mov_b32 s34, 0
	s_mov_b32 s36, exec_lo
	s_waitcnt vmcnt(0)
	v_lshrrev_b16 v6, 8, v5
	v_cmpx_gt_i32_e64 s30, v7
	s_cbranch_execz .LBB19_275
; %bb.2:
	s_and_not1_b32 vcc_lo, exec_lo, s27
	s_cbranch_vccnz .LBB19_7
; %bb.3:
	v_dual_mov_b32 v0, 0 :: v_dual_mov_b32 v1, 0
	s_and_not1_b32 vcc_lo, exec_lo, s33
	s_cbranch_vccnz .LBB19_12
; %bb.4:
	v_mov_b32_e32 v0, 0
	s_add_i32 s38, s31, 1
	s_cmp_eq_u32 s25, 2
	s_cbranch_scc1 .LBB19_8
; %bb.5:
	v_dual_mov_b32 v1, 0 :: v_dual_mov_b32 v0, 0
	v_mov_b32_e32 v2, v7
	s_and_b32 s35, s38, 28
	s_mov_b32 s39, 0
	s_mov_b64 s[2:3], s[20:21]
	s_mov_b64 s[22:23], s[16:17]
.LBB19_6:                               ; =>This Inner Loop Header: Depth=1
	s_clause 0x1
	s_load_b256 s[40:47], s[22:23], 0x4
	s_load_b128 s[56:59], s[22:23], 0x24
	s_load_b256 s[48:55], s[2:3], 0x0
	s_add_u32 s22, s22, 48
	s_addc_u32 s23, s23, 0
	s_add_i32 s39, s39, 4
	s_add_u32 s2, s2, 32
	s_addc_u32 s3, s3, 0
	s_cmp_lg_u32 s35, s39
	s_waitcnt lgkmcnt(0)
	v_mul_hi_u32 v3, s41, v2
	s_delay_alu instid0(VALU_DEP_1) | instskip(NEXT) | instid1(VALU_DEP_1)
	v_add_nc_u32_e32 v3, v2, v3
	v_lshrrev_b32_e32 v3, s42, v3
	s_delay_alu instid0(VALU_DEP_1) | instskip(SKIP_1) | instid1(VALU_DEP_2)
	v_mul_hi_u32 v4, s44, v3
	v_mul_lo_u32 v9, v3, s40
	v_add_nc_u32_e32 v4, v3, v4
	s_delay_alu instid0(VALU_DEP_2) | instskip(NEXT) | instid1(VALU_DEP_2)
	v_sub_nc_u32_e32 v2, v2, v9
	v_lshrrev_b32_e32 v4, s45, v4
	s_delay_alu instid0(VALU_DEP_2) | instskip(SKIP_1) | instid1(VALU_DEP_3)
	v_mul_lo_u32 v9, v2, s48
	v_mul_lo_u32 v11, v2, s49
	v_mul_hi_u32 v8, s47, v4
	s_delay_alu instid0(VALU_DEP_1) | instskip(NEXT) | instid1(VALU_DEP_1)
	v_add_nc_u32_e32 v8, v4, v8
	v_lshrrev_b32_e32 v8, s56, v8
	s_delay_alu instid0(VALU_DEP_1) | instskip(SKIP_1) | instid1(VALU_DEP_2)
	v_mul_hi_u32 v10, s58, v8
	v_mul_lo_u32 v12, v8, s46
	v_add_nc_u32_e32 v2, v8, v10
	v_mul_lo_u32 v10, v4, s43
	s_delay_alu instid0(VALU_DEP_3) | instskip(NEXT) | instid1(VALU_DEP_3)
	v_sub_nc_u32_e32 v4, v4, v12
	v_lshrrev_b32_e32 v2, s59, v2
	s_delay_alu instid0(VALU_DEP_2) | instskip(SKIP_2) | instid1(VALU_DEP_4)
	v_mul_lo_u32 v12, v4, s52
	v_mul_lo_u32 v4, v4, s53
	v_sub_nc_u32_e32 v3, v3, v10
	v_mul_lo_u32 v13, v2, s57
	s_delay_alu instid0(VALU_DEP_2) | instskip(SKIP_1) | instid1(VALU_DEP_3)
	v_mul_lo_u32 v10, v3, s50
	v_mul_lo_u32 v3, v3, s51
	v_sub_nc_u32_e32 v8, v8, v13
	s_delay_alu instid0(VALU_DEP_3) | instskip(NEXT) | instid1(VALU_DEP_2)
	v_add3_u32 v0, v9, v0, v10
	v_mul_lo_u32 v13, v8, s54
	v_mul_lo_u32 v8, v8, s55
	v_add3_u32 v1, v11, v1, v3
	s_delay_alu instid0(VALU_DEP_3) | instskip(NEXT) | instid1(VALU_DEP_2)
	v_add3_u32 v0, v12, v0, v13
	v_add3_u32 v1, v4, v1, v8
	s_cbranch_scc1 .LBB19_6
	s_branch .LBB19_9
.LBB19_7:
	s_mov_b32 s34, -1
                                        ; implicit-def: $vgpr0
                                        ; implicit-def: $vgpr1
	s_branch .LBB19_12
.LBB19_8:
	v_dual_mov_b32 v2, v7 :: v_dual_mov_b32 v1, 0
.LBB19_9:
	s_and_b32 s38, s38, 3
	s_delay_alu instid0(SALU_CYCLE_1)
	s_cmp_eq_u32 s38, 0
	s_cbranch_scc1 .LBB19_12
; %bb.10:
	s_lshl_b32 s2, s35, 3
	s_mul_i32 s22, s35, 12
	s_add_u32 s2, s2, s16
	s_addc_u32 s3, s17, 0
	s_add_u32 s2, s2, 0xc4
	s_addc_u32 s3, s3, 0
	;; [unrolled: 2-line block ×3, first 2 shown]
	.p2align	6
.LBB19_11:                              ; =>This Inner Loop Header: Depth=1
	s_clause 0x1
	s_load_b64 s[40:41], s[22:23], 0x4
	s_load_b32 s35, s[22:23], 0xc
	s_load_b64 s[42:43], s[2:3], 0x0
	s_add_u32 s22, s22, 12
	s_addc_u32 s23, s23, 0
	s_add_u32 s2, s2, 8
	s_addc_u32 s3, s3, 0
	s_add_i32 s38, s38, -1
	s_delay_alu instid0(SALU_CYCLE_1) | instskip(SKIP_2) | instid1(VALU_DEP_1)
	s_cmp_lg_u32 s38, 0
	s_waitcnt lgkmcnt(0)
	v_mul_hi_u32 v3, s41, v2
	v_add_nc_u32_e32 v3, v2, v3
	s_delay_alu instid0(VALU_DEP_1) | instskip(NEXT) | instid1(VALU_DEP_1)
	v_lshrrev_b32_e32 v10, s35, v3
	v_mul_lo_u32 v3, v10, s40
	s_delay_alu instid0(VALU_DEP_1) | instskip(NEXT) | instid1(VALU_DEP_1)
	v_sub_nc_u32_e32 v2, v2, v3
	v_mad_u64_u32 v[3:4], null, v2, s42, v[0:1]
	v_mad_u64_u32 v[8:9], null, v2, s43, v[1:2]
	v_mov_b32_e32 v2, v10
	s_delay_alu instid0(VALU_DEP_2)
	v_dual_mov_b32 v0, v3 :: v_dual_mov_b32 v1, v8
	s_cbranch_scc1 .LBB19_11
.LBB19_12:
	s_and_not1_b32 vcc_lo, exec_lo, s34
	s_cbranch_vccnz .LBB19_15
; %bb.13:
	s_waitcnt lgkmcnt(0)
	v_mul_hi_u32 v0, s13, v7
	s_and_not1_b32 vcc_lo, exec_lo, s29
	s_delay_alu instid0(VALU_DEP_1) | instskip(NEXT) | instid1(VALU_DEP_1)
	v_add_nc_u32_e32 v0, v7, v0
	v_lshrrev_b32_e32 v2, s14, v0
	s_delay_alu instid0(VALU_DEP_1) | instskip(NEXT) | instid1(VALU_DEP_1)
	v_mul_lo_u32 v0, v2, s12
	v_sub_nc_u32_e32 v1, v7, v0
	s_delay_alu instid0(VALU_DEP_1)
	v_mul_lo_u32 v0, v1, s8
	v_mul_lo_u32 v1, v1, s9
	s_cbranch_vccnz .LBB19_15
; %bb.14:
	v_mul_hi_u32 v3, s18, v2
	s_delay_alu instid0(VALU_DEP_1) | instskip(NEXT) | instid1(VALU_DEP_1)
	v_add_nc_u32_e32 v3, v2, v3
	v_lshrrev_b32_e32 v3, s19, v3
	s_delay_alu instid0(VALU_DEP_1) | instskip(NEXT) | instid1(VALU_DEP_1)
	v_mul_lo_u32 v3, v3, s15
	v_sub_nc_u32_e32 v8, v2, v3
	s_delay_alu instid0(VALU_DEP_1) | instskip(NEXT) | instid1(VALU_DEP_1)
	v_mad_u64_u32 v[2:3], null, v8, s10, v[0:1]
	v_mad_u64_u32 v[3:4], null, v8, s11, v[1:2]
	s_delay_alu instid0(VALU_DEP_1)
	v_dual_mov_b32 v0, v2 :: v_dual_mov_b32 v1, v3
.LBB19_15:
	v_cmp_gt_i16_e32 vcc_lo, 11, v6
	s_waitcnt lgkmcnt(0)
	s_delay_alu instid0(VALU_DEP_2) | instskip(NEXT) | instid1(VALU_DEP_1)
	v_add_co_u32 v1, s2, s6, v1
	v_add_co_ci_u32_e64 v2, null, s7, 0, s2
	s_mov_b32 s3, 0
	s_cbranch_vccnz .LBB19_22
; %bb.16:
	v_cmp_lt_i16_e32 vcc_lo, 25, v6
	s_cbranch_vccz .LBB19_153
; %bb.17:
	v_cmp_lt_i16_e32 vcc_lo, 28, v6
	s_cbranch_vccz .LBB19_154
	;; [unrolled: 3-line block ×4, first 2 shown]
; %bb.20:
	v_cmp_eq_u16_e32 vcc_lo, 46, v6
	s_mov_b32 s22, 0
	s_cbranch_vccz .LBB19_157
; %bb.21:
	global_load_b32 v3, v[1:2], off
	s_mov_b32 s2, -1
	s_waitcnt vmcnt(0)
	v_lshlrev_b32_e32 v3, 16, v3
	s_branch .LBB19_159
.LBB19_22:
	s_mov_b32 s2, 0
                                        ; implicit-def: $vgpr3
	s_cbranch_execnz .LBB19_225
.LBB19_23:
	s_and_not1_b32 vcc_lo, exec_lo, s2
	s_cbranch_vccnz .LBB19_272
.LBB19_24:
	s_waitcnt vmcnt(0)
	s_delay_alu instid0(VALU_DEP_1) | instskip(NEXT) | instid1(VALU_DEP_1)
	v_cmp_ge_f32_e64 s2, 0x41000000, |v3|
                                        ; implicit-def: $vgpr1
	s_and_saveexec_b32 s22, s2
	s_delay_alu instid0(SALU_CYCLE_1)
	s_xor_b32 s2, exec_lo, s22
	s_cbranch_execz .LBB19_30
; %bb.25:
	v_fma_f32 v1, |v3|, 0.5, -2.0
	s_mov_b32 s22, 0x224cf950
	s_delay_alu instid0(VALU_DEP_1) | instid1(SALU_CYCLE_1)
	v_fmaak_f32 v2, s22, v1, 0xa3c2be86
	s_mov_b32 s22, exec_lo
	s_delay_alu instid0(VALU_DEP_1) | instskip(NEXT) | instid1(VALU_DEP_1)
	v_fmaak_f32 v4, v1, v2, 0xa24cf950
	v_add_f32_e32 v4, 0x25331f1f, v4
	s_delay_alu instid0(VALU_DEP_1) | instskip(NEXT) | instid1(VALU_DEP_1)
	v_fma_f32 v2, v1, v4, -v2
	v_add_f32_e32 v2, 0xa69f5554, v2
	s_delay_alu instid0(VALU_DEP_1) | instskip(NEXT) | instid1(VALU_DEP_1)
	v_fma_f32 v4, v1, v2, -v4
	;; [unrolled: 3-line block ×26, first 2 shown]
	v_add_f32_e32 v1, 0x3e81531c, v1
	s_delay_alu instid0(VALU_DEP_1)
	v_sub_f32_e32 v2, v1, v4
                                        ; implicit-def: $vgpr1
	v_cmpx_ngt_f32_e32 0, v3
	s_xor_b32 s22, exec_lo, s22
	s_cbranch_execz .LBB19_27
; %bb.26:
	v_mul_f32_e64 v1, 0x3fb8aa3b, |v3|
	v_cmp_ngt_f32_e64 vcc_lo, 0xc2ce8ed0, |v3|
	v_mul_f32_e32 v2, 0.5, v2
	s_delay_alu instid0(VALU_DEP_3) | instskip(SKIP_1) | instid1(VALU_DEP_3)
	v_rndne_f32_e32 v4, v1
	v_fma_f32 v8, 0x3fb8aa3b, |v3|, -v1
	v_mul_f32_e64 v2, |v3|, v2
	s_delay_alu instid0(VALU_DEP_3) | instskip(NEXT) | instid1(VALU_DEP_3)
	v_sub_f32_e32 v1, v1, v4
	v_fma_f32 v8, 0x32a5705f, |v3|, v8
	v_cvt_i32_f32_e32 v4, v4
	s_delay_alu instid0(VALU_DEP_2) | instskip(NEXT) | instid1(VALU_DEP_1)
	v_add_f32_e32 v1, v1, v8
	v_exp_f32_e32 v1, v1
	s_waitcnt_depctr 0xfff
	v_ldexp_f32 v1, v1, v4
	s_delay_alu instid0(VALU_DEP_1) | instskip(SKIP_1) | instid1(VALU_DEP_2)
	v_cndmask_b32_e32 v1, 0, v1, vcc_lo
	v_cmp_nlt_f32_e64 vcc_lo, 0x42b17218, |v3|
                                        ; implicit-def: $vgpr3
	v_cndmask_b32_e32 v1, 0x7f800000, v1, vcc_lo
	s_delay_alu instid0(VALU_DEP_1)
	v_mul_f32_e32 v1, v1, v2
                                        ; implicit-def: $vgpr2
.LBB19_27:
	s_and_not1_saveexec_b32 s22, s22
	s_cbranch_execz .LBB19_29
; %bb.28:
	v_mul_f32_e64 v1, 0x3fb8aa3b, |v3|
	v_cmp_ngt_f32_e64 vcc_lo, 0xc2ce8ed0, |v3|
	v_mul_f32_e32 v2, -0.5, v2
	s_delay_alu instid0(VALU_DEP_3) | instskip(SKIP_1) | instid1(VALU_DEP_3)
	v_rndne_f32_e32 v4, v1
	v_fma_f32 v8, 0x3fb8aa3b, |v3|, -v1
	v_mul_f32_e64 v2, |v3|, v2
	s_delay_alu instid0(VALU_DEP_3) | instskip(NEXT) | instid1(VALU_DEP_3)
	v_sub_f32_e32 v1, v1, v4
	v_fma_f32 v8, 0x32a5705f, |v3|, v8
	v_cvt_i32_f32_e32 v4, v4
	s_delay_alu instid0(VALU_DEP_2) | instskip(NEXT) | instid1(VALU_DEP_1)
	v_add_f32_e32 v1, v1, v8
	v_exp_f32_e32 v1, v1
	s_waitcnt_depctr 0xfff
	v_ldexp_f32 v1, v1, v4
	s_delay_alu instid0(VALU_DEP_1) | instskip(SKIP_1) | instid1(VALU_DEP_2)
	v_cndmask_b32_e32 v1, 0, v1, vcc_lo
	v_cmp_nlt_f32_e64 vcc_lo, 0x42b17218, |v3|
	v_cndmask_b32_e32 v1, 0x7f800000, v1, vcc_lo
	s_delay_alu instid0(VALU_DEP_1)
	v_mul_f32_e32 v1, v1, v2
.LBB19_29:
	s_or_b32 exec_lo, exec_lo, s22
                                        ; implicit-def: $vgpr3
.LBB19_30:
	s_and_not1_saveexec_b32 s22, s2
	s_cbranch_execz .LBB19_36
; %bb.31:
	v_and_b32_e32 v1, 0x7fffffff, v3
	s_mov_b32 s2, 0x230aab6e
	s_delay_alu instid0(VALU_DEP_1) | instskip(NEXT) | instid1(VALU_DEP_1)
	v_div_scale_f32 v2, null, v1, v1, 0x42000000
	v_rcp_f32_e32 v4, v2
	s_waitcnt_depctr 0xfff
	v_fma_f32 v8, -v2, v4, 1.0
	s_delay_alu instid0(VALU_DEP_1) | instskip(SKIP_1) | instid1(VALU_DEP_1)
	v_fmac_f32_e32 v4, v8, v4
	v_div_scale_f32 v1, vcc_lo, 0x42000000, v1, 0x42000000
	v_mul_f32_e32 v8, v1, v4
	s_delay_alu instid0(VALU_DEP_1) | instskip(NEXT) | instid1(VALU_DEP_1)
	v_fma_f32 v9, -v2, v8, v1
	v_fmac_f32_e32 v8, v9, v4
	s_delay_alu instid0(VALU_DEP_1) | instskip(NEXT) | instid1(VALU_DEP_1)
	v_fma_f32 v1, -v2, v8, v1
	v_div_fmas_f32 v1, v1, v4, v8
	v_mul_f32_e64 v8, 0x3fb8aa3b, |v3|
	v_cmp_ngt_f32_e64 vcc_lo, 0xc2ce8ed0, |v3|
	s_delay_alu instid0(VALU_DEP_3) | instskip(NEXT) | instid1(VALU_DEP_3)
	v_div_fixup_f32 v1, v1, |v3|, 0x42000000
	v_rndne_f32_e32 v9, v8
	v_fma_f32 v10, 0x3fb8aa3b, |v3|, -v8
	s_delay_alu instid0(VALU_DEP_3) | instskip(NEXT) | instid1(VALU_DEP_3)
	v_add_f32_e32 v1, -2.0, v1
	v_sub_f32_e32 v8, v8, v9
	s_delay_alu instid0(VALU_DEP_3) | instskip(SKIP_1) | instid1(VALU_DEP_4)
	v_fma_f32 v10, 0x32a5705f, |v3|, v10
	v_cvt_i32_f32_e32 v9, v9
	v_fmaak_f32 v2, s2, v1, 0x22a2dc57
	v_cmp_nlt_f32_e64 s2, 0x42b17218, |v3|
	s_delay_alu instid0(VALU_DEP_4) | instskip(NEXT) | instid1(VALU_DEP_3)
	v_add_f32_e32 v8, v8, v10
	v_fmaak_f32 v4, v1, v2, 0xa30aab6e
	s_delay_alu instid0(VALU_DEP_2) | instskip(NEXT) | instid1(VALU_DEP_1)
	v_exp_f32_e32 v8, v8
	v_add_f32_e32 v4, 0xa456751e, v4
	s_delay_alu instid0(VALU_DEP_1) | instskip(NEXT) | instid1(VALU_DEP_1)
	v_fma_f32 v2, v1, v4, -v2
	v_add_f32_e32 v2, 0xa4140365, v2
	s_delay_alu instid0(VALU_DEP_1) | instskip(NEXT) | instid1(VALU_DEP_1)
	v_fma_f32 v4, v1, v2, -v4
	;; [unrolled: 3-line block ×21, first 2 shown]
	v_add_f32_e32 v2, 0xbc1fed03, v2
	s_delay_alu instid0(VALU_DEP_1) | instskip(SKIP_1) | instid1(VALU_DEP_1)
	v_fma_f32 v1, v1, v2, -v4
	v_ldexp_f32 v2, v8, v9
	v_dual_add_f32 v1, 0x3f4750c6, v1 :: v_dual_cndmask_b32 v2, 0, v2
	s_delay_alu instid0(VALU_DEP_1) | instskip(NEXT) | instid1(VALU_DEP_2)
	v_sub_f32_e32 v1, v1, v4
	v_cndmask_b32_e64 v2, 0x7f800000, v2, s2
	s_mov_b32 s2, exec_lo
	s_delay_alu instid0(VALU_DEP_2)
	v_mul_f32_e32 v4, 0.5, v1
                                        ; implicit-def: $vgpr1
	v_cmpx_ngt_f32_e32 0, v3
	s_xor_b32 s23, exec_lo, s2
	s_cbranch_execz .LBB19_33
; %bb.32:
	v_mul_f32_e64 v1, 0x4f800000, |v3|
	v_cmp_gt_f32_e64 vcc_lo, 0xf800000, |v3|
	v_mul_f32_e32 v2, v2, v4
	s_delay_alu instid0(VALU_DEP_2) | instskip(NEXT) | instid1(VALU_DEP_1)
	v_cndmask_b32_e64 v1, |v3|, v1, vcc_lo
	v_sqrt_f32_e32 v3, v1
	s_waitcnt_depctr 0xfff
	v_add_nc_u32_e32 v8, -1, v3
	v_add_nc_u32_e32 v9, 1, v3
	s_delay_alu instid0(VALU_DEP_2) | instskip(NEXT) | instid1(VALU_DEP_2)
	v_fma_f32 v10, -v8, v3, v1
	v_fma_f32 v11, -v9, v3, v1
	s_delay_alu instid0(VALU_DEP_2) | instskip(NEXT) | instid1(VALU_DEP_1)
	v_cmp_ge_f32_e64 s2, 0, v10
	v_cndmask_b32_e64 v3, v3, v8, s2
	s_delay_alu instid0(VALU_DEP_3) | instskip(NEXT) | instid1(VALU_DEP_1)
	v_cmp_lt_f32_e64 s2, 0, v11
	v_cndmask_b32_e64 v3, v3, v9, s2
	s_delay_alu instid0(VALU_DEP_1) | instskip(NEXT) | instid1(VALU_DEP_1)
	v_mul_f32_e32 v8, 0x37800000, v3
	v_cndmask_b32_e32 v3, v3, v8, vcc_lo
	v_cmp_class_f32_e64 vcc_lo, v1, 0x260
	s_delay_alu instid0(VALU_DEP_2) | instskip(NEXT) | instid1(VALU_DEP_1)
	v_cndmask_b32_e32 v1, v3, v1, vcc_lo
	v_div_scale_f32 v3, null, v1, v1, v2
	s_delay_alu instid0(VALU_DEP_1) | instskip(SKIP_2) | instid1(VALU_DEP_1)
	v_rcp_f32_e32 v4, v3
	s_waitcnt_depctr 0xfff
	v_fma_f32 v8, -v3, v4, 1.0
	v_fmac_f32_e32 v4, v8, v4
	v_div_scale_f32 v8, vcc_lo, v2, v1, v2
	s_delay_alu instid0(VALU_DEP_1) | instskip(NEXT) | instid1(VALU_DEP_1)
	v_mul_f32_e32 v9, v8, v4
	v_fma_f32 v10, -v3, v9, v8
	s_delay_alu instid0(VALU_DEP_1) | instskip(NEXT) | instid1(VALU_DEP_1)
	v_fmac_f32_e32 v9, v10, v4
	v_fma_f32 v3, -v3, v9, v8
	s_delay_alu instid0(VALU_DEP_1) | instskip(NEXT) | instid1(VALU_DEP_1)
	v_div_fmas_f32 v3, v3, v4, v9
                                        ; implicit-def: $vgpr4
	v_div_fixup_f32 v1, v3, v1, v2
                                        ; implicit-def: $vgpr3
                                        ; implicit-def: $vgpr2
.LBB19_33:
	s_and_not1_saveexec_b32 s23, s23
	s_cbranch_execz .LBB19_35
; %bb.34:
	v_mul_f32_e64 v1, 0x4f800000, |v3|
	v_cmp_gt_f32_e64 vcc_lo, 0xf800000, |v3|
	v_mul_f32_e64 v2, v4, -v2
	s_delay_alu instid0(VALU_DEP_2) | instskip(NEXT) | instid1(VALU_DEP_1)
	v_cndmask_b32_e64 v1, |v3|, v1, vcc_lo
	v_sqrt_f32_e32 v3, v1
	s_waitcnt_depctr 0xfff
	v_add_nc_u32_e32 v8, -1, v3
	v_add_nc_u32_e32 v9, 1, v3
	s_delay_alu instid0(VALU_DEP_2) | instskip(NEXT) | instid1(VALU_DEP_2)
	v_fma_f32 v10, -v8, v3, v1
	v_fma_f32 v11, -v9, v3, v1
	s_delay_alu instid0(VALU_DEP_2) | instskip(NEXT) | instid1(VALU_DEP_1)
	v_cmp_ge_f32_e64 s2, 0, v10
	v_cndmask_b32_e64 v3, v3, v8, s2
	s_delay_alu instid0(VALU_DEP_3) | instskip(NEXT) | instid1(VALU_DEP_1)
	v_cmp_lt_f32_e64 s2, 0, v11
	v_cndmask_b32_e64 v3, v3, v9, s2
	s_delay_alu instid0(VALU_DEP_1) | instskip(NEXT) | instid1(VALU_DEP_1)
	v_mul_f32_e32 v8, 0x37800000, v3
	v_cndmask_b32_e32 v3, v3, v8, vcc_lo
	v_cmp_class_f32_e64 vcc_lo, v1, 0x260
	s_delay_alu instid0(VALU_DEP_2) | instskip(NEXT) | instid1(VALU_DEP_1)
	v_cndmask_b32_e32 v1, v3, v1, vcc_lo
	v_div_scale_f32 v3, null, v1, v1, v2
	s_delay_alu instid0(VALU_DEP_1) | instskip(SKIP_2) | instid1(VALU_DEP_1)
	v_rcp_f32_e32 v4, v3
	s_waitcnt_depctr 0xfff
	v_fma_f32 v8, -v3, v4, 1.0
	v_fmac_f32_e32 v4, v8, v4
	v_div_scale_f32 v8, vcc_lo, v2, v1, v2
	s_delay_alu instid0(VALU_DEP_1) | instskip(NEXT) | instid1(VALU_DEP_1)
	v_mul_f32_e32 v9, v8, v4
	v_fma_f32 v10, -v3, v9, v8
	s_delay_alu instid0(VALU_DEP_1) | instskip(NEXT) | instid1(VALU_DEP_1)
	v_fmac_f32_e32 v9, v10, v4
	v_fma_f32 v3, -v3, v9, v8
	s_delay_alu instid0(VALU_DEP_1) | instskip(NEXT) | instid1(VALU_DEP_1)
	v_div_fmas_f32 v3, v3, v4, v9
	v_div_fixup_f32 v1, v3, v1, v2
.LBB19_35:
	s_or_b32 exec_lo, exec_lo, s23
.LBB19_36:
	s_delay_alu instid0(SALU_CYCLE_1) | instskip(SKIP_2) | instid1(VALU_DEP_1)
	s_or_b32 exec_lo, exec_lo, s22
	v_and_b32_e32 v8, 0xff, v5
	v_add_co_u32 v3, s22, s4, v0
	v_add_co_ci_u32_e64 v4, null, s5, 0, s22
	s_delay_alu instid0(VALU_DEP_3)
	v_cmp_gt_i16_e32 vcc_lo, 11, v8
	s_mov_b32 s2, 0
	s_mov_b32 s23, -1
	s_mov_b32 s22, 0
	s_cbranch_vccnz .LBB19_113
; %bb.37:
	v_cmp_lt_i16_e32 vcc_lo, 25, v8
	s_cbranch_vccz .LBB19_70
; %bb.38:
	v_cmp_lt_i16_e32 vcc_lo, 28, v8
	s_cbranch_vccz .LBB19_53
	;; [unrolled: 3-line block ×4, first 2 shown]
; %bb.41:
	v_cmp_eq_u16_e32 vcc_lo, 46, v8
	s_mov_b32 s23, 0
	s_mov_b32 s2, -1
	s_cbranch_vccz .LBB19_43
; %bb.42:
	v_bfe_u32 v0, v1, 16, 1
	v_cmp_o_f32_e32 vcc_lo, v1, v1
	s_mov_b32 s22, -1
	s_mov_b32 s2, 0
	s_delay_alu instid0(VALU_DEP_2) | instskip(NEXT) | instid1(VALU_DEP_1)
	v_add3_u32 v0, v1, v0, 0x7fff
	v_lshrrev_b32_e32 v0, 16, v0
	s_delay_alu instid0(VALU_DEP_1)
	v_cndmask_b32_e32 v0, 0x7fc0, v0, vcc_lo
	global_store_b32 v[3:4], v0, off
.LBB19_43:
	s_and_b32 vcc_lo, exec_lo, s23
	s_cbranch_vccz .LBB19_48
; %bb.44:
	v_cmp_eq_u16_e32 vcc_lo, 44, v8
	s_mov_b32 s2, -1
	s_cbranch_vccz .LBB19_48
; %bb.45:
	v_bfe_u32 v2, v1, 23, 8
	v_mov_b32_e32 v0, 0xff
	s_mov_b32 s22, exec_lo
	s_delay_alu instid0(VALU_DEP_2)
	v_cmpx_ne_u32_e32 0xff, v2
; %bb.46:
	v_and_b32_e32 v0, 0x400000, v1
	v_and_or_b32 v2, 0x3fffff, v1, v2
	s_delay_alu instid0(VALU_DEP_2) | instskip(NEXT) | instid1(VALU_DEP_2)
	v_cmp_ne_u32_e32 vcc_lo, 0, v0
	v_cmp_ne_u32_e64 s2, 0, v2
	v_lshrrev_b32_e32 v0, 23, v1
	s_delay_alu instid0(VALU_DEP_2) | instskip(NEXT) | instid1(SALU_CYCLE_1)
	s_and_b32 s2, vcc_lo, s2
	v_cndmask_b32_e64 v2, 0, 1, s2
	s_delay_alu instid0(VALU_DEP_1)
	v_add_nc_u32_e32 v0, v0, v2
; %bb.47:
	s_or_b32 exec_lo, exec_lo, s22
	s_mov_b32 s22, -1
	s_mov_b32 s2, 0
	global_store_b8 v[3:4], v0, off
.LBB19_48:
	s_mov_b32 s23, 0
.LBB19_49:
	s_delay_alu instid0(SALU_CYCLE_1)
	s_and_b32 vcc_lo, exec_lo, s23
	s_cbranch_vccz .LBB19_52
; %bb.50:
	v_cmp_eq_u16_e32 vcc_lo, 29, v8
	s_mov_b32 s2, -1
	s_cbranch_vccz .LBB19_52
; %bb.51:
	v_trunc_f32_e32 v0, v1
	s_mov_b32 s22, -1
	s_mov_b32 s2, 0
	s_delay_alu instid0(VALU_DEP_1) | instskip(NEXT) | instid1(VALU_DEP_1)
	v_mul_f32_e32 v2, 0x2f800000, v0
	v_floor_f32_e32 v2, v2
	s_delay_alu instid0(VALU_DEP_1) | instskip(SKIP_1) | instid1(VALU_DEP_2)
	v_fmamk_f32 v0, v2, 0xcf800000, v0
	v_cvt_u32_f32_e32 v10, v2
	v_cvt_u32_f32_e32 v9, v0
	global_store_b64 v[3:4], v[9:10], off
.LBB19_52:
	s_mov_b32 s23, 0
.LBB19_53:
	s_delay_alu instid0(SALU_CYCLE_1)
	s_and_b32 vcc_lo, exec_lo, s23
	s_cbranch_vccz .LBB19_69
; %bb.54:
	v_cmp_gt_i16_e32 vcc_lo, 27, v8
	s_mov_b32 s22, -1
	s_cbranch_vccnz .LBB19_60
; %bb.55:
	v_cmp_lt_i16_e32 vcc_lo, 27, v8
	s_cbranch_vccz .LBB19_57
; %bb.56:
	v_cvt_u32_f32_e32 v0, v1
	s_mov_b32 s22, 0
	global_store_b32 v[3:4], v0, off
.LBB19_57:
	s_and_not1_b32 vcc_lo, exec_lo, s22
	s_cbranch_vccnz .LBB19_59
; %bb.58:
	v_cvt_u32_f32_e32 v0, v1
	global_store_b16 v[3:4], v0, off
.LBB19_59:
	s_mov_b32 s22, 0
.LBB19_60:
	s_delay_alu instid0(SALU_CYCLE_1)
	s_and_not1_b32 vcc_lo, exec_lo, s22
	s_cbranch_vccnz .LBB19_68
; %bb.61:
	v_and_b32_e32 v0, 0x7fffffff, v1
	v_mov_b32_e32 v2, 0x80
	s_mov_b32 s22, exec_lo
	s_delay_alu instid0(VALU_DEP_2)
	v_cmpx_gt_u32_e32 0x43800000, v0
	s_cbranch_execz .LBB19_67
; %bb.62:
	v_cmp_lt_u32_e32 vcc_lo, 0x3bffffff, v0
	s_mov_b32 s23, 0
                                        ; implicit-def: $vgpr0
	s_and_saveexec_b32 s34, vcc_lo
	s_delay_alu instid0(SALU_CYCLE_1)
	s_xor_b32 s34, exec_lo, s34
	s_cbranch_execz .LBB19_162
; %bb.63:
	v_bfe_u32 v0, v1, 20, 1
	s_mov_b32 s23, exec_lo
	s_delay_alu instid0(VALU_DEP_1) | instskip(NEXT) | instid1(VALU_DEP_1)
	v_add3_u32 v0, v1, v0, 0x487ffff
	v_lshrrev_b32_e32 v0, 20, v0
	s_or_saveexec_b32 s34, s34
                                        ; implicit-def: $sgpr35
	s_delay_alu instid0(SALU_CYCLE_1)
	s_xor_b32 exec_lo, exec_lo, s34
	s_cbranch_execnz .LBB19_163
.LBB19_64:
	s_or_b32 exec_lo, exec_lo, s34
	v_mov_b32_e32 v2, s35
	s_and_saveexec_b32 s34, s23
.LBB19_65:
	v_lshrrev_b32_e32 v2, 24, v1
	s_delay_alu instid0(VALU_DEP_1)
	v_and_or_b32 v2, 0x80, v2, v0
.LBB19_66:
	s_or_b32 exec_lo, exec_lo, s34
.LBB19_67:
	s_delay_alu instid0(SALU_CYCLE_1)
	s_or_b32 exec_lo, exec_lo, s22
	global_store_b8 v[3:4], v2, off
.LBB19_68:
	s_mov_b32 s22, -1
.LBB19_69:
	s_mov_b32 s23, 0
.LBB19_70:
	s_delay_alu instid0(SALU_CYCLE_1)
	s_and_b32 vcc_lo, exec_lo, s23
	s_cbranch_vccz .LBB19_111
; %bb.71:
	v_cmp_lt_i16_e32 vcc_lo, 22, v8
	s_mov_b32 s23, -1
	s_cbranch_vccz .LBB19_103
; %bb.72:
	v_cmp_gt_i16_e32 vcc_lo, 24, v8
	s_mov_b32 s22, -1
	s_cbranch_vccnz .LBB19_92
; %bb.73:
	v_cmp_lt_i16_e32 vcc_lo, 24, v8
	s_cbranch_vccz .LBB19_81
; %bb.74:
	v_and_b32_e32 v0, 0x7fffffff, v1
	v_mov_b32_e32 v2, 0x80
	s_mov_b32 s22, exec_lo
	s_delay_alu instid0(VALU_DEP_2)
	v_cmpx_gt_u32_e32 0x47800000, v0
	s_cbranch_execz .LBB19_80
; %bb.75:
	v_cmp_lt_u32_e32 vcc_lo, 0x37ffffff, v0
	s_mov_b32 s23, 0
                                        ; implicit-def: $vgpr0
	s_and_saveexec_b32 s34, vcc_lo
	s_delay_alu instid0(SALU_CYCLE_1)
	s_xor_b32 s34, exec_lo, s34
	s_cbranch_execz .LBB19_365
; %bb.76:
	v_bfe_u32 v0, v1, 21, 1
	s_mov_b32 s23, exec_lo
	s_delay_alu instid0(VALU_DEP_1) | instskip(NEXT) | instid1(VALU_DEP_1)
	v_add3_u32 v0, v1, v0, 0x88fffff
	v_lshrrev_b32_e32 v0, 21, v0
	s_or_saveexec_b32 s34, s34
                                        ; implicit-def: $sgpr35
	s_delay_alu instid0(SALU_CYCLE_1)
	s_xor_b32 exec_lo, exec_lo, s34
	s_cbranch_execnz .LBB19_366
.LBB19_77:
	s_or_b32 exec_lo, exec_lo, s34
	v_mov_b32_e32 v2, s35
	s_and_saveexec_b32 s34, s23
.LBB19_78:
	v_lshrrev_b32_e32 v2, 24, v1
	s_delay_alu instid0(VALU_DEP_1)
	v_and_or_b32 v2, 0x80, v2, v0
.LBB19_79:
	s_or_b32 exec_lo, exec_lo, s34
.LBB19_80:
	s_delay_alu instid0(SALU_CYCLE_1)
	s_or_b32 exec_lo, exec_lo, s22
	s_mov_b32 s22, 0
	global_store_b8 v[3:4], v2, off
.LBB19_81:
	s_and_b32 vcc_lo, exec_lo, s22
	s_cbranch_vccz .LBB19_91
; %bb.82:
	v_and_b32_e32 v2, 0x7fffffff, v1
	s_mov_b32 s22, exec_lo
                                        ; implicit-def: $vgpr0
	s_delay_alu instid0(VALU_DEP_1)
	v_cmpx_gt_u32_e32 0x43f00000, v2
	s_xor_b32 s22, exec_lo, s22
	s_cbranch_execz .LBB19_88
; %bb.83:
	s_mov_b32 s23, exec_lo
                                        ; implicit-def: $vgpr0
	v_cmpx_lt_u32_e32 0x3c7fffff, v2
	s_xor_b32 s23, exec_lo, s23
; %bb.84:
	v_bfe_u32 v0, v1, 20, 1
	s_delay_alu instid0(VALU_DEP_1) | instskip(NEXT) | instid1(VALU_DEP_1)
	v_add3_u32 v0, v1, v0, 0x407ffff
	v_and_b32_e32 v2, 0xff00000, v0
	v_lshrrev_b32_e32 v0, 20, v0
	s_delay_alu instid0(VALU_DEP_2) | instskip(NEXT) | instid1(VALU_DEP_2)
	v_cmp_ne_u32_e32 vcc_lo, 0x7f00000, v2
	v_cndmask_b32_e32 v0, 0x7e, v0, vcc_lo
; %bb.85:
	s_and_not1_saveexec_b32 s23, s23
; %bb.86:
	v_add_f32_e64 v0, 0x46800000, |v1|
; %bb.87:
	s_or_b32 exec_lo, exec_lo, s23
                                        ; implicit-def: $vgpr2
.LBB19_88:
	s_and_not1_saveexec_b32 s22, s22
; %bb.89:
	v_mov_b32_e32 v0, 0x7f
	v_cmp_lt_u32_e32 vcc_lo, 0x7f800000, v2
	s_delay_alu instid0(VALU_DEP_2)
	v_cndmask_b32_e32 v0, 0x7e, v0, vcc_lo
; %bb.90:
	s_or_b32 exec_lo, exec_lo, s22
	v_lshrrev_b32_e32 v2, 24, v1
	s_delay_alu instid0(VALU_DEP_1)
	v_and_or_b32 v0, 0x80, v2, v0
	global_store_b8 v[3:4], v0, off
.LBB19_91:
	s_mov_b32 s22, 0
.LBB19_92:
	s_delay_alu instid0(SALU_CYCLE_1)
	s_and_not1_b32 vcc_lo, exec_lo, s22
	s_cbranch_vccnz .LBB19_102
; %bb.93:
	v_and_b32_e32 v2, 0x7fffffff, v1
	s_mov_b32 s22, exec_lo
                                        ; implicit-def: $vgpr0
	s_delay_alu instid0(VALU_DEP_1)
	v_cmpx_gt_u32_e32 0x47800000, v2
	s_xor_b32 s22, exec_lo, s22
	s_cbranch_execz .LBB19_99
; %bb.94:
	s_mov_b32 s23, exec_lo
                                        ; implicit-def: $vgpr0
	v_cmpx_lt_u32_e32 0x387fffff, v2
	s_xor_b32 s23, exec_lo, s23
; %bb.95:
	v_bfe_u32 v0, v1, 21, 1
	s_delay_alu instid0(VALU_DEP_1) | instskip(NEXT) | instid1(VALU_DEP_1)
	v_add3_u32 v0, v1, v0, 0x80fffff
	v_lshrrev_b32_e32 v0, 21, v0
; %bb.96:
	s_and_not1_saveexec_b32 s23, s23
; %bb.97:
	v_add_f32_e64 v0, 0x43000000, |v1|
; %bb.98:
	s_or_b32 exec_lo, exec_lo, s23
                                        ; implicit-def: $vgpr2
.LBB19_99:
	s_and_not1_saveexec_b32 s22, s22
; %bb.100:
	v_mov_b32_e32 v0, 0x7f
	v_cmp_lt_u32_e32 vcc_lo, 0x7f800000, v2
	s_delay_alu instid0(VALU_DEP_2)
	v_cndmask_b32_e32 v0, 0x7c, v0, vcc_lo
; %bb.101:
	s_or_b32 exec_lo, exec_lo, s22
	v_lshrrev_b32_e32 v2, 24, v1
	s_delay_alu instid0(VALU_DEP_1)
	v_and_or_b32 v0, 0x80, v2, v0
	global_store_b8 v[3:4], v0, off
.LBB19_102:
	s_mov_b32 s23, 0
	s_mov_b32 s22, -1
.LBB19_103:
	s_and_not1_b32 vcc_lo, exec_lo, s23
	s_cbranch_vccnz .LBB19_111
; %bb.104:
	v_cmp_lt_i16_e32 vcc_lo, 14, v8
	s_mov_b32 s23, -1
	s_cbranch_vccz .LBB19_108
; %bb.105:
	v_cmp_eq_u16_e32 vcc_lo, 15, v8
	s_mov_b32 s2, -1
	s_cbranch_vccz .LBB19_107
; %bb.106:
	v_bfe_u32 v0, v1, 16, 1
	v_cmp_o_f32_e32 vcc_lo, v1, v1
	s_mov_b32 s22, -1
	s_mov_b32 s2, 0
	s_delay_alu instid0(VALU_DEP_2) | instskip(NEXT) | instid1(VALU_DEP_1)
	v_add3_u32 v0, v1, v0, 0x7fff
	v_lshrrev_b32_e32 v0, 16, v0
	s_delay_alu instid0(VALU_DEP_1)
	v_cndmask_b32_e32 v0, 0x7fc0, v0, vcc_lo
	global_store_b16 v[3:4], v0, off
.LBB19_107:
	s_mov_b32 s23, 0
.LBB19_108:
	s_delay_alu instid0(SALU_CYCLE_1)
	s_and_b32 vcc_lo, exec_lo, s23
	s_cbranch_vccz .LBB19_111
; %bb.109:
	v_cmp_eq_u16_e32 vcc_lo, 11, v8
	s_mov_b32 s2, -1
	s_cbranch_vccz .LBB19_111
; %bb.110:
	v_cmp_neq_f32_e32 vcc_lo, 0, v1
	s_mov_b32 s2, 0
	s_mov_b32 s22, -1
	v_cndmask_b32_e64 v0, 0, 1, vcc_lo
	global_store_b8 v[3:4], v0, off
.LBB19_111:
.LBB19_112:
	s_and_not1_b32 vcc_lo, exec_lo, s22
	s_cbranch_vccz .LBB19_152
	s_branch .LBB19_273
.LBB19_113:
	s_and_b32 vcc_lo, exec_lo, s23
	s_cbranch_vccz .LBB19_112
; %bb.114:
	v_cmp_gt_i16_e32 vcc_lo, 5, v8
	s_mov_b32 s22, -1
	s_cbranch_vccnz .LBB19_135
; %bb.115:
	v_cmp_gt_i16_e32 vcc_lo, 8, v8
	s_cbranch_vccnz .LBB19_125
; %bb.116:
	v_cmp_gt_i16_e32 vcc_lo, 9, v8
	s_cbranch_vccnz .LBB19_122
; %bb.117:
	v_cmp_lt_i16_e32 vcc_lo, 9, v8
	s_cbranch_vccz .LBB19_119
; %bb.118:
	v_cvt_f64_f32_e32 v[9:10], v1
	v_mov_b32_e32 v11, 0
	s_mov_b32 s22, 0
	s_delay_alu instid0(VALU_DEP_1)
	v_mov_b32_e32 v12, v11
	global_store_b128 v[3:4], v[9:12], off
.LBB19_119:
	s_and_not1_b32 vcc_lo, exec_lo, s22
	s_cbranch_vccnz .LBB19_121
; %bb.120:
	v_mov_b32_e32 v2, 0
	global_store_b64 v[3:4], v[1:2], off
.LBB19_121:
	s_mov_b32 s22, 0
.LBB19_122:
	s_delay_alu instid0(SALU_CYCLE_1)
	s_and_not1_b32 vcc_lo, exec_lo, s22
	s_cbranch_vccnz .LBB19_124
; %bb.123:
	v_cvt_f16_f32_e32 v0, v1
	s_delay_alu instid0(VALU_DEP_1)
	v_and_b32_e32 v0, 0xffff, v0
	global_store_b32 v[3:4], v0, off
.LBB19_124:
	s_mov_b32 s22, 0
.LBB19_125:
	s_delay_alu instid0(SALU_CYCLE_1)
	s_and_not1_b32 vcc_lo, exec_lo, s22
	s_cbranch_vccnz .LBB19_134
; %bb.126:
	v_cmp_gt_i16_e32 vcc_lo, 6, v8
	s_mov_b32 s22, -1
	s_cbranch_vccnz .LBB19_132
; %bb.127:
	v_cmp_lt_i16_e32 vcc_lo, 6, v8
	s_cbranch_vccz .LBB19_129
; %bb.128:
	v_cvt_f64_f32_e32 v[9:10], v1
	s_mov_b32 s22, 0
	global_store_b64 v[3:4], v[9:10], off
.LBB19_129:
	s_and_not1_b32 vcc_lo, exec_lo, s22
	s_cbranch_vccnz .LBB19_131
; %bb.130:
	global_store_b32 v[3:4], v1, off
.LBB19_131:
	s_mov_b32 s22, 0
.LBB19_132:
	s_delay_alu instid0(SALU_CYCLE_1)
	s_and_not1_b32 vcc_lo, exec_lo, s22
	s_cbranch_vccnz .LBB19_134
; %bb.133:
	v_cvt_f16_f32_e32 v0, v1
	global_store_b16 v[3:4], v0, off
.LBB19_134:
	s_mov_b32 s22, 0
.LBB19_135:
	s_delay_alu instid0(SALU_CYCLE_1)
	s_and_not1_b32 vcc_lo, exec_lo, s22
	s_cbranch_vccnz .LBB19_151
; %bb.136:
	v_cmp_gt_i16_e32 vcc_lo, 2, v8
	s_mov_b32 s22, -1
	s_cbranch_vccnz .LBB19_146
; %bb.137:
	v_cmp_gt_i16_e32 vcc_lo, 3, v8
	s_cbranch_vccnz .LBB19_143
; %bb.138:
	v_cmp_lt_i16_e32 vcc_lo, 3, v8
	s_cbranch_vccz .LBB19_140
; %bb.139:
	v_trunc_f32_e32 v0, v1
	s_mov_b32 s22, 0
	s_delay_alu instid0(VALU_DEP_1) | instskip(NEXT) | instid1(VALU_DEP_1)
	v_mul_f32_e64 v2, 0x2f800000, |v0|
	v_floor_f32_e32 v2, v2
	s_delay_alu instid0(VALU_DEP_1) | instskip(SKIP_2) | instid1(VALU_DEP_3)
	v_fma_f32 v9, 0xcf800000, v2, |v0|
	v_ashrrev_i32_e32 v0, 31, v0
	v_cvt_u32_f32_e32 v2, v2
	v_cvt_u32_f32_e32 v9, v9
	s_delay_alu instid0(VALU_DEP_2) | instskip(NEXT) | instid1(VALU_DEP_2)
	v_xor_b32_e32 v2, v2, v0
	v_xor_b32_e32 v9, v9, v0
	s_delay_alu instid0(VALU_DEP_1) | instskip(NEXT) | instid1(VALU_DEP_3)
	v_sub_co_u32 v9, vcc_lo, v9, v0
	v_sub_co_ci_u32_e32 v10, vcc_lo, v2, v0, vcc_lo
	global_store_b64 v[3:4], v[9:10], off
.LBB19_140:
	s_and_not1_b32 vcc_lo, exec_lo, s22
	s_cbranch_vccnz .LBB19_142
; %bb.141:
	v_cvt_i32_f32_e32 v0, v1
	global_store_b32 v[3:4], v0, off
.LBB19_142:
	s_mov_b32 s22, 0
.LBB19_143:
	s_delay_alu instid0(SALU_CYCLE_1)
	s_and_not1_b32 vcc_lo, exec_lo, s22
	s_cbranch_vccnz .LBB19_145
; %bb.144:
	v_cvt_i32_f32_e32 v0, v1
	global_store_b16 v[3:4], v0, off
.LBB19_145:
	s_mov_b32 s22, 0
.LBB19_146:
	s_delay_alu instid0(SALU_CYCLE_1)
	s_and_not1_b32 vcc_lo, exec_lo, s22
	s_cbranch_vccnz .LBB19_151
; %bb.147:
	v_cmp_lt_i16_e32 vcc_lo, 0, v8
	s_mov_b32 s22, -1
	s_cbranch_vccz .LBB19_149
; %bb.148:
	v_cvt_i32_f32_e32 v0, v1
	s_mov_b32 s22, 0
	global_store_b8 v[3:4], v0, off
.LBB19_149:
	s_and_not1_b32 vcc_lo, exec_lo, s22
	s_cbranch_vccnz .LBB19_151
; %bb.150:
	v_trunc_f32_e32 v0, v1
	s_delay_alu instid0(VALU_DEP_1) | instskip(NEXT) | instid1(VALU_DEP_1)
	v_mul_f32_e64 v1, 0x2f800000, |v0|
	v_floor_f32_e32 v1, v1
	s_delay_alu instid0(VALU_DEP_1) | instskip(SKIP_1) | instid1(VALU_DEP_2)
	v_fma_f32 v1, 0xcf800000, v1, |v0|
	v_ashrrev_i32_e32 v0, 31, v0
	v_cvt_u32_f32_e32 v1, v1
	s_delay_alu instid0(VALU_DEP_1) | instskip(NEXT) | instid1(VALU_DEP_1)
	v_xor_b32_e32 v1, v1, v0
	v_sub_nc_u32_e32 v0, v1, v0
	global_store_b8 v[3:4], v0, off
.LBB19_151:
.LBB19_152:
	v_add_nc_u32_e32 v7, 0x80, v7
	s_mov_b32 s22, -1
	s_branch .LBB19_274
.LBB19_153:
	s_mov_b32 s2, 0
                                        ; implicit-def: $vgpr3
	s_cbranch_execnz .LBB19_190
	s_branch .LBB19_224
.LBB19_154:
	s_mov_b32 s22, -1
	s_mov_b32 s2, 0
                                        ; implicit-def: $vgpr3
	s_branch .LBB19_171
.LBB19_155:
	s_mov_b32 s22, -1
	s_mov_b32 s2, 0
                                        ; implicit-def: $vgpr3
	s_branch .LBB19_166
.LBB19_156:
	s_mov_b32 s22, -1
	s_branch .LBB19_158
.LBB19_157:
	s_mov_b32 s3, -1
.LBB19_158:
	s_mov_b32 s2, 0
                                        ; implicit-def: $vgpr3
.LBB19_159:
	s_and_b32 vcc_lo, exec_lo, s22
	s_cbranch_vccz .LBB19_165
; %bb.160:
	v_cmp_eq_u16_e32 vcc_lo, 44, v6
	s_cbranch_vccz .LBB19_164
; %bb.161:
	global_load_u8 v3, v[1:2], off
	s_mov_b32 s3, 0
	s_mov_b32 s2, -1
	s_waitcnt vmcnt(0)
	v_lshlrev_b32_e32 v4, 23, v3
	v_cmp_ne_u32_e32 vcc_lo, 0xff, v3
	s_delay_alu instid0(VALU_DEP_2) | instskip(SKIP_1) | instid1(VALU_DEP_2)
	v_cndmask_b32_e32 v4, 0x7f800001, v4, vcc_lo
	v_cmp_ne_u32_e32 vcc_lo, 0, v3
	v_cndmask_b32_e32 v3, 0x400000, v4, vcc_lo
	s_branch .LBB19_165
.LBB19_162:
	s_or_saveexec_b32 s34, s34
                                        ; implicit-def: $sgpr35
	s_delay_alu instid0(SALU_CYCLE_1)
	s_xor_b32 exec_lo, exec_lo, s34
	s_cbranch_execz .LBB19_64
.LBB19_163:
	v_add_f32_e64 v0, 0x46000000, |v1|
	s_and_not1_b32 s23, s23, exec_lo
	s_mov_b32 s35, 0
	s_delay_alu instid0(VALU_DEP_1) | instskip(NEXT) | instid1(VALU_DEP_1)
	v_and_b32_e32 v0, 0xff, v0
	v_cmp_ne_u32_e32 vcc_lo, 0, v0
	s_and_b32 s38, vcc_lo, exec_lo
	s_delay_alu instid0(SALU_CYCLE_1)
	s_or_b32 s23, s23, s38
	s_or_b32 exec_lo, exec_lo, s34
	v_mov_b32_e32 v2, s35
	s_and_saveexec_b32 s34, s23
	s_cbranch_execnz .LBB19_65
	s_branch .LBB19_66
.LBB19_164:
	s_mov_b32 s3, -1
                                        ; implicit-def: $vgpr3
.LBB19_165:
	s_mov_b32 s22, 0
.LBB19_166:
	s_delay_alu instid0(SALU_CYCLE_1)
	s_and_b32 vcc_lo, exec_lo, s22
	s_cbranch_vccz .LBB19_170
; %bb.167:
	v_cmp_eq_u16_e32 vcc_lo, 29, v6
	s_cbranch_vccz .LBB19_169
; %bb.168:
	global_load_b64 v[3:4], v[1:2], off
	s_mov_b32 s2, -1
	s_mov_b32 s3, 0
	s_mov_b32 s22, 0
	s_waitcnt vmcnt(0)
	v_clz_i32_u32_e32 v8, v4
	s_delay_alu instid0(VALU_DEP_1) | instskip(NEXT) | instid1(VALU_DEP_1)
	v_min_u32_e32 v8, 32, v8
	v_lshlrev_b64 v[3:4], v8, v[3:4]
	s_delay_alu instid0(VALU_DEP_1) | instskip(NEXT) | instid1(VALU_DEP_1)
	v_min_u32_e32 v3, 1, v3
	v_or_b32_e32 v3, v4, v3
	v_sub_nc_u32_e32 v4, 32, v8
	s_delay_alu instid0(VALU_DEP_2) | instskip(NEXT) | instid1(VALU_DEP_1)
	v_cvt_f32_u32_e32 v3, v3
	v_ldexp_f32 v3, v3, v4
	s_branch .LBB19_171
.LBB19_169:
	s_mov_b32 s3, -1
                                        ; implicit-def: $vgpr3
.LBB19_170:
	s_mov_b32 s22, 0
.LBB19_171:
	s_delay_alu instid0(SALU_CYCLE_1)
	s_and_b32 vcc_lo, exec_lo, s22
	s_cbranch_vccz .LBB19_189
; %bb.172:
	v_cmp_gt_i16_e32 vcc_lo, 27, v6
	s_cbranch_vccnz .LBB19_175
; %bb.173:
	v_cmp_lt_i16_e32 vcc_lo, 27, v6
	s_cbranch_vccz .LBB19_176
; %bb.174:
	global_load_b32 v3, v[1:2], off
	s_mov_b32 s2, 0
	s_waitcnt vmcnt(0)
	v_cvt_f32_u32_e32 v3, v3
	s_branch .LBB19_177
.LBB19_175:
	s_mov_b32 s2, -1
                                        ; implicit-def: $vgpr3
	s_branch .LBB19_180
.LBB19_176:
	s_mov_b32 s2, -1
                                        ; implicit-def: $vgpr3
.LBB19_177:
	s_delay_alu instid0(SALU_CYCLE_1)
	s_and_not1_b32 vcc_lo, exec_lo, s2
	s_cbranch_vccnz .LBB19_179
; %bb.178:
	global_load_u16 v3, v[1:2], off
	s_waitcnt vmcnt(0)
	v_cvt_f32_u32_e32 v3, v3
.LBB19_179:
	s_mov_b32 s2, 0
.LBB19_180:
	s_delay_alu instid0(SALU_CYCLE_1)
	s_and_not1_b32 vcc_lo, exec_lo, s2
	s_cbranch_vccnz .LBB19_188
; %bb.181:
	global_load_u8 v4, v[1:2], off
	s_mov_b32 s2, 0
	s_mov_b32 s23, exec_lo
                                        ; implicit-def: $sgpr22
	s_waitcnt vmcnt(0)
	v_cmpx_lt_i16_e32 0x7f, v4
	s_xor_b32 s23, exec_lo, s23
	s_cbranch_execz .LBB19_201
; %bb.182:
	s_mov_b32 s2, -1
	s_mov_b32 s34, exec_lo
                                        ; implicit-def: $sgpr22
	v_cmpx_eq_u16_e32 0x80, v4
; %bb.183:
	s_mov_b32 s22, 0x7f800001
	s_xor_b32 s2, exec_lo, -1
; %bb.184:
	s_or_b32 exec_lo, exec_lo, s34
	s_delay_alu instid0(SALU_CYCLE_1)
	s_and_b32 s2, s2, exec_lo
	s_or_saveexec_b32 s23, s23
	v_mov_b32_e32 v3, s22
	s_xor_b32 exec_lo, exec_lo, s23
	s_cbranch_execnz .LBB19_202
.LBB19_185:
	s_or_b32 exec_lo, exec_lo, s23
	s_and_saveexec_b32 s22, s2
	s_cbranch_execz .LBB19_187
.LBB19_186:
	v_and_b32_e32 v3, 0xffff, v4
	v_lshlrev_b32_e32 v4, 24, v4
	s_delay_alu instid0(VALU_DEP_2) | instskip(NEXT) | instid1(VALU_DEP_2)
	v_and_b32_e32 v8, 7, v3
	v_and_b32_e32 v4, 0x80000000, v4
	s_delay_alu instid0(VALU_DEP_2) | instskip(NEXT) | instid1(VALU_DEP_1)
	v_clz_i32_u32_e32 v9, v8
	v_min_u32_e32 v9, 32, v9
	s_delay_alu instid0(VALU_DEP_1) | instskip(SKIP_1) | instid1(VALU_DEP_2)
	v_subrev_nc_u32_e32 v10, 28, v9
	v_sub_nc_u32_e32 v9, 29, v9
	v_lshlrev_b32_e32 v10, v10, v3
	v_bfe_u32 v3, v3, 3, 4
	s_delay_alu instid0(VALU_DEP_2) | instskip(NEXT) | instid1(VALU_DEP_2)
	v_and_b32_e32 v10, 7, v10
	v_cmp_eq_u32_e32 vcc_lo, 0, v3
	s_delay_alu instid0(VALU_DEP_2) | instskip(NEXT) | instid1(VALU_DEP_1)
	v_dual_cndmask_b32 v3, v3, v9 :: v_dual_cndmask_b32 v8, v8, v10
	v_lshl_add_u32 v3, v3, 23, 0x3b800000
	s_delay_alu instid0(VALU_DEP_2) | instskip(NEXT) | instid1(VALU_DEP_1)
	v_lshlrev_b32_e32 v8, 20, v8
	v_or3_b32 v3, v4, v3, v8
.LBB19_187:
	s_or_b32 exec_lo, exec_lo, s22
.LBB19_188:
	s_mov_b32 s2, -1
.LBB19_189:
	s_branch .LBB19_224
.LBB19_190:
	v_cmp_lt_i16_e32 vcc_lo, 22, v6
	s_cbranch_vccz .LBB19_200
; %bb.191:
	v_cmp_gt_i16_e32 vcc_lo, 24, v6
	s_cbranch_vccnz .LBB19_203
; %bb.192:
	v_cmp_lt_i16_e32 vcc_lo, 24, v6
	s_cbranch_vccz .LBB19_204
; %bb.193:
	global_load_u8 v4, v[1:2], off
	s_mov_b32 s2, 0
	s_mov_b32 s23, exec_lo
                                        ; implicit-def: $sgpr22
	s_waitcnt vmcnt(0)
	v_cmpx_lt_i16_e32 0x7f, v4
	s_xor_b32 s23, exec_lo, s23
	s_cbranch_execz .LBB19_216
; %bb.194:
	s_mov_b32 s2, -1
	s_mov_b32 s34, exec_lo
                                        ; implicit-def: $sgpr22
	v_cmpx_eq_u16_e32 0x80, v4
; %bb.195:
	s_mov_b32 s22, 0x7f800001
	s_xor_b32 s2, exec_lo, -1
; %bb.196:
	s_or_b32 exec_lo, exec_lo, s34
	s_delay_alu instid0(SALU_CYCLE_1)
	s_and_b32 s2, s2, exec_lo
	s_or_saveexec_b32 s23, s23
	v_mov_b32_e32 v3, s22
	s_xor_b32 exec_lo, exec_lo, s23
	s_cbranch_execnz .LBB19_217
.LBB19_197:
	s_or_b32 exec_lo, exec_lo, s23
	s_and_saveexec_b32 s22, s2
	s_cbranch_execz .LBB19_199
.LBB19_198:
	v_and_b32_e32 v3, 0xffff, v4
	v_lshlrev_b32_e32 v4, 24, v4
	s_delay_alu instid0(VALU_DEP_2) | instskip(NEXT) | instid1(VALU_DEP_2)
	v_and_b32_e32 v8, 3, v3
	v_and_b32_e32 v4, 0x80000000, v4
	s_delay_alu instid0(VALU_DEP_2) | instskip(NEXT) | instid1(VALU_DEP_1)
	v_clz_i32_u32_e32 v9, v8
	v_min_u32_e32 v9, 32, v9
	s_delay_alu instid0(VALU_DEP_1) | instskip(SKIP_1) | instid1(VALU_DEP_2)
	v_subrev_nc_u32_e32 v10, 29, v9
	v_sub_nc_u32_e32 v9, 30, v9
	v_lshlrev_b32_e32 v10, v10, v3
	v_bfe_u32 v3, v3, 2, 5
	s_delay_alu instid0(VALU_DEP_2) | instskip(NEXT) | instid1(VALU_DEP_2)
	v_and_b32_e32 v10, 3, v10
	v_cmp_eq_u32_e32 vcc_lo, 0, v3
	s_delay_alu instid0(VALU_DEP_2) | instskip(NEXT) | instid1(VALU_DEP_1)
	v_dual_cndmask_b32 v3, v3, v9 :: v_dual_cndmask_b32 v8, v8, v10
	v_lshl_add_u32 v3, v3, 23, 0x37800000
	s_delay_alu instid0(VALU_DEP_2) | instskip(NEXT) | instid1(VALU_DEP_1)
	v_lshlrev_b32_e32 v8, 21, v8
	v_or3_b32 v3, v4, v3, v8
.LBB19_199:
	s_or_b32 exec_lo, exec_lo, s22
	s_mov_b32 s2, 0
	s_branch .LBB19_205
.LBB19_200:
	s_mov_b32 s22, -1
                                        ; implicit-def: $vgpr3
	s_branch .LBB19_211
.LBB19_201:
	s_or_saveexec_b32 s23, s23
	v_mov_b32_e32 v3, s22
	s_xor_b32 exec_lo, exec_lo, s23
	s_cbranch_execz .LBB19_185
.LBB19_202:
	v_cmp_ne_u16_e32 vcc_lo, 0, v4
	v_mov_b32_e32 v3, 0
	s_and_not1_b32 s2, s2, exec_lo
	s_and_b32 s22, vcc_lo, exec_lo
	s_delay_alu instid0(SALU_CYCLE_1)
	s_or_b32 s2, s2, s22
	s_or_b32 exec_lo, exec_lo, s23
	s_and_saveexec_b32 s22, s2
	s_cbranch_execnz .LBB19_186
	s_branch .LBB19_187
.LBB19_203:
	s_mov_b32 s2, -1
                                        ; implicit-def: $vgpr3
	s_branch .LBB19_208
.LBB19_204:
	s_mov_b32 s2, -1
                                        ; implicit-def: $vgpr3
.LBB19_205:
	s_delay_alu instid0(SALU_CYCLE_1)
	s_and_b32 vcc_lo, exec_lo, s2
	s_cbranch_vccz .LBB19_207
; %bb.206:
	global_load_u8 v3, v[1:2], off
	s_waitcnt vmcnt(0)
	v_lshlrev_b32_e32 v3, 24, v3
	s_delay_alu instid0(VALU_DEP_1) | instskip(NEXT) | instid1(VALU_DEP_1)
	v_and_b32_e32 v4, 0x7f000000, v3
	v_clz_i32_u32_e32 v8, v4
	v_add_nc_u32_e32 v10, 0x1000000, v4
	v_cmp_ne_u32_e32 vcc_lo, 0, v4
	s_delay_alu instid0(VALU_DEP_3) | instskip(NEXT) | instid1(VALU_DEP_1)
	v_min_u32_e32 v8, 32, v8
	v_sub_nc_u32_e64 v8, v8, 4 clamp
	s_delay_alu instid0(VALU_DEP_1) | instskip(SKIP_1) | instid1(VALU_DEP_2)
	v_lshlrev_b32_e32 v9, v8, v4
	v_lshlrev_b32_e32 v8, 23, v8
	v_lshrrev_b32_e32 v9, 4, v9
	s_delay_alu instid0(VALU_DEP_1) | instskip(SKIP_1) | instid1(VALU_DEP_2)
	v_sub_nc_u32_e32 v8, v9, v8
	v_ashrrev_i32_e32 v9, 8, v10
	v_add_nc_u32_e32 v8, 0x3c000000, v8
	s_delay_alu instid0(VALU_DEP_1) | instskip(NEXT) | instid1(VALU_DEP_1)
	v_and_or_b32 v8, 0x7f800000, v9, v8
	v_cndmask_b32_e32 v4, 0, v8, vcc_lo
	s_delay_alu instid0(VALU_DEP_1)
	v_and_or_b32 v3, 0x80000000, v3, v4
.LBB19_207:
	s_mov_b32 s2, 0
.LBB19_208:
	s_delay_alu instid0(SALU_CYCLE_1)
	s_and_not1_b32 vcc_lo, exec_lo, s2
	s_cbranch_vccnz .LBB19_210
; %bb.209:
	global_load_u8 v3, v[1:2], off
	s_waitcnt vmcnt(0)
	v_lshlrev_b32_e32 v4, 25, v3
	v_lshlrev_b16 v3, 8, v3
	s_delay_alu instid0(VALU_DEP_1) | instskip(SKIP_1) | instid1(VALU_DEP_2)
	v_and_or_b32 v9, 0x7f00, v3, 0.5
	v_bfe_i32 v3, v3, 0, 16
	v_add_f32_e32 v9, -0.5, v9
	v_lshrrev_b32_e32 v8, 4, v4
	v_cmp_gt_u32_e32 vcc_lo, 0x8000000, v4
	s_delay_alu instid0(VALU_DEP_2) | instskip(NEXT) | instid1(VALU_DEP_1)
	v_or_b32_e32 v8, 0x70000000, v8
	v_mul_f32_e32 v8, 0x7800000, v8
	s_delay_alu instid0(VALU_DEP_1) | instskip(NEXT) | instid1(VALU_DEP_1)
	v_cndmask_b32_e32 v4, v8, v9, vcc_lo
	v_and_or_b32 v3, 0x80000000, v3, v4
.LBB19_210:
	s_mov_b32 s22, 0
	s_mov_b32 s2, -1
.LBB19_211:
	s_and_not1_b32 vcc_lo, exec_lo, s22
	s_cbranch_vccnz .LBB19_224
; %bb.212:
	v_cmp_lt_i16_e32 vcc_lo, 14, v6
	s_cbranch_vccz .LBB19_215
; %bb.213:
	v_cmp_eq_u16_e32 vcc_lo, 15, v6
	s_cbranch_vccz .LBB19_218
; %bb.214:
	global_load_u16 v3, v[1:2], off
	s_mov_b32 s2, -1
	s_mov_b32 s3, 0
	s_waitcnt vmcnt(0)
	v_lshlrev_b32_e32 v3, 16, v3
	s_branch .LBB19_219
.LBB19_215:
	s_mov_b32 s22, -1
                                        ; implicit-def: $vgpr3
	s_branch .LBB19_220
.LBB19_216:
	s_or_saveexec_b32 s23, s23
	v_mov_b32_e32 v3, s22
	s_xor_b32 exec_lo, exec_lo, s23
	s_cbranch_execz .LBB19_197
.LBB19_217:
	v_cmp_ne_u16_e32 vcc_lo, 0, v4
	v_mov_b32_e32 v3, 0
	s_and_not1_b32 s2, s2, exec_lo
	s_and_b32 s22, vcc_lo, exec_lo
	s_delay_alu instid0(SALU_CYCLE_1)
	s_or_b32 s2, s2, s22
	s_or_b32 exec_lo, exec_lo, s23
	s_and_saveexec_b32 s22, s2
	s_cbranch_execnz .LBB19_198
	s_branch .LBB19_199
.LBB19_218:
	s_mov_b32 s3, -1
                                        ; implicit-def: $vgpr3
.LBB19_219:
	s_mov_b32 s22, 0
.LBB19_220:
	s_delay_alu instid0(SALU_CYCLE_1)
	s_and_b32 vcc_lo, exec_lo, s22
	s_cbranch_vccz .LBB19_224
; %bb.221:
	v_cmp_eq_u16_e32 vcc_lo, 11, v6
	s_cbranch_vccz .LBB19_223
; %bb.222:
	global_load_u8 v3, v[1:2], off
	s_mov_b32 s3, 0
	s_mov_b32 s2, -1
	s_waitcnt vmcnt(0)
	v_cmp_ne_u16_e32 vcc_lo, 0, v3
	v_cndmask_b32_e64 v3, 0, 1.0, vcc_lo
	s_branch .LBB19_224
.LBB19_223:
	s_mov_b32 s3, -1
                                        ; implicit-def: $vgpr3
.LBB19_224:
	s_branch .LBB19_23
.LBB19_225:
	v_cmp_gt_i16_e32 vcc_lo, 5, v6
	s_cbranch_vccnz .LBB19_230
; %bb.226:
	v_cmp_gt_i16_e32 vcc_lo, 8, v6
	s_cbranch_vccnz .LBB19_231
; %bb.227:
	;; [unrolled: 3-line block ×3, first 2 shown]
	v_cmp_lt_i16_e32 vcc_lo, 9, v6
	s_cbranch_vccz .LBB19_233
; %bb.229:
	global_load_b64 v[3:4], v[1:2], off
	s_mov_b32 s2, 0
	s_waitcnt vmcnt(0)
	v_cvt_f32_f64_e32 v3, v[3:4]
	s_branch .LBB19_234
.LBB19_230:
                                        ; implicit-def: $vgpr3
	s_branch .LBB19_252
.LBB19_231:
	s_mov_b32 s2, -1
                                        ; implicit-def: $vgpr3
	s_branch .LBB19_240
.LBB19_232:
	s_mov_b32 s2, -1
                                        ; implicit-def: $vgpr3
	s_branch .LBB19_237
.LBB19_233:
	s_mov_b32 s2, -1
                                        ; implicit-def: $vgpr3
.LBB19_234:
	s_delay_alu instid0(SALU_CYCLE_1)
	s_and_not1_b32 vcc_lo, exec_lo, s2
	s_cbranch_vccnz .LBB19_236
; %bb.235:
	global_load_b32 v3, v[1:2], off
.LBB19_236:
	s_mov_b32 s2, 0
.LBB19_237:
	s_delay_alu instid0(SALU_CYCLE_1)
	s_and_not1_b32 vcc_lo, exec_lo, s2
	s_cbranch_vccnz .LBB19_239
; %bb.238:
	global_load_b32 v3, v[1:2], off
	s_waitcnt vmcnt(0)
	v_cvt_f32_f16_e32 v3, v3
.LBB19_239:
	s_mov_b32 s2, 0
.LBB19_240:
	s_delay_alu instid0(SALU_CYCLE_1)
	s_and_not1_b32 vcc_lo, exec_lo, s2
	s_cbranch_vccnz .LBB19_251
; %bb.241:
	v_cmp_gt_i16_e32 vcc_lo, 6, v6
	s_cbranch_vccnz .LBB19_244
; %bb.242:
	v_cmp_lt_i16_e32 vcc_lo, 6, v6
	s_cbranch_vccz .LBB19_245
; %bb.243:
	global_load_b64 v[3:4], v[1:2], off
	s_mov_b32 s2, 0
	s_waitcnt vmcnt(0)
	v_cvt_f32_f64_e32 v3, v[3:4]
	s_branch .LBB19_246
.LBB19_244:
	s_mov_b32 s2, -1
                                        ; implicit-def: $vgpr3
	s_branch .LBB19_249
.LBB19_245:
	s_mov_b32 s2, -1
                                        ; implicit-def: $vgpr3
.LBB19_246:
	s_delay_alu instid0(SALU_CYCLE_1)
	s_and_not1_b32 vcc_lo, exec_lo, s2
	s_cbranch_vccnz .LBB19_248
; %bb.247:
	global_load_b32 v3, v[1:2], off
.LBB19_248:
	s_mov_b32 s2, 0
.LBB19_249:
	s_delay_alu instid0(SALU_CYCLE_1)
	s_and_not1_b32 vcc_lo, exec_lo, s2
	s_cbranch_vccnz .LBB19_251
; %bb.250:
	global_load_u16 v3, v[1:2], off
	s_waitcnt vmcnt(0)
	v_cvt_f32_f16_e32 v3, v3
.LBB19_251:
	s_cbranch_execnz .LBB19_271
.LBB19_252:
	v_cmp_gt_i16_e32 vcc_lo, 2, v6
	s_cbranch_vccnz .LBB19_256
; %bb.253:
	v_cmp_gt_i16_e32 vcc_lo, 3, v6
	s_cbranch_vccnz .LBB19_257
; %bb.254:
	v_cmp_lt_i16_e32 vcc_lo, 3, v6
	s_cbranch_vccz .LBB19_258
; %bb.255:
	global_load_b64 v[3:4], v[1:2], off
	s_mov_b32 s2, 0
	s_waitcnt vmcnt(0)
	v_xor_b32_e32 v8, v3, v4
	v_cls_i32_e32 v9, v4
	s_delay_alu instid0(VALU_DEP_2) | instskip(NEXT) | instid1(VALU_DEP_2)
	v_ashrrev_i32_e32 v8, 31, v8
	v_add_nc_u32_e32 v9, -1, v9
	s_delay_alu instid0(VALU_DEP_2) | instskip(NEXT) | instid1(VALU_DEP_1)
	v_add_nc_u32_e32 v8, 32, v8
	v_min_u32_e32 v8, v9, v8
	s_delay_alu instid0(VALU_DEP_1) | instskip(NEXT) | instid1(VALU_DEP_1)
	v_lshlrev_b64 v[3:4], v8, v[3:4]
	v_min_u32_e32 v3, 1, v3
	s_delay_alu instid0(VALU_DEP_1) | instskip(SKIP_1) | instid1(VALU_DEP_2)
	v_or_b32_e32 v3, v4, v3
	v_sub_nc_u32_e32 v4, 32, v8
	v_cvt_f32_i32_e32 v3, v3
	s_delay_alu instid0(VALU_DEP_1)
	v_ldexp_f32 v3, v3, v4
	s_branch .LBB19_259
.LBB19_256:
	s_mov_b32 s2, -1
                                        ; implicit-def: $vgpr3
	s_branch .LBB19_265
.LBB19_257:
	s_mov_b32 s2, -1
                                        ; implicit-def: $vgpr3
	s_branch .LBB19_262
.LBB19_258:
	s_mov_b32 s2, -1
                                        ; implicit-def: $vgpr3
.LBB19_259:
	s_delay_alu instid0(SALU_CYCLE_1)
	s_and_not1_b32 vcc_lo, exec_lo, s2
	s_cbranch_vccnz .LBB19_261
; %bb.260:
	global_load_b32 v3, v[1:2], off
	s_waitcnt vmcnt(0)
	v_cvt_f32_i32_e32 v3, v3
.LBB19_261:
	s_mov_b32 s2, 0
.LBB19_262:
	s_delay_alu instid0(SALU_CYCLE_1)
	s_and_not1_b32 vcc_lo, exec_lo, s2
	s_cbranch_vccnz .LBB19_264
; %bb.263:
	global_load_i16 v3, v[1:2], off
	s_waitcnt vmcnt(0)
	v_cvt_f32_i32_e32 v3, v3
.LBB19_264:
	s_mov_b32 s2, 0
.LBB19_265:
	s_delay_alu instid0(SALU_CYCLE_1)
	s_and_not1_b32 vcc_lo, exec_lo, s2
	s_cbranch_vccnz .LBB19_271
; %bb.266:
	v_cmp_lt_i16_e32 vcc_lo, 0, v6
	s_mov_b32 s2, 0
	s_cbranch_vccz .LBB19_268
; %bb.267:
	global_load_i8 v3, v[1:2], off
	s_waitcnt vmcnt(0)
	v_cvt_f32_i32_e32 v3, v3
	s_branch .LBB19_269
.LBB19_268:
	s_mov_b32 s2, -1
                                        ; implicit-def: $vgpr3
.LBB19_269:
	s_delay_alu instid0(SALU_CYCLE_1)
	s_and_not1_b32 vcc_lo, exec_lo, s2
	s_cbranch_vccnz .LBB19_271
; %bb.270:
	global_load_u8 v1, v[1:2], off
	s_waitcnt vmcnt(0)
	v_cvt_f32_ubyte0_e32 v3, v1
.LBB19_271:
	s_branch .LBB19_24
.LBB19_272:
	s_mov_b32 s2, 0
.LBB19_273:
	s_mov_b32 s22, 0
                                        ; implicit-def: $vgpr7
.LBB19_274:
	s_and_b32 s34, s2, exec_lo
	s_and_b32 s35, s3, exec_lo
	s_or_not1_b32 s3, s22, exec_lo
.LBB19_275:
	s_or_b32 exec_lo, exec_lo, s36
	s_mov_b32 s22, 0
	s_mov_b32 s2, 0
                                        ; implicit-def: $vgpr1_vgpr2
                                        ; implicit-def: $vgpr0
                                        ; implicit-def: $vgpr8
	s_and_saveexec_b32 s36, s3
	s_cbranch_execz .LBB19_942
; %bb.276:
	s_mov_b32 s2, -1
	s_mov_b32 s37, s35
	s_mov_b32 s38, s34
	s_mov_b32 s39, exec_lo
	v_cmpx_gt_i32_e64 s30, v7
	s_cbranch_execz .LBB19_557
; %bb.277:
	s_and_not1_b32 vcc_lo, exec_lo, s27
	s_cbranch_vccnz .LBB19_282
; %bb.278:
	v_dual_mov_b32 v0, 0 :: v_dual_mov_b32 v1, 0
	s_and_not1_b32 vcc_lo, exec_lo, s33
	s_mov_b32 s37, 0
	s_cbranch_vccnz .LBB19_287
; %bb.279:
	v_mov_b32_e32 v0, 0
	s_add_i32 s40, s31, 1
	s_cmp_eq_u32 s25, 2
	s_mov_b32 s38, 0
	s_cbranch_scc1 .LBB19_283
; %bb.280:
	v_dual_mov_b32 v1, 0 :: v_dual_mov_b32 v0, 0
	v_mov_b32_e32 v2, v7
	s_and_b32 s38, s40, 28
	s_mov_b32 s41, 0
	s_mov_b64 s[2:3], s[20:21]
	s_mov_b64 s[22:23], s[16:17]
.LBB19_281:                             ; =>This Inner Loop Header: Depth=1
	s_clause 0x1
	s_load_b256 s[44:51], s[22:23], 0x4
	s_load_b128 s[60:63], s[22:23], 0x24
	s_load_b256 s[52:59], s[2:3], 0x0
	s_add_u32 s22, s22, 48
	s_addc_u32 s23, s23, 0
	s_add_i32 s41, s41, 4
	s_add_u32 s2, s2, 32
	s_addc_u32 s3, s3, 0
	s_cmp_eq_u32 s38, s41
	s_waitcnt vmcnt(0) lgkmcnt(0)
	v_mul_hi_u32 v3, s45, v2
	s_delay_alu instid0(VALU_DEP_1) | instskip(NEXT) | instid1(VALU_DEP_1)
	v_add_nc_u32_e32 v3, v2, v3
	v_lshrrev_b32_e32 v3, s46, v3
	s_delay_alu instid0(VALU_DEP_1) | instskip(SKIP_1) | instid1(VALU_DEP_2)
	v_mul_hi_u32 v4, s48, v3
	v_mul_lo_u32 v9, v3, s44
	v_add_nc_u32_e32 v4, v3, v4
	s_delay_alu instid0(VALU_DEP_2) | instskip(NEXT) | instid1(VALU_DEP_2)
	v_sub_nc_u32_e32 v2, v2, v9
	v_lshrrev_b32_e32 v4, s49, v4
	s_delay_alu instid0(VALU_DEP_2) | instskip(SKIP_1) | instid1(VALU_DEP_3)
	v_mul_lo_u32 v9, v2, s52
	v_mul_lo_u32 v11, v2, s53
	v_mul_hi_u32 v8, s51, v4
	s_delay_alu instid0(VALU_DEP_1) | instskip(NEXT) | instid1(VALU_DEP_1)
	v_add_nc_u32_e32 v8, v4, v8
	v_lshrrev_b32_e32 v8, s60, v8
	s_delay_alu instid0(VALU_DEP_1) | instskip(SKIP_1) | instid1(VALU_DEP_2)
	v_mul_hi_u32 v10, s62, v8
	v_mul_lo_u32 v12, v8, s50
	v_add_nc_u32_e32 v2, v8, v10
	v_mul_lo_u32 v10, v4, s47
	s_delay_alu instid0(VALU_DEP_3) | instskip(NEXT) | instid1(VALU_DEP_3)
	v_sub_nc_u32_e32 v4, v4, v12
	v_lshrrev_b32_e32 v2, s63, v2
	s_delay_alu instid0(VALU_DEP_2) | instskip(SKIP_2) | instid1(VALU_DEP_4)
	v_mul_lo_u32 v12, v4, s56
	v_mul_lo_u32 v4, v4, s57
	v_sub_nc_u32_e32 v3, v3, v10
	v_mul_lo_u32 v13, v2, s61
	s_delay_alu instid0(VALU_DEP_2) | instskip(SKIP_1) | instid1(VALU_DEP_3)
	v_mul_lo_u32 v10, v3, s54
	v_mul_lo_u32 v3, v3, s55
	v_sub_nc_u32_e32 v8, v8, v13
	s_delay_alu instid0(VALU_DEP_3) | instskip(NEXT) | instid1(VALU_DEP_2)
	v_add3_u32 v0, v9, v0, v10
	v_mul_lo_u32 v13, v8, s58
	v_mul_lo_u32 v8, v8, s59
	v_add3_u32 v1, v11, v1, v3
	s_delay_alu instid0(VALU_DEP_3) | instskip(NEXT) | instid1(VALU_DEP_2)
	v_add3_u32 v0, v12, v0, v13
	v_add3_u32 v1, v4, v1, v8
	s_cbranch_scc0 .LBB19_281
	s_branch .LBB19_284
.LBB19_282:
	s_mov_b32 s37, -1
                                        ; implicit-def: $vgpr0
                                        ; implicit-def: $vgpr1
	s_branch .LBB19_287
.LBB19_283:
	v_dual_mov_b32 v2, v7 :: v_dual_mov_b32 v1, 0
.LBB19_284:
	s_and_b32 s40, s40, 3
	s_delay_alu instid0(SALU_CYCLE_1)
	s_cmp_eq_u32 s40, 0
	s_cbranch_scc1 .LBB19_287
; %bb.285:
	s_lshl_b32 s2, s38, 3
	s_mul_i32 s22, s38, 12
	s_add_u32 s2, s2, s16
	s_addc_u32 s3, s17, 0
	s_add_u32 s2, s2, 0xc4
	s_addc_u32 s3, s3, 0
	;; [unrolled: 2-line block ×3, first 2 shown]
	.p2align	6
.LBB19_286:                             ; =>This Inner Loop Header: Depth=1
	s_clause 0x1
	s_load_b64 s[42:43], s[22:23], 0x4
	s_load_b32 s38, s[22:23], 0xc
	s_load_b64 s[44:45], s[2:3], 0x0
	s_add_u32 s22, s22, 12
	s_addc_u32 s23, s23, 0
	s_add_u32 s2, s2, 8
	s_addc_u32 s3, s3, 0
	s_add_i32 s40, s40, -1
	s_delay_alu instid0(SALU_CYCLE_1) | instskip(SKIP_2) | instid1(VALU_DEP_1)
	s_cmp_lg_u32 s40, 0
	s_waitcnt vmcnt(0) lgkmcnt(0)
	v_mul_hi_u32 v3, s43, v2
	v_add_nc_u32_e32 v3, v2, v3
	s_delay_alu instid0(VALU_DEP_1) | instskip(NEXT) | instid1(VALU_DEP_1)
	v_lshrrev_b32_e32 v10, s38, v3
	v_mul_lo_u32 v3, v10, s42
	s_delay_alu instid0(VALU_DEP_1) | instskip(NEXT) | instid1(VALU_DEP_1)
	v_sub_nc_u32_e32 v2, v2, v3
	v_mad_u64_u32 v[3:4], null, v2, s44, v[0:1]
	v_mad_u64_u32 v[8:9], null, v2, s45, v[1:2]
	v_mov_b32_e32 v2, v10
	s_delay_alu instid0(VALU_DEP_2)
	v_dual_mov_b32 v0, v3 :: v_dual_mov_b32 v1, v8
	s_cbranch_scc1 .LBB19_286
.LBB19_287:
	s_and_not1_b32 vcc_lo, exec_lo, s37
	s_cbranch_vccnz .LBB19_290
; %bb.288:
	s_waitcnt lgkmcnt(0)
	v_mul_hi_u32 v0, s13, v7
	s_and_not1_b32 vcc_lo, exec_lo, s29
	s_delay_alu instid0(VALU_DEP_1) | instskip(NEXT) | instid1(VALU_DEP_1)
	v_add_nc_u32_e32 v0, v7, v0
	v_lshrrev_b32_e32 v2, s14, v0
	s_delay_alu instid0(VALU_DEP_1) | instskip(NEXT) | instid1(VALU_DEP_1)
	v_mul_lo_u32 v0, v2, s12
	v_sub_nc_u32_e32 v1, v7, v0
	s_delay_alu instid0(VALU_DEP_1)
	v_mul_lo_u32 v0, v1, s8
	v_mul_lo_u32 v1, v1, s9
	s_cbranch_vccnz .LBB19_290
; %bb.289:
	s_waitcnt vmcnt(0)
	v_mul_hi_u32 v3, s18, v2
	s_delay_alu instid0(VALU_DEP_1) | instskip(NEXT) | instid1(VALU_DEP_1)
	v_add_nc_u32_e32 v3, v2, v3
	v_lshrrev_b32_e32 v3, s19, v3
	s_delay_alu instid0(VALU_DEP_1) | instskip(NEXT) | instid1(VALU_DEP_1)
	v_mul_lo_u32 v3, v3, s15
	v_sub_nc_u32_e32 v8, v2, v3
	s_delay_alu instid0(VALU_DEP_1) | instskip(NEXT) | instid1(VALU_DEP_1)
	v_mad_u64_u32 v[2:3], null, v8, s10, v[0:1]
	v_mad_u64_u32 v[3:4], null, v8, s11, v[1:2]
	s_delay_alu instid0(VALU_DEP_1)
	v_dual_mov_b32 v0, v2 :: v_dual_mov_b32 v1, v3
.LBB19_290:
	v_cmp_gt_i16_e32 vcc_lo, 11, v6
	s_waitcnt lgkmcnt(0)
	s_delay_alu instid0(VALU_DEP_2) | instskip(NEXT) | instid1(VALU_DEP_1)
	v_add_co_u32 v1, s2, s6, v1
	v_add_co_ci_u32_e64 v2, null, s7, 0, s2
	s_mov_b32 s2, 0
	s_cbranch_vccnz .LBB19_297
; %bb.291:
	v_cmp_lt_i16_e32 vcc_lo, 25, v6
	s_cbranch_vccz .LBB19_358
; %bb.292:
	v_cmp_lt_i16_e32 vcc_lo, 28, v6
	s_cbranch_vccz .LBB19_359
	;; [unrolled: 3-line block ×4, first 2 shown]
; %bb.295:
	v_cmp_eq_u16_e32 vcc_lo, 46, v6
	s_mov_b32 s22, 0
	s_cbranch_vccz .LBB19_367
; %bb.296:
	global_load_b32 v3, v[1:2], off
	s_mov_b32 s2, -1
	s_mov_b32 s3, 0
	s_waitcnt vmcnt(0)
	v_lshlrev_b32_e32 v3, 16, v3
	s_branch .LBB19_369
.LBB19_297:
	s_mov_b32 s3, s35
                                        ; implicit-def: $vgpr3
	s_cbranch_execnz .LBB19_506
.LBB19_298:
	s_and_not1_b32 vcc_lo, exec_lo, s2
	s_cbranch_vccnz .LBB19_554
.LBB19_299:
	s_waitcnt vmcnt(0)
	s_delay_alu instid0(VALU_DEP_1) | instskip(NEXT) | instid1(VALU_DEP_1)
	v_cmp_ge_f32_e64 s2, 0x41000000, |v3|
                                        ; implicit-def: $vgpr1
	s_and_saveexec_b32 s22, s2
	s_delay_alu instid0(SALU_CYCLE_1)
	s_xor_b32 s2, exec_lo, s22
	s_cbranch_execz .LBB19_305
; %bb.300:
	v_fma_f32 v1, |v3|, 0.5, -2.0
	s_mov_b32 s22, 0x224cf950
	s_delay_alu instid0(VALU_DEP_1) | instid1(SALU_CYCLE_1)
	v_fmaak_f32 v2, s22, v1, 0xa3c2be86
	s_mov_b32 s22, exec_lo
	s_delay_alu instid0(VALU_DEP_1) | instskip(NEXT) | instid1(VALU_DEP_1)
	v_fmaak_f32 v4, v1, v2, 0xa24cf950
	v_add_f32_e32 v4, 0x25331f1f, v4
	s_delay_alu instid0(VALU_DEP_1) | instskip(NEXT) | instid1(VALU_DEP_1)
	v_fma_f32 v2, v1, v4, -v2
	v_add_f32_e32 v2, 0xa69f5554, v2
	s_delay_alu instid0(VALU_DEP_1) | instskip(NEXT) | instid1(VALU_DEP_1)
	v_fma_f32 v4, v1, v2, -v4
	;; [unrolled: 3-line block ×26, first 2 shown]
	v_add_f32_e32 v1, 0x3e81531c, v1
	s_delay_alu instid0(VALU_DEP_1)
	v_sub_f32_e32 v2, v1, v4
                                        ; implicit-def: $vgpr1
	v_cmpx_ngt_f32_e32 0, v3
	s_xor_b32 s22, exec_lo, s22
	s_cbranch_execz .LBB19_302
; %bb.301:
	v_mul_f32_e64 v1, 0x3fb8aa3b, |v3|
	v_cmp_ngt_f32_e64 vcc_lo, 0xc2ce8ed0, |v3|
	v_mul_f32_e32 v2, 0.5, v2
	s_delay_alu instid0(VALU_DEP_3) | instskip(SKIP_1) | instid1(VALU_DEP_3)
	v_rndne_f32_e32 v4, v1
	v_fma_f32 v8, 0x3fb8aa3b, |v3|, -v1
	v_mul_f32_e64 v2, |v3|, v2
	s_delay_alu instid0(VALU_DEP_3) | instskip(NEXT) | instid1(VALU_DEP_3)
	v_sub_f32_e32 v1, v1, v4
	v_fma_f32 v8, 0x32a5705f, |v3|, v8
	v_cvt_i32_f32_e32 v4, v4
	s_delay_alu instid0(VALU_DEP_2) | instskip(NEXT) | instid1(VALU_DEP_1)
	v_add_f32_e32 v1, v1, v8
	v_exp_f32_e32 v1, v1
	s_waitcnt_depctr 0xfff
	v_ldexp_f32 v1, v1, v4
	s_delay_alu instid0(VALU_DEP_1) | instskip(SKIP_1) | instid1(VALU_DEP_2)
	v_cndmask_b32_e32 v1, 0, v1, vcc_lo
	v_cmp_nlt_f32_e64 vcc_lo, 0x42b17218, |v3|
                                        ; implicit-def: $vgpr3
	v_cndmask_b32_e32 v1, 0x7f800000, v1, vcc_lo
	s_delay_alu instid0(VALU_DEP_1)
	v_mul_f32_e32 v1, v1, v2
                                        ; implicit-def: $vgpr2
.LBB19_302:
	s_and_not1_saveexec_b32 s22, s22
	s_cbranch_execz .LBB19_304
; %bb.303:
	v_mul_f32_e64 v1, 0x3fb8aa3b, |v3|
	v_cmp_ngt_f32_e64 vcc_lo, 0xc2ce8ed0, |v3|
	v_mul_f32_e32 v2, -0.5, v2
	s_delay_alu instid0(VALU_DEP_3) | instskip(SKIP_1) | instid1(VALU_DEP_3)
	v_rndne_f32_e32 v4, v1
	v_fma_f32 v8, 0x3fb8aa3b, |v3|, -v1
	v_mul_f32_e64 v2, |v3|, v2
	s_delay_alu instid0(VALU_DEP_3) | instskip(NEXT) | instid1(VALU_DEP_3)
	v_sub_f32_e32 v1, v1, v4
	v_fma_f32 v8, 0x32a5705f, |v3|, v8
	v_cvt_i32_f32_e32 v4, v4
	s_delay_alu instid0(VALU_DEP_2) | instskip(NEXT) | instid1(VALU_DEP_1)
	v_add_f32_e32 v1, v1, v8
	v_exp_f32_e32 v1, v1
	s_waitcnt_depctr 0xfff
	v_ldexp_f32 v1, v1, v4
	s_delay_alu instid0(VALU_DEP_1) | instskip(SKIP_1) | instid1(VALU_DEP_2)
	v_cndmask_b32_e32 v1, 0, v1, vcc_lo
	v_cmp_nlt_f32_e64 vcc_lo, 0x42b17218, |v3|
	v_cndmask_b32_e32 v1, 0x7f800000, v1, vcc_lo
	s_delay_alu instid0(VALU_DEP_1)
	v_mul_f32_e32 v1, v1, v2
.LBB19_304:
	s_or_b32 exec_lo, exec_lo, s22
                                        ; implicit-def: $vgpr3
.LBB19_305:
	s_and_not1_saveexec_b32 s22, s2
	s_cbranch_execz .LBB19_311
; %bb.306:
	v_and_b32_e32 v1, 0x7fffffff, v3
	s_mov_b32 s2, 0x230aab6e
	s_delay_alu instid0(VALU_DEP_1) | instskip(NEXT) | instid1(VALU_DEP_1)
	v_div_scale_f32 v2, null, v1, v1, 0x42000000
	v_rcp_f32_e32 v4, v2
	s_waitcnt_depctr 0xfff
	v_fma_f32 v8, -v2, v4, 1.0
	s_delay_alu instid0(VALU_DEP_1) | instskip(SKIP_1) | instid1(VALU_DEP_1)
	v_fmac_f32_e32 v4, v8, v4
	v_div_scale_f32 v1, vcc_lo, 0x42000000, v1, 0x42000000
	v_mul_f32_e32 v8, v1, v4
	s_delay_alu instid0(VALU_DEP_1) | instskip(NEXT) | instid1(VALU_DEP_1)
	v_fma_f32 v9, -v2, v8, v1
	v_fmac_f32_e32 v8, v9, v4
	s_delay_alu instid0(VALU_DEP_1) | instskip(NEXT) | instid1(VALU_DEP_1)
	v_fma_f32 v1, -v2, v8, v1
	v_div_fmas_f32 v1, v1, v4, v8
	v_mul_f32_e64 v8, 0x3fb8aa3b, |v3|
	v_cmp_ngt_f32_e64 vcc_lo, 0xc2ce8ed0, |v3|
	s_delay_alu instid0(VALU_DEP_3) | instskip(NEXT) | instid1(VALU_DEP_3)
	v_div_fixup_f32 v1, v1, |v3|, 0x42000000
	v_rndne_f32_e32 v9, v8
	v_fma_f32 v10, 0x3fb8aa3b, |v3|, -v8
	s_delay_alu instid0(VALU_DEP_3) | instskip(NEXT) | instid1(VALU_DEP_3)
	v_add_f32_e32 v1, -2.0, v1
	v_sub_f32_e32 v8, v8, v9
	s_delay_alu instid0(VALU_DEP_3) | instskip(SKIP_1) | instid1(VALU_DEP_4)
	v_fma_f32 v10, 0x32a5705f, |v3|, v10
	v_cvt_i32_f32_e32 v9, v9
	v_fmaak_f32 v2, s2, v1, 0x22a2dc57
	v_cmp_nlt_f32_e64 s2, 0x42b17218, |v3|
	s_delay_alu instid0(VALU_DEP_4) | instskip(NEXT) | instid1(VALU_DEP_3)
	v_add_f32_e32 v8, v8, v10
	v_fmaak_f32 v4, v1, v2, 0xa30aab6e
	s_delay_alu instid0(VALU_DEP_2) | instskip(NEXT) | instid1(VALU_DEP_1)
	v_exp_f32_e32 v8, v8
	v_add_f32_e32 v4, 0xa456751e, v4
	s_delay_alu instid0(VALU_DEP_1) | instskip(NEXT) | instid1(VALU_DEP_1)
	v_fma_f32 v2, v1, v4, -v2
	v_add_f32_e32 v2, 0xa4140365, v2
	s_delay_alu instid0(VALU_DEP_1) | instskip(NEXT) | instid1(VALU_DEP_1)
	v_fma_f32 v4, v1, v2, -v4
	;; [unrolled: 3-line block ×21, first 2 shown]
	v_add_f32_e32 v2, 0xbc1fed03, v2
	s_delay_alu instid0(VALU_DEP_1) | instskip(SKIP_1) | instid1(VALU_DEP_1)
	v_fma_f32 v1, v1, v2, -v4
	v_ldexp_f32 v2, v8, v9
	v_dual_add_f32 v1, 0x3f4750c6, v1 :: v_dual_cndmask_b32 v2, 0, v2
	s_delay_alu instid0(VALU_DEP_1) | instskip(NEXT) | instid1(VALU_DEP_2)
	v_sub_f32_e32 v1, v1, v4
	v_cndmask_b32_e64 v2, 0x7f800000, v2, s2
	s_mov_b32 s2, exec_lo
	s_delay_alu instid0(VALU_DEP_2)
	v_mul_f32_e32 v4, 0.5, v1
                                        ; implicit-def: $vgpr1
	v_cmpx_ngt_f32_e32 0, v3
	s_xor_b32 s23, exec_lo, s2
	s_cbranch_execz .LBB19_308
; %bb.307:
	v_mul_f32_e64 v1, 0x4f800000, |v3|
	v_cmp_gt_f32_e64 vcc_lo, 0xf800000, |v3|
	v_mul_f32_e32 v2, v2, v4
	s_delay_alu instid0(VALU_DEP_2) | instskip(NEXT) | instid1(VALU_DEP_1)
	v_cndmask_b32_e64 v1, |v3|, v1, vcc_lo
	v_sqrt_f32_e32 v3, v1
	s_waitcnt_depctr 0xfff
	v_add_nc_u32_e32 v8, -1, v3
	v_add_nc_u32_e32 v9, 1, v3
	s_delay_alu instid0(VALU_DEP_2) | instskip(NEXT) | instid1(VALU_DEP_2)
	v_fma_f32 v10, -v8, v3, v1
	v_fma_f32 v11, -v9, v3, v1
	s_delay_alu instid0(VALU_DEP_2) | instskip(NEXT) | instid1(VALU_DEP_1)
	v_cmp_ge_f32_e64 s2, 0, v10
	v_cndmask_b32_e64 v3, v3, v8, s2
	s_delay_alu instid0(VALU_DEP_3) | instskip(NEXT) | instid1(VALU_DEP_1)
	v_cmp_lt_f32_e64 s2, 0, v11
	v_cndmask_b32_e64 v3, v3, v9, s2
	s_delay_alu instid0(VALU_DEP_1) | instskip(NEXT) | instid1(VALU_DEP_1)
	v_mul_f32_e32 v8, 0x37800000, v3
	v_cndmask_b32_e32 v3, v3, v8, vcc_lo
	v_cmp_class_f32_e64 vcc_lo, v1, 0x260
	s_delay_alu instid0(VALU_DEP_2) | instskip(NEXT) | instid1(VALU_DEP_1)
	v_cndmask_b32_e32 v1, v3, v1, vcc_lo
	v_div_scale_f32 v3, null, v1, v1, v2
	s_delay_alu instid0(VALU_DEP_1) | instskip(SKIP_2) | instid1(VALU_DEP_1)
	v_rcp_f32_e32 v4, v3
	s_waitcnt_depctr 0xfff
	v_fma_f32 v8, -v3, v4, 1.0
	v_fmac_f32_e32 v4, v8, v4
	v_div_scale_f32 v8, vcc_lo, v2, v1, v2
	s_delay_alu instid0(VALU_DEP_1) | instskip(NEXT) | instid1(VALU_DEP_1)
	v_mul_f32_e32 v9, v8, v4
	v_fma_f32 v10, -v3, v9, v8
	s_delay_alu instid0(VALU_DEP_1) | instskip(NEXT) | instid1(VALU_DEP_1)
	v_fmac_f32_e32 v9, v10, v4
	v_fma_f32 v3, -v3, v9, v8
	s_delay_alu instid0(VALU_DEP_1) | instskip(NEXT) | instid1(VALU_DEP_1)
	v_div_fmas_f32 v3, v3, v4, v9
                                        ; implicit-def: $vgpr4
	v_div_fixup_f32 v1, v3, v1, v2
                                        ; implicit-def: $vgpr3
                                        ; implicit-def: $vgpr2
.LBB19_308:
	s_and_not1_saveexec_b32 s23, s23
	s_cbranch_execz .LBB19_310
; %bb.309:
	v_mul_f32_e64 v1, 0x4f800000, |v3|
	v_cmp_gt_f32_e64 vcc_lo, 0xf800000, |v3|
	v_mul_f32_e64 v2, v4, -v2
	s_delay_alu instid0(VALU_DEP_2) | instskip(NEXT) | instid1(VALU_DEP_1)
	v_cndmask_b32_e64 v1, |v3|, v1, vcc_lo
	v_sqrt_f32_e32 v3, v1
	s_waitcnt_depctr 0xfff
	v_add_nc_u32_e32 v8, -1, v3
	v_add_nc_u32_e32 v9, 1, v3
	s_delay_alu instid0(VALU_DEP_2) | instskip(NEXT) | instid1(VALU_DEP_2)
	v_fma_f32 v10, -v8, v3, v1
	v_fma_f32 v11, -v9, v3, v1
	s_delay_alu instid0(VALU_DEP_2) | instskip(NEXT) | instid1(VALU_DEP_1)
	v_cmp_ge_f32_e64 s2, 0, v10
	v_cndmask_b32_e64 v3, v3, v8, s2
	s_delay_alu instid0(VALU_DEP_3) | instskip(NEXT) | instid1(VALU_DEP_1)
	v_cmp_lt_f32_e64 s2, 0, v11
	v_cndmask_b32_e64 v3, v3, v9, s2
	s_delay_alu instid0(VALU_DEP_1) | instskip(NEXT) | instid1(VALU_DEP_1)
	v_mul_f32_e32 v8, 0x37800000, v3
	v_cndmask_b32_e32 v3, v3, v8, vcc_lo
	v_cmp_class_f32_e64 vcc_lo, v1, 0x260
	s_delay_alu instid0(VALU_DEP_2) | instskip(NEXT) | instid1(VALU_DEP_1)
	v_cndmask_b32_e32 v1, v3, v1, vcc_lo
	v_div_scale_f32 v3, null, v1, v1, v2
	s_delay_alu instid0(VALU_DEP_1) | instskip(SKIP_2) | instid1(VALU_DEP_1)
	v_rcp_f32_e32 v4, v3
	s_waitcnt_depctr 0xfff
	v_fma_f32 v8, -v3, v4, 1.0
	v_fmac_f32_e32 v4, v8, v4
	v_div_scale_f32 v8, vcc_lo, v2, v1, v2
	s_delay_alu instid0(VALU_DEP_1) | instskip(NEXT) | instid1(VALU_DEP_1)
	v_mul_f32_e32 v9, v8, v4
	v_fma_f32 v10, -v3, v9, v8
	s_delay_alu instid0(VALU_DEP_1) | instskip(NEXT) | instid1(VALU_DEP_1)
	v_fmac_f32_e32 v9, v10, v4
	v_fma_f32 v3, -v3, v9, v8
	s_delay_alu instid0(VALU_DEP_1) | instskip(NEXT) | instid1(VALU_DEP_1)
	v_div_fmas_f32 v3, v3, v4, v9
	v_div_fixup_f32 v1, v3, v1, v2
.LBB19_310:
	s_or_b32 exec_lo, exec_lo, s23
.LBB19_311:
	s_delay_alu instid0(SALU_CYCLE_1) | instskip(SKIP_2) | instid1(VALU_DEP_1)
	s_or_b32 exec_lo, exec_lo, s22
	v_and_b32_e32 v8, 0xff, v5
	v_add_co_u32 v3, s2, s4, v0
	v_add_co_ci_u32_e64 v4, null, s5, 0, s2
	s_delay_alu instid0(VALU_DEP_3)
	v_cmp_gt_i16_e32 vcc_lo, 11, v8
	s_mov_b32 s22, 0
	s_mov_b32 s23, -1
	s_mov_b32 s2, s34
	s_cbranch_vccnz .LBB19_318
; %bb.312:
	v_cmp_lt_i16_e32 vcc_lo, 25, v8
	s_cbranch_vccz .LBB19_360
; %bb.313:
	v_cmp_lt_i16_e32 vcc_lo, 28, v8
	s_cbranch_vccz .LBB19_362
	;; [unrolled: 3-line block ×4, first 2 shown]
; %bb.316:
	v_cmp_eq_u16_e32 vcc_lo, 46, v8
	s_mov_b32 s23, 0
	s_mov_b32 s2, -1
	s_cbranch_vccz .LBB19_373
; %bb.317:
	v_bfe_u32 v0, v1, 16, 1
	v_cmp_o_f32_e32 vcc_lo, v1, v1
	s_mov_b32 s22, -1
	s_mov_b32 s2, 0
	s_delay_alu instid0(VALU_DEP_2) | instskip(NEXT) | instid1(VALU_DEP_1)
	v_add3_u32 v0, v1, v0, 0x7fff
	v_lshrrev_b32_e32 v0, 16, v0
	s_delay_alu instid0(VALU_DEP_1)
	v_cndmask_b32_e32 v0, 0x7fc0, v0, vcc_lo
	global_store_b32 v[3:4], v0, off
	s_branch .LBB19_373
.LBB19_318:
	s_and_b32 vcc_lo, exec_lo, s23
	s_cbranch_vccz .LBB19_442
; %bb.319:
	v_cmp_gt_i16_e32 vcc_lo, 5, v8
	s_mov_b32 s22, -1
	s_cbranch_vccnz .LBB19_340
; %bb.320:
	v_cmp_gt_i16_e32 vcc_lo, 8, v8
	s_cbranch_vccnz .LBB19_330
; %bb.321:
	v_cmp_gt_i16_e32 vcc_lo, 9, v8
	s_cbranch_vccnz .LBB19_327
; %bb.322:
	v_cmp_lt_i16_e32 vcc_lo, 9, v8
	s_cbranch_vccz .LBB19_324
; %bb.323:
	v_cvt_f64_f32_e32 v[9:10], v1
	v_mov_b32_e32 v11, 0
	s_mov_b32 s22, 0
	s_delay_alu instid0(VALU_DEP_1)
	v_mov_b32_e32 v12, v11
	global_store_b128 v[3:4], v[9:12], off
.LBB19_324:
	s_and_not1_b32 vcc_lo, exec_lo, s22
	s_cbranch_vccnz .LBB19_326
; %bb.325:
	v_mov_b32_e32 v2, 0
	global_store_b64 v[3:4], v[1:2], off
.LBB19_326:
	s_mov_b32 s22, 0
.LBB19_327:
	s_delay_alu instid0(SALU_CYCLE_1)
	s_and_not1_b32 vcc_lo, exec_lo, s22
	s_cbranch_vccnz .LBB19_329
; %bb.328:
	v_cvt_f16_f32_e32 v0, v1
	s_delay_alu instid0(VALU_DEP_1)
	v_and_b32_e32 v0, 0xffff, v0
	global_store_b32 v[3:4], v0, off
.LBB19_329:
	s_mov_b32 s22, 0
.LBB19_330:
	s_delay_alu instid0(SALU_CYCLE_1)
	s_and_not1_b32 vcc_lo, exec_lo, s22
	s_cbranch_vccnz .LBB19_339
; %bb.331:
	v_cmp_gt_i16_e32 vcc_lo, 6, v8
	s_mov_b32 s22, -1
	s_cbranch_vccnz .LBB19_337
; %bb.332:
	v_cmp_lt_i16_e32 vcc_lo, 6, v8
	s_cbranch_vccz .LBB19_334
; %bb.333:
	v_cvt_f64_f32_e32 v[9:10], v1
	s_mov_b32 s22, 0
	global_store_b64 v[3:4], v[9:10], off
.LBB19_334:
	s_and_not1_b32 vcc_lo, exec_lo, s22
	s_cbranch_vccnz .LBB19_336
; %bb.335:
	global_store_b32 v[3:4], v1, off
.LBB19_336:
	s_mov_b32 s22, 0
.LBB19_337:
	s_delay_alu instid0(SALU_CYCLE_1)
	s_and_not1_b32 vcc_lo, exec_lo, s22
	s_cbranch_vccnz .LBB19_339
; %bb.338:
	v_cvt_f16_f32_e32 v0, v1
	global_store_b16 v[3:4], v0, off
.LBB19_339:
	s_mov_b32 s22, 0
.LBB19_340:
	s_delay_alu instid0(SALU_CYCLE_1)
	s_and_not1_b32 vcc_lo, exec_lo, s22
	s_cbranch_vccnz .LBB19_356
; %bb.341:
	v_cmp_gt_i16_e32 vcc_lo, 2, v8
	s_mov_b32 s22, -1
	s_cbranch_vccnz .LBB19_351
; %bb.342:
	v_cmp_gt_i16_e32 vcc_lo, 3, v8
	s_cbranch_vccnz .LBB19_348
; %bb.343:
	v_cmp_lt_i16_e32 vcc_lo, 3, v8
	s_cbranch_vccz .LBB19_345
; %bb.344:
	v_trunc_f32_e32 v0, v1
	s_mov_b32 s22, 0
	s_delay_alu instid0(VALU_DEP_1) | instskip(NEXT) | instid1(VALU_DEP_1)
	v_mul_f32_e64 v2, 0x2f800000, |v0|
	v_floor_f32_e32 v2, v2
	s_delay_alu instid0(VALU_DEP_1) | instskip(SKIP_2) | instid1(VALU_DEP_3)
	v_fma_f32 v9, 0xcf800000, v2, |v0|
	v_ashrrev_i32_e32 v0, 31, v0
	v_cvt_u32_f32_e32 v2, v2
	v_cvt_u32_f32_e32 v9, v9
	s_delay_alu instid0(VALU_DEP_2) | instskip(NEXT) | instid1(VALU_DEP_2)
	v_xor_b32_e32 v2, v2, v0
	v_xor_b32_e32 v9, v9, v0
	s_delay_alu instid0(VALU_DEP_1) | instskip(NEXT) | instid1(VALU_DEP_3)
	v_sub_co_u32 v9, vcc_lo, v9, v0
	v_sub_co_ci_u32_e32 v10, vcc_lo, v2, v0, vcc_lo
	global_store_b64 v[3:4], v[9:10], off
.LBB19_345:
	s_and_not1_b32 vcc_lo, exec_lo, s22
	s_cbranch_vccnz .LBB19_347
; %bb.346:
	v_cvt_i32_f32_e32 v0, v1
	global_store_b32 v[3:4], v0, off
.LBB19_347:
	s_mov_b32 s22, 0
.LBB19_348:
	s_delay_alu instid0(SALU_CYCLE_1)
	s_and_not1_b32 vcc_lo, exec_lo, s22
	s_cbranch_vccnz .LBB19_350
; %bb.349:
	v_cvt_i32_f32_e32 v0, v1
	global_store_b16 v[3:4], v0, off
.LBB19_350:
	s_mov_b32 s22, 0
.LBB19_351:
	s_delay_alu instid0(SALU_CYCLE_1)
	s_and_not1_b32 vcc_lo, exec_lo, s22
	s_cbranch_vccnz .LBB19_356
; %bb.352:
	v_cmp_lt_i16_e32 vcc_lo, 0, v8
	s_mov_b32 s22, -1
	s_cbranch_vccz .LBB19_354
; %bb.353:
	v_cvt_i32_f32_e32 v0, v1
	s_mov_b32 s22, 0
	global_store_b8 v[3:4], v0, off
.LBB19_354:
	s_and_not1_b32 vcc_lo, exec_lo, s22
	s_cbranch_vccnz .LBB19_356
; %bb.355:
	v_trunc_f32_e32 v0, v1
	s_delay_alu instid0(VALU_DEP_1) | instskip(NEXT) | instid1(VALU_DEP_1)
	v_mul_f32_e64 v1, 0x2f800000, |v0|
	v_floor_f32_e32 v1, v1
	s_delay_alu instid0(VALU_DEP_1) | instskip(SKIP_1) | instid1(VALU_DEP_2)
	v_fma_f32 v1, 0xcf800000, v1, |v0|
	v_ashrrev_i32_e32 v0, 31, v0
	v_cvt_u32_f32_e32 v1, v1
	s_delay_alu instid0(VALU_DEP_1) | instskip(NEXT) | instid1(VALU_DEP_1)
	v_xor_b32_e32 v1, v1, v0
	v_sub_nc_u32_e32 v0, v1, v0
	global_store_b8 v[3:4], v0, off
.LBB19_356:
	s_branch .LBB19_443
.LBB19_357:
	s_mov_b32 s22, 0
	s_branch .LBB19_555
.LBB19_358:
	s_mov_b32 s22, -1
	s_mov_b32 s3, s35
                                        ; implicit-def: $vgpr3
	s_branch .LBB19_470
.LBB19_359:
	s_mov_b32 s22, -1
	s_mov_b32 s3, s35
                                        ; implicit-def: $vgpr3
	s_branch .LBB19_451
.LBB19_360:
	s_mov_b32 s2, s34
	s_branch .LBB19_400
.LBB19_361:
	s_mov_b32 s22, -1
	s_mov_b32 s3, s35
                                        ; implicit-def: $vgpr3
	s_branch .LBB19_446
.LBB19_362:
	s_mov_b32 s2, s34
	s_branch .LBB19_383
.LBB19_363:
	s_mov_b32 s22, -1
	s_mov_b32 s3, s35
	s_branch .LBB19_368
.LBB19_364:
	s_mov_b32 s2, s34
	s_branch .LBB19_379
.LBB19_365:
	s_or_saveexec_b32 s34, s34
                                        ; implicit-def: $sgpr35
	s_delay_alu instid0(SALU_CYCLE_1)
	s_xor_b32 exec_lo, exec_lo, s34
	s_cbranch_execz .LBB19_77
.LBB19_366:
	v_add_f32_e64 v0, 0x42800000, |v1|
	s_and_not1_b32 s23, s23, exec_lo
	s_mov_b32 s35, 0
	s_delay_alu instid0(VALU_DEP_1) | instskip(NEXT) | instid1(VALU_DEP_1)
	v_and_b32_e32 v0, 0xff, v0
	v_cmp_ne_u32_e32 vcc_lo, 0, v0
	s_and_b32 s38, vcc_lo, exec_lo
	s_delay_alu instid0(SALU_CYCLE_1)
	s_or_b32 s23, s23, s38
	s_or_b32 exec_lo, exec_lo, s34
	v_mov_b32_e32 v2, s35
	s_and_saveexec_b32 s34, s23
	s_cbranch_execnz .LBB19_78
	s_branch .LBB19_79
.LBB19_367:
	s_mov_b32 s3, -1
.LBB19_368:
                                        ; implicit-def: $vgpr3
.LBB19_369:
	s_and_b32 vcc_lo, exec_lo, s22
	s_cbranch_vccz .LBB19_445
; %bb.370:
	v_cmp_eq_u16_e32 vcc_lo, 44, v6
	s_cbranch_vccz .LBB19_444
; %bb.371:
	global_load_u8 v3, v[1:2], off
	s_mov_b32 s3, 0
	s_mov_b32 s2, -1
	s_waitcnt vmcnt(0)
	v_lshlrev_b32_e32 v4, 23, v3
	v_cmp_ne_u32_e32 vcc_lo, 0xff, v3
	s_delay_alu instid0(VALU_DEP_2) | instskip(SKIP_1) | instid1(VALU_DEP_2)
	v_cndmask_b32_e32 v4, 0x7f800001, v4, vcc_lo
	v_cmp_ne_u32_e32 vcc_lo, 0, v3
	v_cndmask_b32_e32 v3, 0x400000, v4, vcc_lo
	s_branch .LBB19_445
.LBB19_372:
	s_mov_b32 s2, s34
.LBB19_373:
	s_and_b32 vcc_lo, exec_lo, s23
	s_cbranch_vccz .LBB19_378
; %bb.374:
	v_cmp_eq_u16_e32 vcc_lo, 44, v8
	s_mov_b32 s2, -1
	s_cbranch_vccz .LBB19_378
; %bb.375:
	v_bfe_u32 v2, v1, 23, 8
	v_mov_b32_e32 v0, 0xff
	s_mov_b32 s22, exec_lo
	s_delay_alu instid0(VALU_DEP_2)
	v_cmpx_ne_u32_e32 0xff, v2
; %bb.376:
	v_and_b32_e32 v0, 0x400000, v1
	v_and_or_b32 v2, 0x3fffff, v1, v2
	s_delay_alu instid0(VALU_DEP_2) | instskip(NEXT) | instid1(VALU_DEP_2)
	v_cmp_ne_u32_e32 vcc_lo, 0, v0
	v_cmp_ne_u32_e64 s2, 0, v2
	v_lshrrev_b32_e32 v0, 23, v1
	s_delay_alu instid0(VALU_DEP_2) | instskip(NEXT) | instid1(SALU_CYCLE_1)
	s_and_b32 s2, vcc_lo, s2
	v_cndmask_b32_e64 v2, 0, 1, s2
	s_delay_alu instid0(VALU_DEP_1)
	v_add_nc_u32_e32 v0, v0, v2
; %bb.377:
	s_or_b32 exec_lo, exec_lo, s22
	s_mov_b32 s22, -1
	s_mov_b32 s2, 0
	global_store_b8 v[3:4], v0, off
.LBB19_378:
	s_mov_b32 s23, 0
.LBB19_379:
	s_delay_alu instid0(SALU_CYCLE_1)
	s_and_b32 vcc_lo, exec_lo, s23
	s_cbranch_vccz .LBB19_382
; %bb.380:
	v_cmp_eq_u16_e32 vcc_lo, 29, v8
	s_mov_b32 s2, -1
	s_cbranch_vccz .LBB19_382
; %bb.381:
	v_trunc_f32_e32 v0, v1
	s_mov_b32 s22, -1
	s_mov_b32 s2, 0
	s_mov_b32 s23, 0
	s_delay_alu instid0(VALU_DEP_1) | instskip(NEXT) | instid1(VALU_DEP_1)
	v_mul_f32_e32 v2, 0x2f800000, v0
	v_floor_f32_e32 v2, v2
	s_delay_alu instid0(VALU_DEP_1) | instskip(SKIP_1) | instid1(VALU_DEP_2)
	v_fmamk_f32 v0, v2, 0xcf800000, v0
	v_cvt_u32_f32_e32 v10, v2
	v_cvt_u32_f32_e32 v9, v0
	global_store_b64 v[3:4], v[9:10], off
	s_branch .LBB19_383
.LBB19_382:
	s_mov_b32 s23, 0
.LBB19_383:
	s_delay_alu instid0(SALU_CYCLE_1)
	s_and_b32 vcc_lo, exec_lo, s23
	s_cbranch_vccz .LBB19_399
; %bb.384:
	v_cmp_gt_i16_e32 vcc_lo, 27, v8
	s_mov_b32 s22, -1
	s_cbranch_vccnz .LBB19_390
; %bb.385:
	v_cmp_lt_i16_e32 vcc_lo, 27, v8
	s_cbranch_vccz .LBB19_387
; %bb.386:
	v_cvt_u32_f32_e32 v0, v1
	s_mov_b32 s22, 0
	global_store_b32 v[3:4], v0, off
.LBB19_387:
	s_and_not1_b32 vcc_lo, exec_lo, s22
	s_cbranch_vccnz .LBB19_389
; %bb.388:
	v_cvt_u32_f32_e32 v0, v1
	global_store_b16 v[3:4], v0, off
.LBB19_389:
	s_mov_b32 s22, 0
.LBB19_390:
	s_delay_alu instid0(SALU_CYCLE_1)
	s_and_not1_b32 vcc_lo, exec_lo, s22
	s_cbranch_vccnz .LBB19_398
; %bb.391:
	v_and_b32_e32 v0, 0x7fffffff, v1
	v_mov_b32_e32 v2, 0x80
	s_mov_b32 s22, exec_lo
	s_delay_alu instid0(VALU_DEP_2)
	v_cmpx_gt_u32_e32 0x43800000, v0
	s_cbranch_execz .LBB19_397
; %bb.392:
	v_cmp_lt_u32_e32 vcc_lo, 0x3bffffff, v0
	s_mov_b32 s23, 0
                                        ; implicit-def: $vgpr0
	s_and_saveexec_b32 s37, vcc_lo
	s_delay_alu instid0(SALU_CYCLE_1)
	s_xor_b32 s37, exec_lo, s37
	s_cbranch_execz .LBB19_583
; %bb.393:
	v_bfe_u32 v0, v1, 20, 1
	s_mov_b32 s23, exec_lo
	s_delay_alu instid0(VALU_DEP_1) | instskip(NEXT) | instid1(VALU_DEP_1)
	v_add3_u32 v0, v1, v0, 0x487ffff
	v_lshrrev_b32_e32 v0, 20, v0
	s_or_saveexec_b32 s37, s37
                                        ; implicit-def: $sgpr38
	s_delay_alu instid0(SALU_CYCLE_1)
	s_xor_b32 exec_lo, exec_lo, s37
	s_cbranch_execnz .LBB19_584
.LBB19_394:
	s_or_b32 exec_lo, exec_lo, s37
	v_mov_b32_e32 v2, s38
	s_and_saveexec_b32 s37, s23
.LBB19_395:
	v_lshrrev_b32_e32 v2, 24, v1
	s_delay_alu instid0(VALU_DEP_1)
	v_and_or_b32 v2, 0x80, v2, v0
.LBB19_396:
	s_or_b32 exec_lo, exec_lo, s37
.LBB19_397:
	s_delay_alu instid0(SALU_CYCLE_1)
	s_or_b32 exec_lo, exec_lo, s22
	global_store_b8 v[3:4], v2, off
.LBB19_398:
	s_mov_b32 s22, -1
.LBB19_399:
	s_mov_b32 s23, 0
.LBB19_400:
	s_delay_alu instid0(SALU_CYCLE_1)
	s_and_b32 vcc_lo, exec_lo, s23
	s_cbranch_vccz .LBB19_441
; %bb.401:
	v_cmp_lt_i16_e32 vcc_lo, 22, v8
	s_mov_b32 s23, -1
	s_cbranch_vccz .LBB19_433
; %bb.402:
	v_cmp_gt_i16_e32 vcc_lo, 24, v8
	s_mov_b32 s22, -1
	s_cbranch_vccnz .LBB19_422
; %bb.403:
	v_cmp_lt_i16_e32 vcc_lo, 24, v8
	s_cbranch_vccz .LBB19_411
; %bb.404:
	v_and_b32_e32 v0, 0x7fffffff, v1
	v_mov_b32_e32 v2, 0x80
	s_mov_b32 s22, exec_lo
	s_delay_alu instid0(VALU_DEP_2)
	v_cmpx_gt_u32_e32 0x47800000, v0
	s_cbranch_execz .LBB19_410
; %bb.405:
	v_cmp_lt_u32_e32 vcc_lo, 0x37ffffff, v0
	s_mov_b32 s23, 0
                                        ; implicit-def: $vgpr0
	s_and_saveexec_b32 s37, vcc_lo
	s_delay_alu instid0(SALU_CYCLE_1)
	s_xor_b32 s37, exec_lo, s37
	s_cbranch_execz .LBB19_586
; %bb.406:
	v_bfe_u32 v0, v1, 21, 1
	s_mov_b32 s23, exec_lo
	s_delay_alu instid0(VALU_DEP_1) | instskip(NEXT) | instid1(VALU_DEP_1)
	v_add3_u32 v0, v1, v0, 0x88fffff
	v_lshrrev_b32_e32 v0, 21, v0
	s_or_saveexec_b32 s37, s37
                                        ; implicit-def: $sgpr38
	s_delay_alu instid0(SALU_CYCLE_1)
	s_xor_b32 exec_lo, exec_lo, s37
	s_cbranch_execnz .LBB19_587
.LBB19_407:
	s_or_b32 exec_lo, exec_lo, s37
	v_mov_b32_e32 v2, s38
	s_and_saveexec_b32 s37, s23
.LBB19_408:
	v_lshrrev_b32_e32 v2, 24, v1
	s_delay_alu instid0(VALU_DEP_1)
	v_and_or_b32 v2, 0x80, v2, v0
.LBB19_409:
	s_or_b32 exec_lo, exec_lo, s37
.LBB19_410:
	s_delay_alu instid0(SALU_CYCLE_1)
	s_or_b32 exec_lo, exec_lo, s22
	s_mov_b32 s22, 0
	global_store_b8 v[3:4], v2, off
.LBB19_411:
	s_and_b32 vcc_lo, exec_lo, s22
	s_cbranch_vccz .LBB19_421
; %bb.412:
	v_and_b32_e32 v2, 0x7fffffff, v1
	s_mov_b32 s22, exec_lo
                                        ; implicit-def: $vgpr0
	s_delay_alu instid0(VALU_DEP_1)
	v_cmpx_gt_u32_e32 0x43f00000, v2
	s_xor_b32 s22, exec_lo, s22
	s_cbranch_execz .LBB19_418
; %bb.413:
	s_mov_b32 s23, exec_lo
                                        ; implicit-def: $vgpr0
	v_cmpx_lt_u32_e32 0x3c7fffff, v2
	s_xor_b32 s23, exec_lo, s23
; %bb.414:
	v_bfe_u32 v0, v1, 20, 1
	s_delay_alu instid0(VALU_DEP_1) | instskip(NEXT) | instid1(VALU_DEP_1)
	v_add3_u32 v0, v1, v0, 0x407ffff
	v_and_b32_e32 v2, 0xff00000, v0
	v_lshrrev_b32_e32 v0, 20, v0
	s_delay_alu instid0(VALU_DEP_2) | instskip(NEXT) | instid1(VALU_DEP_2)
	v_cmp_ne_u32_e32 vcc_lo, 0x7f00000, v2
	v_cndmask_b32_e32 v0, 0x7e, v0, vcc_lo
; %bb.415:
	s_and_not1_saveexec_b32 s23, s23
; %bb.416:
	v_add_f32_e64 v0, 0x46800000, |v1|
; %bb.417:
	s_or_b32 exec_lo, exec_lo, s23
                                        ; implicit-def: $vgpr2
.LBB19_418:
	s_and_not1_saveexec_b32 s22, s22
; %bb.419:
	v_mov_b32_e32 v0, 0x7f
	v_cmp_lt_u32_e32 vcc_lo, 0x7f800000, v2
	s_delay_alu instid0(VALU_DEP_2)
	v_cndmask_b32_e32 v0, 0x7e, v0, vcc_lo
; %bb.420:
	s_or_b32 exec_lo, exec_lo, s22
	v_lshrrev_b32_e32 v2, 24, v1
	s_delay_alu instid0(VALU_DEP_1)
	v_and_or_b32 v0, 0x80, v2, v0
	global_store_b8 v[3:4], v0, off
.LBB19_421:
	s_mov_b32 s22, 0
.LBB19_422:
	s_delay_alu instid0(SALU_CYCLE_1)
	s_and_not1_b32 vcc_lo, exec_lo, s22
	s_cbranch_vccnz .LBB19_432
; %bb.423:
	v_and_b32_e32 v2, 0x7fffffff, v1
	s_mov_b32 s22, exec_lo
                                        ; implicit-def: $vgpr0
	s_delay_alu instid0(VALU_DEP_1)
	v_cmpx_gt_u32_e32 0x47800000, v2
	s_xor_b32 s22, exec_lo, s22
	s_cbranch_execz .LBB19_429
; %bb.424:
	s_mov_b32 s23, exec_lo
                                        ; implicit-def: $vgpr0
	v_cmpx_lt_u32_e32 0x387fffff, v2
	s_xor_b32 s23, exec_lo, s23
; %bb.425:
	v_bfe_u32 v0, v1, 21, 1
	s_delay_alu instid0(VALU_DEP_1) | instskip(NEXT) | instid1(VALU_DEP_1)
	v_add3_u32 v0, v1, v0, 0x80fffff
	v_lshrrev_b32_e32 v0, 21, v0
; %bb.426:
	s_and_not1_saveexec_b32 s23, s23
; %bb.427:
	v_add_f32_e64 v0, 0x43000000, |v1|
; %bb.428:
	s_or_b32 exec_lo, exec_lo, s23
                                        ; implicit-def: $vgpr2
.LBB19_429:
	s_and_not1_saveexec_b32 s22, s22
; %bb.430:
	v_mov_b32_e32 v0, 0x7f
	v_cmp_lt_u32_e32 vcc_lo, 0x7f800000, v2
	s_delay_alu instid0(VALU_DEP_2)
	v_cndmask_b32_e32 v0, 0x7c, v0, vcc_lo
; %bb.431:
	s_or_b32 exec_lo, exec_lo, s22
	v_lshrrev_b32_e32 v2, 24, v1
	s_delay_alu instid0(VALU_DEP_1)
	v_and_or_b32 v0, 0x80, v2, v0
	global_store_b8 v[3:4], v0, off
.LBB19_432:
	s_mov_b32 s23, 0
	s_mov_b32 s22, -1
.LBB19_433:
	s_and_not1_b32 vcc_lo, exec_lo, s23
	s_cbranch_vccnz .LBB19_441
; %bb.434:
	v_cmp_lt_i16_e32 vcc_lo, 14, v8
	s_mov_b32 s23, -1
	s_cbranch_vccz .LBB19_438
; %bb.435:
	v_cmp_eq_u16_e32 vcc_lo, 15, v8
	s_mov_b32 s2, -1
	s_cbranch_vccz .LBB19_437
; %bb.436:
	v_bfe_u32 v0, v1, 16, 1
	v_cmp_o_f32_e32 vcc_lo, v1, v1
	s_mov_b32 s22, -1
	s_mov_b32 s2, 0
	s_delay_alu instid0(VALU_DEP_2) | instskip(NEXT) | instid1(VALU_DEP_1)
	v_add3_u32 v0, v1, v0, 0x7fff
	v_lshrrev_b32_e32 v0, 16, v0
	s_delay_alu instid0(VALU_DEP_1)
	v_cndmask_b32_e32 v0, 0x7fc0, v0, vcc_lo
	global_store_b16 v[3:4], v0, off
.LBB19_437:
	s_mov_b32 s23, 0
.LBB19_438:
	s_delay_alu instid0(SALU_CYCLE_1)
	s_and_b32 vcc_lo, exec_lo, s23
	s_cbranch_vccz .LBB19_441
; %bb.439:
	v_cmp_eq_u16_e32 vcc_lo, 11, v8
	s_mov_b32 s2, -1
	s_cbranch_vccz .LBB19_441
; %bb.440:
	v_cmp_neq_f32_e32 vcc_lo, 0, v1
	s_mov_b32 s2, 0
	s_mov_b32 s22, -1
	v_cndmask_b32_e64 v0, 0, 1, vcc_lo
	global_store_b8 v[3:4], v0, off
.LBB19_441:
.LBB19_442:
	s_and_not1_b32 vcc_lo, exec_lo, s22
	s_cbranch_vccnz .LBB19_357
.LBB19_443:
	v_add_nc_u32_e32 v7, 0x80, v7
	s_mov_b32 s22, -1
	s_branch .LBB19_556
.LBB19_444:
	s_mov_b32 s3, -1
                                        ; implicit-def: $vgpr3
.LBB19_445:
	s_mov_b32 s22, 0
.LBB19_446:
	s_delay_alu instid0(SALU_CYCLE_1)
	s_and_b32 vcc_lo, exec_lo, s22
	s_cbranch_vccz .LBB19_450
; %bb.447:
	v_cmp_eq_u16_e32 vcc_lo, 29, v6
	s_cbranch_vccz .LBB19_449
; %bb.448:
	global_load_b64 v[3:4], v[1:2], off
	s_mov_b32 s2, -1
	s_mov_b32 s3, 0
	s_mov_b32 s22, 0
	s_waitcnt vmcnt(0)
	v_clz_i32_u32_e32 v8, v4
	s_delay_alu instid0(VALU_DEP_1) | instskip(NEXT) | instid1(VALU_DEP_1)
	v_min_u32_e32 v8, 32, v8
	v_lshlrev_b64 v[3:4], v8, v[3:4]
	s_delay_alu instid0(VALU_DEP_1) | instskip(NEXT) | instid1(VALU_DEP_1)
	v_min_u32_e32 v3, 1, v3
	v_or_b32_e32 v3, v4, v3
	v_sub_nc_u32_e32 v4, 32, v8
	s_delay_alu instid0(VALU_DEP_2) | instskip(NEXT) | instid1(VALU_DEP_1)
	v_cvt_f32_u32_e32 v3, v3
	v_ldexp_f32 v3, v3, v4
	s_branch .LBB19_451
.LBB19_449:
	s_mov_b32 s3, -1
                                        ; implicit-def: $vgpr3
.LBB19_450:
	s_mov_b32 s22, 0
.LBB19_451:
	s_delay_alu instid0(SALU_CYCLE_1)
	s_and_b32 vcc_lo, exec_lo, s22
	s_cbranch_vccz .LBB19_469
; %bb.452:
	v_cmp_gt_i16_e32 vcc_lo, 27, v6
	s_cbranch_vccnz .LBB19_455
; %bb.453:
	v_cmp_lt_i16_e32 vcc_lo, 27, v6
	s_cbranch_vccz .LBB19_456
; %bb.454:
	global_load_b32 v3, v[1:2], off
	s_mov_b32 s2, 0
	s_waitcnt vmcnt(0)
	v_cvt_f32_u32_e32 v3, v3
	s_branch .LBB19_457
.LBB19_455:
	s_mov_b32 s2, -1
                                        ; implicit-def: $vgpr3
	s_branch .LBB19_460
.LBB19_456:
	s_mov_b32 s2, -1
                                        ; implicit-def: $vgpr3
.LBB19_457:
	s_delay_alu instid0(SALU_CYCLE_1)
	s_and_not1_b32 vcc_lo, exec_lo, s2
	s_cbranch_vccnz .LBB19_459
; %bb.458:
	global_load_u16 v3, v[1:2], off
	s_waitcnt vmcnt(0)
	v_cvt_f32_u32_e32 v3, v3
.LBB19_459:
	s_mov_b32 s2, 0
.LBB19_460:
	s_delay_alu instid0(SALU_CYCLE_1)
	s_and_not1_b32 vcc_lo, exec_lo, s2
	s_cbranch_vccnz .LBB19_468
; %bb.461:
	global_load_u8 v4, v[1:2], off
	s_mov_b32 s2, 0
	s_mov_b32 s23, exec_lo
                                        ; implicit-def: $sgpr22
	s_waitcnt vmcnt(0)
	v_cmpx_lt_i16_e32 0x7f, v4
	s_xor_b32 s23, exec_lo, s23
	s_cbranch_execz .LBB19_482
; %bb.462:
	s_mov_b32 s2, -1
	s_mov_b32 s37, exec_lo
                                        ; implicit-def: $sgpr22
	v_cmpx_eq_u16_e32 0x80, v4
; %bb.463:
	s_mov_b32 s22, 0x7f800001
	s_xor_b32 s2, exec_lo, -1
; %bb.464:
	s_or_b32 exec_lo, exec_lo, s37
	s_delay_alu instid0(SALU_CYCLE_1)
	s_and_b32 s2, s2, exec_lo
	s_or_saveexec_b32 s23, s23
	v_mov_b32_e32 v3, s22
	s_xor_b32 exec_lo, exec_lo, s23
	s_cbranch_execnz .LBB19_483
.LBB19_465:
	s_or_b32 exec_lo, exec_lo, s23
	s_and_saveexec_b32 s22, s2
	s_cbranch_execz .LBB19_467
.LBB19_466:
	v_and_b32_e32 v3, 0xffff, v4
	v_lshlrev_b32_e32 v4, 24, v4
	s_delay_alu instid0(VALU_DEP_2) | instskip(NEXT) | instid1(VALU_DEP_2)
	v_and_b32_e32 v8, 7, v3
	v_and_b32_e32 v4, 0x80000000, v4
	s_delay_alu instid0(VALU_DEP_2) | instskip(NEXT) | instid1(VALU_DEP_1)
	v_clz_i32_u32_e32 v9, v8
	v_min_u32_e32 v9, 32, v9
	s_delay_alu instid0(VALU_DEP_1) | instskip(SKIP_1) | instid1(VALU_DEP_2)
	v_subrev_nc_u32_e32 v10, 28, v9
	v_sub_nc_u32_e32 v9, 29, v9
	v_lshlrev_b32_e32 v10, v10, v3
	v_bfe_u32 v3, v3, 3, 4
	s_delay_alu instid0(VALU_DEP_2) | instskip(NEXT) | instid1(VALU_DEP_2)
	v_and_b32_e32 v10, 7, v10
	v_cmp_eq_u32_e32 vcc_lo, 0, v3
	s_delay_alu instid0(VALU_DEP_2) | instskip(NEXT) | instid1(VALU_DEP_1)
	v_dual_cndmask_b32 v3, v3, v9 :: v_dual_cndmask_b32 v8, v8, v10
	v_lshl_add_u32 v3, v3, 23, 0x3b800000
	s_delay_alu instid0(VALU_DEP_2) | instskip(NEXT) | instid1(VALU_DEP_1)
	v_lshlrev_b32_e32 v8, 20, v8
	v_or3_b32 v3, v4, v3, v8
.LBB19_467:
	s_or_b32 exec_lo, exec_lo, s22
.LBB19_468:
	s_mov_b32 s2, -1
.LBB19_469:
	s_mov_b32 s22, 0
.LBB19_470:
	s_delay_alu instid0(SALU_CYCLE_1)
	s_and_b32 vcc_lo, exec_lo, s22
	s_cbranch_vccz .LBB19_505
; %bb.471:
	v_cmp_lt_i16_e32 vcc_lo, 22, v6
	s_cbranch_vccz .LBB19_481
; %bb.472:
	v_cmp_gt_i16_e32 vcc_lo, 24, v6
	s_cbranch_vccnz .LBB19_484
; %bb.473:
	v_cmp_lt_i16_e32 vcc_lo, 24, v6
	s_cbranch_vccz .LBB19_485
; %bb.474:
	global_load_u8 v4, v[1:2], off
	s_mov_b32 s2, 0
	s_mov_b32 s23, exec_lo
                                        ; implicit-def: $sgpr22
	s_waitcnt vmcnt(0)
	v_cmpx_lt_i16_e32 0x7f, v4
	s_xor_b32 s23, exec_lo, s23
	s_cbranch_execz .LBB19_497
; %bb.475:
	s_mov_b32 s2, -1
	s_mov_b32 s37, exec_lo
                                        ; implicit-def: $sgpr22
	v_cmpx_eq_u16_e32 0x80, v4
; %bb.476:
	s_mov_b32 s22, 0x7f800001
	s_xor_b32 s2, exec_lo, -1
; %bb.477:
	s_or_b32 exec_lo, exec_lo, s37
	s_delay_alu instid0(SALU_CYCLE_1)
	s_and_b32 s2, s2, exec_lo
	s_or_saveexec_b32 s23, s23
	v_mov_b32_e32 v3, s22
	s_xor_b32 exec_lo, exec_lo, s23
	s_cbranch_execnz .LBB19_498
.LBB19_478:
	s_or_b32 exec_lo, exec_lo, s23
	s_and_saveexec_b32 s22, s2
	s_cbranch_execz .LBB19_480
.LBB19_479:
	v_and_b32_e32 v3, 0xffff, v4
	v_lshlrev_b32_e32 v4, 24, v4
	s_delay_alu instid0(VALU_DEP_2) | instskip(NEXT) | instid1(VALU_DEP_2)
	v_and_b32_e32 v8, 3, v3
	v_and_b32_e32 v4, 0x80000000, v4
	s_delay_alu instid0(VALU_DEP_2) | instskip(NEXT) | instid1(VALU_DEP_1)
	v_clz_i32_u32_e32 v9, v8
	v_min_u32_e32 v9, 32, v9
	s_delay_alu instid0(VALU_DEP_1) | instskip(SKIP_1) | instid1(VALU_DEP_2)
	v_subrev_nc_u32_e32 v10, 29, v9
	v_sub_nc_u32_e32 v9, 30, v9
	v_lshlrev_b32_e32 v10, v10, v3
	v_bfe_u32 v3, v3, 2, 5
	s_delay_alu instid0(VALU_DEP_2) | instskip(NEXT) | instid1(VALU_DEP_2)
	v_and_b32_e32 v10, 3, v10
	v_cmp_eq_u32_e32 vcc_lo, 0, v3
	s_delay_alu instid0(VALU_DEP_2) | instskip(NEXT) | instid1(VALU_DEP_1)
	v_dual_cndmask_b32 v3, v3, v9 :: v_dual_cndmask_b32 v8, v8, v10
	v_lshl_add_u32 v3, v3, 23, 0x37800000
	s_delay_alu instid0(VALU_DEP_2) | instskip(NEXT) | instid1(VALU_DEP_1)
	v_lshlrev_b32_e32 v8, 21, v8
	v_or3_b32 v3, v4, v3, v8
.LBB19_480:
	s_or_b32 exec_lo, exec_lo, s22
	s_mov_b32 s2, 0
	s_branch .LBB19_486
.LBB19_481:
	s_mov_b32 s22, -1
                                        ; implicit-def: $vgpr3
	s_branch .LBB19_492
.LBB19_482:
	s_or_saveexec_b32 s23, s23
	v_mov_b32_e32 v3, s22
	s_xor_b32 exec_lo, exec_lo, s23
	s_cbranch_execz .LBB19_465
.LBB19_483:
	v_cmp_ne_u16_e32 vcc_lo, 0, v4
	v_mov_b32_e32 v3, 0
	s_and_not1_b32 s2, s2, exec_lo
	s_and_b32 s22, vcc_lo, exec_lo
	s_delay_alu instid0(SALU_CYCLE_1)
	s_or_b32 s2, s2, s22
	s_or_b32 exec_lo, exec_lo, s23
	s_and_saveexec_b32 s22, s2
	s_cbranch_execnz .LBB19_466
	s_branch .LBB19_467
.LBB19_484:
	s_mov_b32 s2, -1
                                        ; implicit-def: $vgpr3
	s_branch .LBB19_489
.LBB19_485:
	s_mov_b32 s2, -1
                                        ; implicit-def: $vgpr3
.LBB19_486:
	s_delay_alu instid0(SALU_CYCLE_1)
	s_and_b32 vcc_lo, exec_lo, s2
	s_cbranch_vccz .LBB19_488
; %bb.487:
	global_load_u8 v3, v[1:2], off
	s_waitcnt vmcnt(0)
	v_lshlrev_b32_e32 v3, 24, v3
	s_delay_alu instid0(VALU_DEP_1) | instskip(NEXT) | instid1(VALU_DEP_1)
	v_and_b32_e32 v4, 0x7f000000, v3
	v_clz_i32_u32_e32 v8, v4
	v_add_nc_u32_e32 v10, 0x1000000, v4
	v_cmp_ne_u32_e32 vcc_lo, 0, v4
	s_delay_alu instid0(VALU_DEP_3) | instskip(NEXT) | instid1(VALU_DEP_1)
	v_min_u32_e32 v8, 32, v8
	v_sub_nc_u32_e64 v8, v8, 4 clamp
	s_delay_alu instid0(VALU_DEP_1) | instskip(SKIP_1) | instid1(VALU_DEP_2)
	v_lshlrev_b32_e32 v9, v8, v4
	v_lshlrev_b32_e32 v8, 23, v8
	v_lshrrev_b32_e32 v9, 4, v9
	s_delay_alu instid0(VALU_DEP_1) | instskip(SKIP_1) | instid1(VALU_DEP_2)
	v_sub_nc_u32_e32 v8, v9, v8
	v_ashrrev_i32_e32 v9, 8, v10
	v_add_nc_u32_e32 v8, 0x3c000000, v8
	s_delay_alu instid0(VALU_DEP_1) | instskip(NEXT) | instid1(VALU_DEP_1)
	v_and_or_b32 v8, 0x7f800000, v9, v8
	v_cndmask_b32_e32 v4, 0, v8, vcc_lo
	s_delay_alu instid0(VALU_DEP_1)
	v_and_or_b32 v3, 0x80000000, v3, v4
.LBB19_488:
	s_mov_b32 s2, 0
.LBB19_489:
	s_delay_alu instid0(SALU_CYCLE_1)
	s_and_not1_b32 vcc_lo, exec_lo, s2
	s_cbranch_vccnz .LBB19_491
; %bb.490:
	global_load_u8 v3, v[1:2], off
	s_waitcnt vmcnt(0)
	v_lshlrev_b32_e32 v4, 25, v3
	v_lshlrev_b16 v3, 8, v3
	s_delay_alu instid0(VALU_DEP_1) | instskip(SKIP_1) | instid1(VALU_DEP_2)
	v_and_or_b32 v9, 0x7f00, v3, 0.5
	v_bfe_i32 v3, v3, 0, 16
	v_add_f32_e32 v9, -0.5, v9
	v_lshrrev_b32_e32 v8, 4, v4
	v_cmp_gt_u32_e32 vcc_lo, 0x8000000, v4
	s_delay_alu instid0(VALU_DEP_2) | instskip(NEXT) | instid1(VALU_DEP_1)
	v_or_b32_e32 v8, 0x70000000, v8
	v_mul_f32_e32 v8, 0x7800000, v8
	s_delay_alu instid0(VALU_DEP_1) | instskip(NEXT) | instid1(VALU_DEP_1)
	v_cndmask_b32_e32 v4, v8, v9, vcc_lo
	v_and_or_b32 v3, 0x80000000, v3, v4
.LBB19_491:
	s_mov_b32 s22, 0
	s_mov_b32 s2, -1
.LBB19_492:
	s_and_not1_b32 vcc_lo, exec_lo, s22
	s_cbranch_vccnz .LBB19_505
; %bb.493:
	v_cmp_lt_i16_e32 vcc_lo, 14, v6
	s_cbranch_vccz .LBB19_496
; %bb.494:
	v_cmp_eq_u16_e32 vcc_lo, 15, v6
	s_cbranch_vccz .LBB19_499
; %bb.495:
	global_load_u16 v3, v[1:2], off
	s_mov_b32 s2, -1
	s_mov_b32 s3, 0
	s_waitcnt vmcnt(0)
	v_lshlrev_b32_e32 v3, 16, v3
	s_branch .LBB19_500
.LBB19_496:
	s_mov_b32 s22, -1
                                        ; implicit-def: $vgpr3
	s_branch .LBB19_501
.LBB19_497:
	s_or_saveexec_b32 s23, s23
	v_mov_b32_e32 v3, s22
	s_xor_b32 exec_lo, exec_lo, s23
	s_cbranch_execz .LBB19_478
.LBB19_498:
	v_cmp_ne_u16_e32 vcc_lo, 0, v4
	v_mov_b32_e32 v3, 0
	s_and_not1_b32 s2, s2, exec_lo
	s_and_b32 s22, vcc_lo, exec_lo
	s_delay_alu instid0(SALU_CYCLE_1)
	s_or_b32 s2, s2, s22
	s_or_b32 exec_lo, exec_lo, s23
	s_and_saveexec_b32 s22, s2
	s_cbranch_execnz .LBB19_479
	s_branch .LBB19_480
.LBB19_499:
	s_mov_b32 s3, -1
                                        ; implicit-def: $vgpr3
.LBB19_500:
	s_mov_b32 s22, 0
.LBB19_501:
	s_delay_alu instid0(SALU_CYCLE_1)
	s_and_b32 vcc_lo, exec_lo, s22
	s_cbranch_vccz .LBB19_505
; %bb.502:
	v_cmp_eq_u16_e32 vcc_lo, 11, v6
	s_cbranch_vccz .LBB19_504
; %bb.503:
	global_load_u8 v3, v[1:2], off
	s_mov_b32 s3, 0
	s_mov_b32 s2, -1
	s_waitcnt vmcnt(0)
	v_cmp_ne_u16_e32 vcc_lo, 0, v3
	v_cndmask_b32_e64 v3, 0, 1.0, vcc_lo
	s_branch .LBB19_505
.LBB19_504:
	s_mov_b32 s3, -1
                                        ; implicit-def: $vgpr3
.LBB19_505:
	s_branch .LBB19_298
.LBB19_506:
	v_cmp_gt_i16_e32 vcc_lo, 5, v6
	s_cbranch_vccnz .LBB19_511
; %bb.507:
	v_cmp_gt_i16_e32 vcc_lo, 8, v6
	s_cbranch_vccnz .LBB19_512
; %bb.508:
	;; [unrolled: 3-line block ×3, first 2 shown]
	v_cmp_lt_i16_e32 vcc_lo, 9, v6
	s_cbranch_vccz .LBB19_514
; %bb.510:
	global_load_b64 v[3:4], v[1:2], off
	s_mov_b32 s2, 0
	s_waitcnt vmcnt(0)
	v_cvt_f32_f64_e32 v3, v[3:4]
	s_branch .LBB19_515
.LBB19_511:
	s_mov_b32 s2, -1
                                        ; implicit-def: $vgpr3
	s_branch .LBB19_533
.LBB19_512:
	s_mov_b32 s2, -1
                                        ; implicit-def: $vgpr3
	s_branch .LBB19_521
.LBB19_513:
	s_mov_b32 s2, -1
                                        ; implicit-def: $vgpr3
	s_branch .LBB19_518
.LBB19_514:
	s_mov_b32 s2, -1
                                        ; implicit-def: $vgpr3
.LBB19_515:
	s_delay_alu instid0(SALU_CYCLE_1)
	s_and_not1_b32 vcc_lo, exec_lo, s2
	s_cbranch_vccnz .LBB19_517
; %bb.516:
	global_load_b32 v3, v[1:2], off
.LBB19_517:
	s_mov_b32 s2, 0
.LBB19_518:
	s_delay_alu instid0(SALU_CYCLE_1)
	s_and_not1_b32 vcc_lo, exec_lo, s2
	s_cbranch_vccnz .LBB19_520
; %bb.519:
	global_load_b32 v3, v[1:2], off
	s_waitcnt vmcnt(0)
	v_cvt_f32_f16_e32 v3, v3
.LBB19_520:
	s_mov_b32 s2, 0
.LBB19_521:
	s_delay_alu instid0(SALU_CYCLE_1)
	s_and_not1_b32 vcc_lo, exec_lo, s2
	s_cbranch_vccnz .LBB19_532
; %bb.522:
	v_cmp_gt_i16_e32 vcc_lo, 6, v6
	s_cbranch_vccnz .LBB19_525
; %bb.523:
	v_cmp_lt_i16_e32 vcc_lo, 6, v6
	s_cbranch_vccz .LBB19_526
; %bb.524:
	global_load_b64 v[3:4], v[1:2], off
	s_mov_b32 s2, 0
	s_waitcnt vmcnt(0)
	v_cvt_f32_f64_e32 v3, v[3:4]
	s_branch .LBB19_527
.LBB19_525:
	s_mov_b32 s2, -1
                                        ; implicit-def: $vgpr3
	s_branch .LBB19_530
.LBB19_526:
	s_mov_b32 s2, -1
                                        ; implicit-def: $vgpr3
.LBB19_527:
	s_delay_alu instid0(SALU_CYCLE_1)
	s_and_not1_b32 vcc_lo, exec_lo, s2
	s_cbranch_vccnz .LBB19_529
; %bb.528:
	global_load_b32 v3, v[1:2], off
.LBB19_529:
	s_mov_b32 s2, 0
.LBB19_530:
	s_delay_alu instid0(SALU_CYCLE_1)
	s_and_not1_b32 vcc_lo, exec_lo, s2
	s_cbranch_vccnz .LBB19_532
; %bb.531:
	global_load_u16 v3, v[1:2], off
	s_waitcnt vmcnt(0)
	v_cvt_f32_f16_e32 v3, v3
.LBB19_532:
	s_mov_b32 s2, 0
.LBB19_533:
	s_delay_alu instid0(SALU_CYCLE_1)
	s_and_not1_b32 vcc_lo, exec_lo, s2
	s_cbranch_vccnz .LBB19_553
; %bb.534:
	v_cmp_gt_i16_e32 vcc_lo, 2, v6
	s_cbranch_vccnz .LBB19_538
; %bb.535:
	v_cmp_gt_i16_e32 vcc_lo, 3, v6
	s_cbranch_vccnz .LBB19_539
; %bb.536:
	v_cmp_lt_i16_e32 vcc_lo, 3, v6
	s_cbranch_vccz .LBB19_540
; %bb.537:
	global_load_b64 v[3:4], v[1:2], off
	s_mov_b32 s2, 0
	s_waitcnt vmcnt(0)
	v_xor_b32_e32 v8, v3, v4
	v_cls_i32_e32 v9, v4
	s_delay_alu instid0(VALU_DEP_2) | instskip(NEXT) | instid1(VALU_DEP_2)
	v_ashrrev_i32_e32 v8, 31, v8
	v_add_nc_u32_e32 v9, -1, v9
	s_delay_alu instid0(VALU_DEP_2) | instskip(NEXT) | instid1(VALU_DEP_1)
	v_add_nc_u32_e32 v8, 32, v8
	v_min_u32_e32 v8, v9, v8
	s_delay_alu instid0(VALU_DEP_1) | instskip(NEXT) | instid1(VALU_DEP_1)
	v_lshlrev_b64 v[3:4], v8, v[3:4]
	v_min_u32_e32 v3, 1, v3
	s_delay_alu instid0(VALU_DEP_1) | instskip(SKIP_1) | instid1(VALU_DEP_2)
	v_or_b32_e32 v3, v4, v3
	v_sub_nc_u32_e32 v4, 32, v8
	v_cvt_f32_i32_e32 v3, v3
	s_delay_alu instid0(VALU_DEP_1)
	v_ldexp_f32 v3, v3, v4
	s_branch .LBB19_541
.LBB19_538:
	s_mov_b32 s2, -1
                                        ; implicit-def: $vgpr3
	s_branch .LBB19_547
.LBB19_539:
	s_mov_b32 s2, -1
                                        ; implicit-def: $vgpr3
	s_branch .LBB19_544
.LBB19_540:
	s_mov_b32 s2, -1
                                        ; implicit-def: $vgpr3
.LBB19_541:
	s_delay_alu instid0(SALU_CYCLE_1)
	s_and_not1_b32 vcc_lo, exec_lo, s2
	s_cbranch_vccnz .LBB19_543
; %bb.542:
	global_load_b32 v3, v[1:2], off
	s_waitcnt vmcnt(0)
	v_cvt_f32_i32_e32 v3, v3
.LBB19_543:
	s_mov_b32 s2, 0
.LBB19_544:
	s_delay_alu instid0(SALU_CYCLE_1)
	s_and_not1_b32 vcc_lo, exec_lo, s2
	s_cbranch_vccnz .LBB19_546
; %bb.545:
	global_load_i16 v3, v[1:2], off
	s_waitcnt vmcnt(0)
	v_cvt_f32_i32_e32 v3, v3
.LBB19_546:
	s_mov_b32 s2, 0
.LBB19_547:
	s_delay_alu instid0(SALU_CYCLE_1)
	s_and_not1_b32 vcc_lo, exec_lo, s2
	s_cbranch_vccnz .LBB19_553
; %bb.548:
	v_cmp_lt_i16_e32 vcc_lo, 0, v6
	s_mov_b32 s2, 0
	s_cbranch_vccz .LBB19_550
; %bb.549:
	global_load_i8 v3, v[1:2], off
	s_waitcnt vmcnt(0)
	v_cvt_f32_i32_e32 v3, v3
	s_branch .LBB19_551
.LBB19_550:
	s_mov_b32 s2, -1
                                        ; implicit-def: $vgpr3
.LBB19_551:
	s_delay_alu instid0(SALU_CYCLE_1)
	s_and_not1_b32 vcc_lo, exec_lo, s2
	s_cbranch_vccnz .LBB19_553
; %bb.552:
	global_load_u8 v1, v[1:2], off
	s_waitcnt vmcnt(0)
	v_cvt_f32_ubyte0_e32 v3, v1
.LBB19_553:
	s_branch .LBB19_299
.LBB19_554:
	s_mov_b32 s22, 0
	s_mov_b32 s2, s34
.LBB19_555:
                                        ; implicit-def: $vgpr7
.LBB19_556:
	s_and_not1_b32 s23, s34, exec_lo
	s_and_b32 s2, s2, exec_lo
	s_and_not1_b32 s37, s35, exec_lo
	s_and_b32 s3, s3, exec_lo
	s_or_b32 s38, s23, s2
	s_or_b32 s37, s37, s3
	s_or_not1_b32 s2, s22, exec_lo
.LBB19_557:
	s_or_b32 exec_lo, exec_lo, s39
	s_mov_b32 s3, 0
	s_mov_b32 s23, 0
	;; [unrolled: 1-line block ×3, first 2 shown]
                                        ; implicit-def: $vgpr1_vgpr2
                                        ; implicit-def: $vgpr0
                                        ; implicit-def: $vgpr8
	s_and_saveexec_b32 s39, s2
	s_cbranch_execz .LBB19_941
; %bb.558:
	s_mov_b32 s42, -1
	s_mov_b32 s22, s37
	s_mov_b32 s23, s38
	s_mov_b32 s40, exec_lo
	v_cmpx_gt_i32_e64 s30, v7
	s_cbranch_execz .LBB19_842
; %bb.559:
	s_and_not1_b32 vcc_lo, exec_lo, s27
	s_cbranch_vccnz .LBB19_564
; %bb.560:
	v_dual_mov_b32 v0, 0 :: v_dual_mov_b32 v1, 0
	s_and_not1_b32 vcc_lo, exec_lo, s33
	s_mov_b32 s41, 0
	s_cbranch_vccnz .LBB19_569
; %bb.561:
	v_mov_b32_e32 v0, 0
	s_add_i32 s43, s31, 1
	s_cmp_eq_u32 s25, 2
	s_mov_b32 s42, 0
	s_cbranch_scc1 .LBB19_565
; %bb.562:
	v_dual_mov_b32 v1, 0 :: v_dual_mov_b32 v0, 0
	v_mov_b32_e32 v2, v7
	s_and_b32 s42, s43, 28
	s_mov_b32 s44, 0
	s_mov_b64 s[2:3], s[20:21]
	s_mov_b64 s[22:23], s[16:17]
.LBB19_563:                             ; =>This Inner Loop Header: Depth=1
	s_clause 0x1
	s_load_b256 s[48:55], s[22:23], 0x4
	s_load_b128 s[64:67], s[22:23], 0x24
	s_load_b256 s[56:63], s[2:3], 0x0
	s_add_u32 s22, s22, 48
	s_addc_u32 s23, s23, 0
	s_add_i32 s44, s44, 4
	s_add_u32 s2, s2, 32
	s_addc_u32 s3, s3, 0
	s_cmp_eq_u32 s42, s44
	s_waitcnt vmcnt(0) lgkmcnt(0)
	v_mul_hi_u32 v3, s49, v2
	s_delay_alu instid0(VALU_DEP_1) | instskip(NEXT) | instid1(VALU_DEP_1)
	v_add_nc_u32_e32 v3, v2, v3
	v_lshrrev_b32_e32 v3, s50, v3
	s_delay_alu instid0(VALU_DEP_1) | instskip(SKIP_1) | instid1(VALU_DEP_2)
	v_mul_hi_u32 v4, s52, v3
	v_mul_lo_u32 v9, v3, s48
	v_add_nc_u32_e32 v4, v3, v4
	s_delay_alu instid0(VALU_DEP_2) | instskip(NEXT) | instid1(VALU_DEP_2)
	v_sub_nc_u32_e32 v2, v2, v9
	v_lshrrev_b32_e32 v4, s53, v4
	s_delay_alu instid0(VALU_DEP_2) | instskip(SKIP_1) | instid1(VALU_DEP_3)
	v_mul_lo_u32 v9, v2, s56
	v_mul_lo_u32 v11, v2, s57
	v_mul_hi_u32 v8, s55, v4
	s_delay_alu instid0(VALU_DEP_1) | instskip(NEXT) | instid1(VALU_DEP_1)
	v_add_nc_u32_e32 v8, v4, v8
	v_lshrrev_b32_e32 v8, s64, v8
	s_delay_alu instid0(VALU_DEP_1) | instskip(SKIP_1) | instid1(VALU_DEP_2)
	v_mul_hi_u32 v10, s66, v8
	v_mul_lo_u32 v12, v8, s54
	v_add_nc_u32_e32 v2, v8, v10
	v_mul_lo_u32 v10, v4, s51
	s_delay_alu instid0(VALU_DEP_3) | instskip(NEXT) | instid1(VALU_DEP_3)
	v_sub_nc_u32_e32 v4, v4, v12
	v_lshrrev_b32_e32 v2, s67, v2
	s_delay_alu instid0(VALU_DEP_2) | instskip(SKIP_2) | instid1(VALU_DEP_4)
	v_mul_lo_u32 v12, v4, s60
	v_mul_lo_u32 v4, v4, s61
	v_sub_nc_u32_e32 v3, v3, v10
	v_mul_lo_u32 v13, v2, s65
	s_delay_alu instid0(VALU_DEP_2) | instskip(SKIP_1) | instid1(VALU_DEP_3)
	v_mul_lo_u32 v10, v3, s58
	v_mul_lo_u32 v3, v3, s59
	v_sub_nc_u32_e32 v8, v8, v13
	s_delay_alu instid0(VALU_DEP_3) | instskip(NEXT) | instid1(VALU_DEP_2)
	v_add3_u32 v0, v9, v0, v10
	v_mul_lo_u32 v13, v8, s62
	v_mul_lo_u32 v8, v8, s63
	v_add3_u32 v1, v11, v1, v3
	s_delay_alu instid0(VALU_DEP_3) | instskip(NEXT) | instid1(VALU_DEP_2)
	v_add3_u32 v0, v12, v0, v13
	v_add3_u32 v1, v4, v1, v8
	s_cbranch_scc0 .LBB19_563
	s_branch .LBB19_566
.LBB19_564:
	s_mov_b32 s41, -1
                                        ; implicit-def: $vgpr0
                                        ; implicit-def: $vgpr1
	s_branch .LBB19_569
.LBB19_565:
	v_dual_mov_b32 v2, v7 :: v_dual_mov_b32 v1, 0
.LBB19_566:
	s_and_b32 s43, s43, 3
	s_delay_alu instid0(SALU_CYCLE_1)
	s_cmp_eq_u32 s43, 0
	s_cbranch_scc1 .LBB19_569
; %bb.567:
	s_lshl_b32 s2, s42, 3
	s_mul_i32 s22, s42, 12
	s_add_u32 s2, s2, s16
	s_addc_u32 s3, s17, 0
	s_add_u32 s2, s2, 0xc4
	s_addc_u32 s3, s3, 0
	;; [unrolled: 2-line block ×3, first 2 shown]
	.p2align	6
.LBB19_568:                             ; =>This Inner Loop Header: Depth=1
	s_clause 0x1
	s_load_b64 s[44:45], s[22:23], 0x4
	s_load_b32 s42, s[22:23], 0xc
	s_load_b64 s[46:47], s[2:3], 0x0
	s_add_u32 s22, s22, 12
	s_addc_u32 s23, s23, 0
	s_add_u32 s2, s2, 8
	s_addc_u32 s3, s3, 0
	s_add_i32 s43, s43, -1
	s_delay_alu instid0(SALU_CYCLE_1) | instskip(SKIP_2) | instid1(VALU_DEP_1)
	s_cmp_lg_u32 s43, 0
	s_waitcnt vmcnt(0) lgkmcnt(0)
	v_mul_hi_u32 v3, s45, v2
	v_add_nc_u32_e32 v3, v2, v3
	s_delay_alu instid0(VALU_DEP_1) | instskip(NEXT) | instid1(VALU_DEP_1)
	v_lshrrev_b32_e32 v10, s42, v3
	v_mul_lo_u32 v3, v10, s44
	s_delay_alu instid0(VALU_DEP_1) | instskip(NEXT) | instid1(VALU_DEP_1)
	v_sub_nc_u32_e32 v2, v2, v3
	v_mad_u64_u32 v[3:4], null, v2, s46, v[0:1]
	v_mad_u64_u32 v[8:9], null, v2, s47, v[1:2]
	v_mov_b32_e32 v2, v10
	s_delay_alu instid0(VALU_DEP_2)
	v_dual_mov_b32 v0, v3 :: v_dual_mov_b32 v1, v8
	s_cbranch_scc1 .LBB19_568
.LBB19_569:
	s_and_not1_b32 vcc_lo, exec_lo, s41
	s_cbranch_vccnz .LBB19_572
; %bb.570:
	s_waitcnt lgkmcnt(0)
	v_mul_hi_u32 v0, s13, v7
	s_and_not1_b32 vcc_lo, exec_lo, s29
	s_delay_alu instid0(VALU_DEP_1) | instskip(NEXT) | instid1(VALU_DEP_1)
	v_add_nc_u32_e32 v0, v7, v0
	v_lshrrev_b32_e32 v2, s14, v0
	s_delay_alu instid0(VALU_DEP_1) | instskip(NEXT) | instid1(VALU_DEP_1)
	v_mul_lo_u32 v0, v2, s12
	v_sub_nc_u32_e32 v1, v7, v0
	s_delay_alu instid0(VALU_DEP_1)
	v_mul_lo_u32 v0, v1, s8
	v_mul_lo_u32 v1, v1, s9
	s_cbranch_vccnz .LBB19_572
; %bb.571:
	s_waitcnt vmcnt(0)
	v_mul_hi_u32 v3, s18, v2
	s_delay_alu instid0(VALU_DEP_1) | instskip(NEXT) | instid1(VALU_DEP_1)
	v_add_nc_u32_e32 v3, v2, v3
	v_lshrrev_b32_e32 v3, s19, v3
	s_delay_alu instid0(VALU_DEP_1) | instskip(NEXT) | instid1(VALU_DEP_1)
	v_mul_lo_u32 v3, v3, s15
	v_sub_nc_u32_e32 v8, v2, v3
	s_delay_alu instid0(VALU_DEP_1) | instskip(NEXT) | instid1(VALU_DEP_1)
	v_mad_u64_u32 v[2:3], null, v8, s10, v[0:1]
	v_mad_u64_u32 v[3:4], null, v8, s11, v[1:2]
	s_delay_alu instid0(VALU_DEP_1)
	v_dual_mov_b32 v0, v2 :: v_dual_mov_b32 v1, v3
.LBB19_572:
	v_cmp_gt_i16_e32 vcc_lo, 11, v6
	s_waitcnt lgkmcnt(0)
	s_delay_alu instid0(VALU_DEP_2) | instskip(NEXT) | instid1(VALU_DEP_1)
	v_add_co_u32 v1, s2, s6, v1
	v_add_co_ci_u32_e64 v2, null, s7, 0, s2
	s_mov_b32 s2, 0
	s_cbranch_vccnz .LBB19_579
; %bb.573:
	v_cmp_lt_i16_e32 vcc_lo, 25, v6
	s_cbranch_vccz .LBB19_580
; %bb.574:
	v_cmp_lt_i16_e32 vcc_lo, 28, v6
	s_cbranch_vccz .LBB19_581
	;; [unrolled: 3-line block ×4, first 2 shown]
; %bb.577:
	v_cmp_eq_u16_e32 vcc_lo, 46, v6
	s_mov_b32 s22, 0
	s_cbranch_vccz .LBB19_588
; %bb.578:
	global_load_b32 v3, v[1:2], off
	s_mov_b32 s2, -1
	s_mov_b32 s3, 0
	s_waitcnt vmcnt(0)
	v_lshlrev_b32_e32 v3, 16, v3
	s_branch .LBB19_590
.LBB19_579:
	s_mov_b32 s22, -1
	s_mov_b32 s3, s37
                                        ; implicit-def: $vgpr3
	s_branch .LBB19_655
.LBB19_580:
	s_mov_b32 s22, -1
	s_mov_b32 s3, s37
                                        ; implicit-def: $vgpr3
	s_branch .LBB19_619
.LBB19_581:
	s_mov_b32 s22, -1
	s_mov_b32 s3, s37
                                        ; implicit-def: $vgpr3
	s_branch .LBB19_600
.LBB19_582:
	s_mov_b32 s22, -1
	s_mov_b32 s3, s37
                                        ; implicit-def: $vgpr3
	s_branch .LBB19_595
.LBB19_583:
	s_or_saveexec_b32 s37, s37
                                        ; implicit-def: $sgpr38
	s_delay_alu instid0(SALU_CYCLE_1)
	s_xor_b32 exec_lo, exec_lo, s37
	s_cbranch_execz .LBB19_394
.LBB19_584:
	v_add_f32_e64 v0, 0x46000000, |v1|
	s_and_not1_b32 s23, s23, exec_lo
	s_mov_b32 s38, 0
	s_delay_alu instid0(VALU_DEP_1) | instskip(NEXT) | instid1(VALU_DEP_1)
	v_and_b32_e32 v0, 0xff, v0
	v_cmp_ne_u32_e32 vcc_lo, 0, v0
	s_and_b32 s40, vcc_lo, exec_lo
	s_delay_alu instid0(SALU_CYCLE_1)
	s_or_b32 s23, s23, s40
	s_or_b32 exec_lo, exec_lo, s37
	v_mov_b32_e32 v2, s38
	s_and_saveexec_b32 s37, s23
	s_cbranch_execnz .LBB19_395
	s_branch .LBB19_396
.LBB19_585:
	s_mov_b32 s22, -1
	s_mov_b32 s3, s37
	s_branch .LBB19_589
.LBB19_586:
	s_or_saveexec_b32 s37, s37
                                        ; implicit-def: $sgpr38
	s_delay_alu instid0(SALU_CYCLE_1)
	s_xor_b32 exec_lo, exec_lo, s37
	s_cbranch_execz .LBB19_407
.LBB19_587:
	v_add_f32_e64 v0, 0x42800000, |v1|
	s_and_not1_b32 s23, s23, exec_lo
	s_mov_b32 s38, 0
	s_delay_alu instid0(VALU_DEP_1) | instskip(NEXT) | instid1(VALU_DEP_1)
	v_and_b32_e32 v0, 0xff, v0
	v_cmp_ne_u32_e32 vcc_lo, 0, v0
	s_and_b32 s40, vcc_lo, exec_lo
	s_delay_alu instid0(SALU_CYCLE_1)
	s_or_b32 s23, s23, s40
	s_or_b32 exec_lo, exec_lo, s37
	v_mov_b32_e32 v2, s38
	s_and_saveexec_b32 s37, s23
	s_cbranch_execnz .LBB19_408
	s_branch .LBB19_409
.LBB19_588:
	s_mov_b32 s3, -1
.LBB19_589:
                                        ; implicit-def: $vgpr3
.LBB19_590:
	s_and_b32 vcc_lo, exec_lo, s22
	s_cbranch_vccz .LBB19_594
; %bb.591:
	v_cmp_eq_u16_e32 vcc_lo, 44, v6
	s_cbranch_vccz .LBB19_593
; %bb.592:
	global_load_u8 v3, v[1:2], off
	s_mov_b32 s3, 0
	s_mov_b32 s2, -1
	s_waitcnt vmcnt(0)
	v_lshlrev_b32_e32 v4, 23, v3
	v_cmp_ne_u32_e32 vcc_lo, 0xff, v3
	s_delay_alu instid0(VALU_DEP_2) | instskip(SKIP_1) | instid1(VALU_DEP_2)
	v_cndmask_b32_e32 v4, 0x7f800001, v4, vcc_lo
	v_cmp_ne_u32_e32 vcc_lo, 0, v3
	v_cndmask_b32_e32 v3, 0x400000, v4, vcc_lo
	s_branch .LBB19_594
.LBB19_593:
	s_mov_b32 s3, -1
                                        ; implicit-def: $vgpr3
.LBB19_594:
	s_mov_b32 s22, 0
.LBB19_595:
	s_delay_alu instid0(SALU_CYCLE_1)
	s_and_b32 vcc_lo, exec_lo, s22
	s_cbranch_vccz .LBB19_599
; %bb.596:
	v_cmp_eq_u16_e32 vcc_lo, 29, v6
	s_cbranch_vccz .LBB19_598
; %bb.597:
	global_load_b64 v[3:4], v[1:2], off
	s_mov_b32 s2, -1
	s_mov_b32 s3, 0
	s_mov_b32 s22, 0
	s_waitcnt vmcnt(0)
	v_clz_i32_u32_e32 v8, v4
	s_delay_alu instid0(VALU_DEP_1) | instskip(NEXT) | instid1(VALU_DEP_1)
	v_min_u32_e32 v8, 32, v8
	v_lshlrev_b64 v[3:4], v8, v[3:4]
	s_delay_alu instid0(VALU_DEP_1) | instskip(NEXT) | instid1(VALU_DEP_1)
	v_min_u32_e32 v3, 1, v3
	v_or_b32_e32 v3, v4, v3
	v_sub_nc_u32_e32 v4, 32, v8
	s_delay_alu instid0(VALU_DEP_2) | instskip(NEXT) | instid1(VALU_DEP_1)
	v_cvt_f32_u32_e32 v3, v3
	v_ldexp_f32 v3, v3, v4
	s_branch .LBB19_600
.LBB19_598:
	s_mov_b32 s3, -1
                                        ; implicit-def: $vgpr3
.LBB19_599:
	s_mov_b32 s22, 0
.LBB19_600:
	s_delay_alu instid0(SALU_CYCLE_1)
	s_and_b32 vcc_lo, exec_lo, s22
	s_cbranch_vccz .LBB19_618
; %bb.601:
	v_cmp_gt_i16_e32 vcc_lo, 27, v6
	s_cbranch_vccnz .LBB19_604
; %bb.602:
	v_cmp_lt_i16_e32 vcc_lo, 27, v6
	s_cbranch_vccz .LBB19_605
; %bb.603:
	global_load_b32 v3, v[1:2], off
	s_mov_b32 s2, 0
	s_waitcnt vmcnt(0)
	v_cvt_f32_u32_e32 v3, v3
	s_branch .LBB19_606
.LBB19_604:
	s_mov_b32 s2, -1
                                        ; implicit-def: $vgpr3
	s_branch .LBB19_609
.LBB19_605:
	s_mov_b32 s2, -1
                                        ; implicit-def: $vgpr3
.LBB19_606:
	s_delay_alu instid0(SALU_CYCLE_1)
	s_and_not1_b32 vcc_lo, exec_lo, s2
	s_cbranch_vccnz .LBB19_608
; %bb.607:
	global_load_u16 v3, v[1:2], off
	s_waitcnt vmcnt(0)
	v_cvt_f32_u32_e32 v3, v3
.LBB19_608:
	s_mov_b32 s2, 0
.LBB19_609:
	s_delay_alu instid0(SALU_CYCLE_1)
	s_and_not1_b32 vcc_lo, exec_lo, s2
	s_cbranch_vccnz .LBB19_617
; %bb.610:
	global_load_u8 v4, v[1:2], off
	s_mov_b32 s2, 0
	s_mov_b32 s23, exec_lo
                                        ; implicit-def: $sgpr22
	s_waitcnt vmcnt(0)
	v_cmpx_lt_i16_e32 0x7f, v4
	s_xor_b32 s23, exec_lo, s23
	s_cbranch_execz .LBB19_631
; %bb.611:
	s_mov_b32 s2, -1
	s_mov_b32 s41, exec_lo
                                        ; implicit-def: $sgpr22
	v_cmpx_eq_u16_e32 0x80, v4
; %bb.612:
	s_mov_b32 s22, 0x7f800001
	s_xor_b32 s2, exec_lo, -1
; %bb.613:
	s_or_b32 exec_lo, exec_lo, s41
	s_delay_alu instid0(SALU_CYCLE_1)
	s_and_b32 s2, s2, exec_lo
	s_or_saveexec_b32 s23, s23
	v_mov_b32_e32 v3, s22
	s_xor_b32 exec_lo, exec_lo, s23
	s_cbranch_execnz .LBB19_632
.LBB19_614:
	s_or_b32 exec_lo, exec_lo, s23
	s_and_saveexec_b32 s22, s2
	s_cbranch_execz .LBB19_616
.LBB19_615:
	v_and_b32_e32 v3, 0xffff, v4
	v_lshlrev_b32_e32 v4, 24, v4
	s_delay_alu instid0(VALU_DEP_2) | instskip(NEXT) | instid1(VALU_DEP_2)
	v_and_b32_e32 v8, 7, v3
	v_and_b32_e32 v4, 0x80000000, v4
	s_delay_alu instid0(VALU_DEP_2) | instskip(NEXT) | instid1(VALU_DEP_1)
	v_clz_i32_u32_e32 v9, v8
	v_min_u32_e32 v9, 32, v9
	s_delay_alu instid0(VALU_DEP_1) | instskip(SKIP_1) | instid1(VALU_DEP_2)
	v_subrev_nc_u32_e32 v10, 28, v9
	v_sub_nc_u32_e32 v9, 29, v9
	v_lshlrev_b32_e32 v10, v10, v3
	v_bfe_u32 v3, v3, 3, 4
	s_delay_alu instid0(VALU_DEP_2) | instskip(NEXT) | instid1(VALU_DEP_2)
	v_and_b32_e32 v10, 7, v10
	v_cmp_eq_u32_e32 vcc_lo, 0, v3
	s_delay_alu instid0(VALU_DEP_2) | instskip(NEXT) | instid1(VALU_DEP_1)
	v_dual_cndmask_b32 v3, v3, v9 :: v_dual_cndmask_b32 v8, v8, v10
	v_lshl_add_u32 v3, v3, 23, 0x3b800000
	s_delay_alu instid0(VALU_DEP_2) | instskip(NEXT) | instid1(VALU_DEP_1)
	v_lshlrev_b32_e32 v8, 20, v8
	v_or3_b32 v3, v4, v3, v8
.LBB19_616:
	s_or_b32 exec_lo, exec_lo, s22
.LBB19_617:
	s_mov_b32 s2, -1
.LBB19_618:
	s_mov_b32 s22, 0
.LBB19_619:
	s_delay_alu instid0(SALU_CYCLE_1)
	s_and_b32 vcc_lo, exec_lo, s22
	s_cbranch_vccz .LBB19_654
; %bb.620:
	v_cmp_lt_i16_e32 vcc_lo, 22, v6
	s_cbranch_vccz .LBB19_630
; %bb.621:
	v_cmp_gt_i16_e32 vcc_lo, 24, v6
	s_cbranch_vccnz .LBB19_633
; %bb.622:
	v_cmp_lt_i16_e32 vcc_lo, 24, v6
	s_cbranch_vccz .LBB19_634
; %bb.623:
	global_load_u8 v4, v[1:2], off
	s_mov_b32 s2, 0
	s_mov_b32 s23, exec_lo
                                        ; implicit-def: $sgpr22
	s_waitcnt vmcnt(0)
	v_cmpx_lt_i16_e32 0x7f, v4
	s_xor_b32 s23, exec_lo, s23
	s_cbranch_execz .LBB19_646
; %bb.624:
	s_mov_b32 s2, -1
	s_mov_b32 s41, exec_lo
                                        ; implicit-def: $sgpr22
	v_cmpx_eq_u16_e32 0x80, v4
; %bb.625:
	s_mov_b32 s22, 0x7f800001
	s_xor_b32 s2, exec_lo, -1
; %bb.626:
	s_or_b32 exec_lo, exec_lo, s41
	s_delay_alu instid0(SALU_CYCLE_1)
	s_and_b32 s2, s2, exec_lo
	s_or_saveexec_b32 s23, s23
	v_mov_b32_e32 v3, s22
	s_xor_b32 exec_lo, exec_lo, s23
	s_cbranch_execnz .LBB19_647
.LBB19_627:
	s_or_b32 exec_lo, exec_lo, s23
	s_and_saveexec_b32 s22, s2
	s_cbranch_execz .LBB19_629
.LBB19_628:
	v_and_b32_e32 v3, 0xffff, v4
	v_lshlrev_b32_e32 v4, 24, v4
	s_delay_alu instid0(VALU_DEP_2) | instskip(NEXT) | instid1(VALU_DEP_2)
	v_and_b32_e32 v8, 3, v3
	v_and_b32_e32 v4, 0x80000000, v4
	s_delay_alu instid0(VALU_DEP_2) | instskip(NEXT) | instid1(VALU_DEP_1)
	v_clz_i32_u32_e32 v9, v8
	v_min_u32_e32 v9, 32, v9
	s_delay_alu instid0(VALU_DEP_1) | instskip(SKIP_1) | instid1(VALU_DEP_2)
	v_subrev_nc_u32_e32 v10, 29, v9
	v_sub_nc_u32_e32 v9, 30, v9
	v_lshlrev_b32_e32 v10, v10, v3
	v_bfe_u32 v3, v3, 2, 5
	s_delay_alu instid0(VALU_DEP_2) | instskip(NEXT) | instid1(VALU_DEP_2)
	v_and_b32_e32 v10, 3, v10
	v_cmp_eq_u32_e32 vcc_lo, 0, v3
	s_delay_alu instid0(VALU_DEP_2) | instskip(NEXT) | instid1(VALU_DEP_1)
	v_dual_cndmask_b32 v3, v3, v9 :: v_dual_cndmask_b32 v8, v8, v10
	v_lshl_add_u32 v3, v3, 23, 0x37800000
	s_delay_alu instid0(VALU_DEP_2) | instskip(NEXT) | instid1(VALU_DEP_1)
	v_lshlrev_b32_e32 v8, 21, v8
	v_or3_b32 v3, v4, v3, v8
.LBB19_629:
	s_or_b32 exec_lo, exec_lo, s22
	s_mov_b32 s2, 0
	s_branch .LBB19_635
.LBB19_630:
	s_mov_b32 s22, -1
                                        ; implicit-def: $vgpr3
	s_branch .LBB19_641
.LBB19_631:
	s_or_saveexec_b32 s23, s23
	v_mov_b32_e32 v3, s22
	s_xor_b32 exec_lo, exec_lo, s23
	s_cbranch_execz .LBB19_614
.LBB19_632:
	v_cmp_ne_u16_e32 vcc_lo, 0, v4
	v_mov_b32_e32 v3, 0
	s_and_not1_b32 s2, s2, exec_lo
	s_and_b32 s22, vcc_lo, exec_lo
	s_delay_alu instid0(SALU_CYCLE_1)
	s_or_b32 s2, s2, s22
	s_or_b32 exec_lo, exec_lo, s23
	s_and_saveexec_b32 s22, s2
	s_cbranch_execnz .LBB19_615
	s_branch .LBB19_616
.LBB19_633:
	s_mov_b32 s2, -1
                                        ; implicit-def: $vgpr3
	s_branch .LBB19_638
.LBB19_634:
	s_mov_b32 s2, -1
                                        ; implicit-def: $vgpr3
.LBB19_635:
	s_delay_alu instid0(SALU_CYCLE_1)
	s_and_b32 vcc_lo, exec_lo, s2
	s_cbranch_vccz .LBB19_637
; %bb.636:
	global_load_u8 v3, v[1:2], off
	s_waitcnt vmcnt(0)
	v_lshlrev_b32_e32 v3, 24, v3
	s_delay_alu instid0(VALU_DEP_1) | instskip(NEXT) | instid1(VALU_DEP_1)
	v_and_b32_e32 v4, 0x7f000000, v3
	v_clz_i32_u32_e32 v8, v4
	v_add_nc_u32_e32 v10, 0x1000000, v4
	v_cmp_ne_u32_e32 vcc_lo, 0, v4
	s_delay_alu instid0(VALU_DEP_3) | instskip(NEXT) | instid1(VALU_DEP_1)
	v_min_u32_e32 v8, 32, v8
	v_sub_nc_u32_e64 v8, v8, 4 clamp
	s_delay_alu instid0(VALU_DEP_1) | instskip(SKIP_1) | instid1(VALU_DEP_2)
	v_lshlrev_b32_e32 v9, v8, v4
	v_lshlrev_b32_e32 v8, 23, v8
	v_lshrrev_b32_e32 v9, 4, v9
	s_delay_alu instid0(VALU_DEP_1) | instskip(SKIP_1) | instid1(VALU_DEP_2)
	v_sub_nc_u32_e32 v8, v9, v8
	v_ashrrev_i32_e32 v9, 8, v10
	v_add_nc_u32_e32 v8, 0x3c000000, v8
	s_delay_alu instid0(VALU_DEP_1) | instskip(NEXT) | instid1(VALU_DEP_1)
	v_and_or_b32 v8, 0x7f800000, v9, v8
	v_cndmask_b32_e32 v4, 0, v8, vcc_lo
	s_delay_alu instid0(VALU_DEP_1)
	v_and_or_b32 v3, 0x80000000, v3, v4
.LBB19_637:
	s_mov_b32 s2, 0
.LBB19_638:
	s_delay_alu instid0(SALU_CYCLE_1)
	s_and_not1_b32 vcc_lo, exec_lo, s2
	s_cbranch_vccnz .LBB19_640
; %bb.639:
	global_load_u8 v3, v[1:2], off
	s_waitcnt vmcnt(0)
	v_lshlrev_b32_e32 v4, 25, v3
	v_lshlrev_b16 v3, 8, v3
	s_delay_alu instid0(VALU_DEP_1) | instskip(SKIP_1) | instid1(VALU_DEP_2)
	v_and_or_b32 v9, 0x7f00, v3, 0.5
	v_bfe_i32 v3, v3, 0, 16
	v_add_f32_e32 v9, -0.5, v9
	v_lshrrev_b32_e32 v8, 4, v4
	v_cmp_gt_u32_e32 vcc_lo, 0x8000000, v4
	s_delay_alu instid0(VALU_DEP_2) | instskip(NEXT) | instid1(VALU_DEP_1)
	v_or_b32_e32 v8, 0x70000000, v8
	v_mul_f32_e32 v8, 0x7800000, v8
	s_delay_alu instid0(VALU_DEP_1) | instskip(NEXT) | instid1(VALU_DEP_1)
	v_cndmask_b32_e32 v4, v8, v9, vcc_lo
	v_and_or_b32 v3, 0x80000000, v3, v4
.LBB19_640:
	s_mov_b32 s22, 0
	s_mov_b32 s2, -1
.LBB19_641:
	s_and_not1_b32 vcc_lo, exec_lo, s22
	s_cbranch_vccnz .LBB19_654
; %bb.642:
	v_cmp_lt_i16_e32 vcc_lo, 14, v6
	s_cbranch_vccz .LBB19_645
; %bb.643:
	v_cmp_eq_u16_e32 vcc_lo, 15, v6
	s_cbranch_vccz .LBB19_648
; %bb.644:
	global_load_u16 v3, v[1:2], off
	s_mov_b32 s2, -1
	s_mov_b32 s3, 0
	s_waitcnt vmcnt(0)
	v_lshlrev_b32_e32 v3, 16, v3
	s_branch .LBB19_649
.LBB19_645:
	s_mov_b32 s22, -1
                                        ; implicit-def: $vgpr3
	s_branch .LBB19_650
.LBB19_646:
	s_or_saveexec_b32 s23, s23
	v_mov_b32_e32 v3, s22
	s_xor_b32 exec_lo, exec_lo, s23
	s_cbranch_execz .LBB19_627
.LBB19_647:
	v_cmp_ne_u16_e32 vcc_lo, 0, v4
	v_mov_b32_e32 v3, 0
	s_and_not1_b32 s2, s2, exec_lo
	s_and_b32 s22, vcc_lo, exec_lo
	s_delay_alu instid0(SALU_CYCLE_1)
	s_or_b32 s2, s2, s22
	s_or_b32 exec_lo, exec_lo, s23
	s_and_saveexec_b32 s22, s2
	s_cbranch_execnz .LBB19_628
	s_branch .LBB19_629
.LBB19_648:
	s_mov_b32 s3, -1
                                        ; implicit-def: $vgpr3
.LBB19_649:
	s_mov_b32 s22, 0
.LBB19_650:
	s_delay_alu instid0(SALU_CYCLE_1)
	s_and_b32 vcc_lo, exec_lo, s22
	s_cbranch_vccz .LBB19_654
; %bb.651:
	v_cmp_eq_u16_e32 vcc_lo, 11, v6
	s_cbranch_vccz .LBB19_653
; %bb.652:
	global_load_u8 v3, v[1:2], off
	s_mov_b32 s3, 0
	s_mov_b32 s2, -1
	s_waitcnt vmcnt(0)
	v_cmp_ne_u16_e32 vcc_lo, 0, v3
	v_cndmask_b32_e64 v3, 0, 1.0, vcc_lo
	s_branch .LBB19_654
.LBB19_653:
	s_mov_b32 s3, -1
                                        ; implicit-def: $vgpr3
.LBB19_654:
	s_mov_b32 s22, 0
.LBB19_655:
	s_delay_alu instid0(SALU_CYCLE_1)
	s_and_b32 vcc_lo, exec_lo, s22
	s_cbranch_vccz .LBB19_704
; %bb.656:
	v_cmp_gt_i16_e32 vcc_lo, 5, v6
	s_cbranch_vccnz .LBB19_661
; %bb.657:
	v_cmp_gt_i16_e32 vcc_lo, 8, v6
	s_cbranch_vccnz .LBB19_662
	;; [unrolled: 3-line block ×3, first 2 shown]
; %bb.659:
	v_cmp_lt_i16_e32 vcc_lo, 9, v6
	s_cbranch_vccz .LBB19_664
; %bb.660:
	global_load_b64 v[3:4], v[1:2], off
	s_mov_b32 s2, 0
	s_waitcnt vmcnt(0)
	v_cvt_f32_f64_e32 v3, v[3:4]
	s_branch .LBB19_665
.LBB19_661:
	s_mov_b32 s2, -1
                                        ; implicit-def: $vgpr3
	s_branch .LBB19_683
.LBB19_662:
	s_mov_b32 s2, -1
                                        ; implicit-def: $vgpr3
	s_branch .LBB19_671
.LBB19_663:
	s_mov_b32 s2, -1
                                        ; implicit-def: $vgpr3
	s_branch .LBB19_668
.LBB19_664:
	s_mov_b32 s2, -1
                                        ; implicit-def: $vgpr3
.LBB19_665:
	s_delay_alu instid0(SALU_CYCLE_1)
	s_and_not1_b32 vcc_lo, exec_lo, s2
	s_cbranch_vccnz .LBB19_667
; %bb.666:
	global_load_b32 v3, v[1:2], off
.LBB19_667:
	s_mov_b32 s2, 0
.LBB19_668:
	s_delay_alu instid0(SALU_CYCLE_1)
	s_and_not1_b32 vcc_lo, exec_lo, s2
	s_cbranch_vccnz .LBB19_670
; %bb.669:
	global_load_b32 v3, v[1:2], off
	s_waitcnt vmcnt(0)
	v_cvt_f32_f16_e32 v3, v3
.LBB19_670:
	s_mov_b32 s2, 0
.LBB19_671:
	s_delay_alu instid0(SALU_CYCLE_1)
	s_and_not1_b32 vcc_lo, exec_lo, s2
	s_cbranch_vccnz .LBB19_682
; %bb.672:
	v_cmp_gt_i16_e32 vcc_lo, 6, v6
	s_cbranch_vccnz .LBB19_675
; %bb.673:
	v_cmp_lt_i16_e32 vcc_lo, 6, v6
	s_cbranch_vccz .LBB19_676
; %bb.674:
	global_load_b64 v[3:4], v[1:2], off
	s_mov_b32 s2, 0
	s_waitcnt vmcnt(0)
	v_cvt_f32_f64_e32 v3, v[3:4]
	s_branch .LBB19_677
.LBB19_675:
	s_mov_b32 s2, -1
                                        ; implicit-def: $vgpr3
	s_branch .LBB19_680
.LBB19_676:
	s_mov_b32 s2, -1
                                        ; implicit-def: $vgpr3
.LBB19_677:
	s_delay_alu instid0(SALU_CYCLE_1)
	s_and_not1_b32 vcc_lo, exec_lo, s2
	s_cbranch_vccnz .LBB19_679
; %bb.678:
	global_load_b32 v3, v[1:2], off
.LBB19_679:
	s_mov_b32 s2, 0
.LBB19_680:
	s_delay_alu instid0(SALU_CYCLE_1)
	s_and_not1_b32 vcc_lo, exec_lo, s2
	s_cbranch_vccnz .LBB19_682
; %bb.681:
	global_load_u16 v3, v[1:2], off
	s_waitcnt vmcnt(0)
	v_cvt_f32_f16_e32 v3, v3
.LBB19_682:
	s_mov_b32 s2, 0
.LBB19_683:
	s_delay_alu instid0(SALU_CYCLE_1)
	s_and_not1_b32 vcc_lo, exec_lo, s2
	s_cbranch_vccnz .LBB19_703
; %bb.684:
	v_cmp_gt_i16_e32 vcc_lo, 2, v6
	s_cbranch_vccnz .LBB19_688
; %bb.685:
	v_cmp_gt_i16_e32 vcc_lo, 3, v6
	s_cbranch_vccnz .LBB19_689
; %bb.686:
	v_cmp_lt_i16_e32 vcc_lo, 3, v6
	s_cbranch_vccz .LBB19_690
; %bb.687:
	global_load_b64 v[3:4], v[1:2], off
	s_mov_b32 s2, 0
	s_waitcnt vmcnt(0)
	v_xor_b32_e32 v8, v3, v4
	v_cls_i32_e32 v9, v4
	s_delay_alu instid0(VALU_DEP_2) | instskip(NEXT) | instid1(VALU_DEP_2)
	v_ashrrev_i32_e32 v8, 31, v8
	v_add_nc_u32_e32 v9, -1, v9
	s_delay_alu instid0(VALU_DEP_2) | instskip(NEXT) | instid1(VALU_DEP_1)
	v_add_nc_u32_e32 v8, 32, v8
	v_min_u32_e32 v8, v9, v8
	s_delay_alu instid0(VALU_DEP_1) | instskip(NEXT) | instid1(VALU_DEP_1)
	v_lshlrev_b64 v[3:4], v8, v[3:4]
	v_min_u32_e32 v3, 1, v3
	s_delay_alu instid0(VALU_DEP_1) | instskip(SKIP_1) | instid1(VALU_DEP_2)
	v_or_b32_e32 v3, v4, v3
	v_sub_nc_u32_e32 v4, 32, v8
	v_cvt_f32_i32_e32 v3, v3
	s_delay_alu instid0(VALU_DEP_1)
	v_ldexp_f32 v3, v3, v4
	s_branch .LBB19_691
.LBB19_688:
	s_mov_b32 s2, -1
                                        ; implicit-def: $vgpr3
	s_branch .LBB19_697
.LBB19_689:
	s_mov_b32 s2, -1
                                        ; implicit-def: $vgpr3
	s_branch .LBB19_694
.LBB19_690:
	s_mov_b32 s2, -1
                                        ; implicit-def: $vgpr3
.LBB19_691:
	s_delay_alu instid0(SALU_CYCLE_1)
	s_and_not1_b32 vcc_lo, exec_lo, s2
	s_cbranch_vccnz .LBB19_693
; %bb.692:
	global_load_b32 v3, v[1:2], off
	s_waitcnt vmcnt(0)
	v_cvt_f32_i32_e32 v3, v3
.LBB19_693:
	s_mov_b32 s2, 0
.LBB19_694:
	s_delay_alu instid0(SALU_CYCLE_1)
	s_and_not1_b32 vcc_lo, exec_lo, s2
	s_cbranch_vccnz .LBB19_696
; %bb.695:
	global_load_i16 v3, v[1:2], off
	s_waitcnt vmcnt(0)
	v_cvt_f32_i32_e32 v3, v3
.LBB19_696:
	s_mov_b32 s2, 0
.LBB19_697:
	s_delay_alu instid0(SALU_CYCLE_1)
	s_and_not1_b32 vcc_lo, exec_lo, s2
	s_cbranch_vccnz .LBB19_703
; %bb.698:
	v_cmp_lt_i16_e32 vcc_lo, 0, v6
	s_mov_b32 s2, 0
	s_cbranch_vccz .LBB19_700
; %bb.699:
	global_load_i8 v3, v[1:2], off
	s_waitcnt vmcnt(0)
	v_cvt_f32_i32_e32 v3, v3
	s_branch .LBB19_701
.LBB19_700:
	s_mov_b32 s2, -1
                                        ; implicit-def: $vgpr3
.LBB19_701:
	s_delay_alu instid0(SALU_CYCLE_1)
	s_and_not1_b32 vcc_lo, exec_lo, s2
	s_cbranch_vccnz .LBB19_703
; %bb.702:
	global_load_u8 v1, v[1:2], off
	s_waitcnt vmcnt(0)
	v_cvt_f32_ubyte0_e32 v3, v1
.LBB19_703:
	s_mov_b32 s2, -1
.LBB19_704:
	s_delay_alu instid0(SALU_CYCLE_1)
	s_and_not1_b32 vcc_lo, exec_lo, s2
	s_cbranch_vccnz .LBB19_724
; %bb.705:
	s_waitcnt vmcnt(0)
	s_delay_alu instid0(VALU_DEP_1) | instskip(NEXT) | instid1(VALU_DEP_1)
	v_cmp_ge_f32_e64 s2, 0x41000000, |v3|
                                        ; implicit-def: $vgpr1
	s_and_saveexec_b32 s22, s2
	s_delay_alu instid0(SALU_CYCLE_1)
	s_xor_b32 s2, exec_lo, s22
	s_cbranch_execz .LBB19_711
; %bb.706:
	v_fma_f32 v1, |v3|, 0.5, -2.0
	s_mov_b32 s22, 0x224cf950
	s_delay_alu instid0(VALU_DEP_1) | instid1(SALU_CYCLE_1)
	v_fmaak_f32 v2, s22, v1, 0xa3c2be86
	s_mov_b32 s22, exec_lo
	s_delay_alu instid0(VALU_DEP_1) | instskip(NEXT) | instid1(VALU_DEP_1)
	v_fmaak_f32 v4, v1, v2, 0xa24cf950
	v_add_f32_e32 v4, 0x25331f1f, v4
	s_delay_alu instid0(VALU_DEP_1) | instskip(NEXT) | instid1(VALU_DEP_1)
	v_fma_f32 v2, v1, v4, -v2
	v_add_f32_e32 v2, 0xa69f5554, v2
	s_delay_alu instid0(VALU_DEP_1) | instskip(NEXT) | instid1(VALU_DEP_1)
	v_fma_f32 v4, v1, v2, -v4
	;; [unrolled: 3-line block ×26, first 2 shown]
	v_add_f32_e32 v1, 0x3e81531c, v1
	s_delay_alu instid0(VALU_DEP_1)
	v_sub_f32_e32 v2, v1, v4
                                        ; implicit-def: $vgpr1
	v_cmpx_ngt_f32_e32 0, v3
	s_xor_b32 s22, exec_lo, s22
	s_cbranch_execz .LBB19_708
; %bb.707:
	v_mul_f32_e64 v1, 0x3fb8aa3b, |v3|
	v_cmp_ngt_f32_e64 vcc_lo, 0xc2ce8ed0, |v3|
	v_mul_f32_e32 v2, 0.5, v2
	s_delay_alu instid0(VALU_DEP_3) | instskip(SKIP_1) | instid1(VALU_DEP_3)
	v_rndne_f32_e32 v4, v1
	v_fma_f32 v8, 0x3fb8aa3b, |v3|, -v1
	v_mul_f32_e64 v2, |v3|, v2
	s_delay_alu instid0(VALU_DEP_3) | instskip(NEXT) | instid1(VALU_DEP_3)
	v_sub_f32_e32 v1, v1, v4
	v_fma_f32 v8, 0x32a5705f, |v3|, v8
	v_cvt_i32_f32_e32 v4, v4
	s_delay_alu instid0(VALU_DEP_2) | instskip(NEXT) | instid1(VALU_DEP_1)
	v_add_f32_e32 v1, v1, v8
	v_exp_f32_e32 v1, v1
	s_waitcnt_depctr 0xfff
	v_ldexp_f32 v1, v1, v4
	s_delay_alu instid0(VALU_DEP_1) | instskip(SKIP_1) | instid1(VALU_DEP_2)
	v_cndmask_b32_e32 v1, 0, v1, vcc_lo
	v_cmp_nlt_f32_e64 vcc_lo, 0x42b17218, |v3|
                                        ; implicit-def: $vgpr3
	v_cndmask_b32_e32 v1, 0x7f800000, v1, vcc_lo
	s_delay_alu instid0(VALU_DEP_1)
	v_mul_f32_e32 v1, v1, v2
                                        ; implicit-def: $vgpr2
.LBB19_708:
	s_and_not1_saveexec_b32 s22, s22
	s_cbranch_execz .LBB19_710
; %bb.709:
	v_mul_f32_e64 v1, 0x3fb8aa3b, |v3|
	v_cmp_ngt_f32_e64 vcc_lo, 0xc2ce8ed0, |v3|
	v_mul_f32_e32 v2, -0.5, v2
	s_delay_alu instid0(VALU_DEP_3) | instskip(SKIP_1) | instid1(VALU_DEP_3)
	v_rndne_f32_e32 v4, v1
	v_fma_f32 v8, 0x3fb8aa3b, |v3|, -v1
	v_mul_f32_e64 v2, |v3|, v2
	s_delay_alu instid0(VALU_DEP_3) | instskip(NEXT) | instid1(VALU_DEP_3)
	v_sub_f32_e32 v1, v1, v4
	v_fma_f32 v8, 0x32a5705f, |v3|, v8
	v_cvt_i32_f32_e32 v4, v4
	s_delay_alu instid0(VALU_DEP_2) | instskip(NEXT) | instid1(VALU_DEP_1)
	v_add_f32_e32 v1, v1, v8
	v_exp_f32_e32 v1, v1
	s_waitcnt_depctr 0xfff
	v_ldexp_f32 v1, v1, v4
	s_delay_alu instid0(VALU_DEP_1) | instskip(SKIP_1) | instid1(VALU_DEP_2)
	v_cndmask_b32_e32 v1, 0, v1, vcc_lo
	v_cmp_nlt_f32_e64 vcc_lo, 0x42b17218, |v3|
	v_cndmask_b32_e32 v1, 0x7f800000, v1, vcc_lo
	s_delay_alu instid0(VALU_DEP_1)
	v_mul_f32_e32 v1, v1, v2
.LBB19_710:
	s_or_b32 exec_lo, exec_lo, s22
                                        ; implicit-def: $vgpr3
.LBB19_711:
	s_and_not1_saveexec_b32 s22, s2
	s_cbranch_execz .LBB19_717
; %bb.712:
	v_and_b32_e32 v1, 0x7fffffff, v3
	s_mov_b32 s2, 0x230aab6e
	s_delay_alu instid0(VALU_DEP_1) | instskip(NEXT) | instid1(VALU_DEP_1)
	v_div_scale_f32 v2, null, v1, v1, 0x42000000
	v_rcp_f32_e32 v4, v2
	s_waitcnt_depctr 0xfff
	v_fma_f32 v8, -v2, v4, 1.0
	s_delay_alu instid0(VALU_DEP_1) | instskip(SKIP_1) | instid1(VALU_DEP_1)
	v_fmac_f32_e32 v4, v8, v4
	v_div_scale_f32 v1, vcc_lo, 0x42000000, v1, 0x42000000
	v_mul_f32_e32 v8, v1, v4
	s_delay_alu instid0(VALU_DEP_1) | instskip(NEXT) | instid1(VALU_DEP_1)
	v_fma_f32 v9, -v2, v8, v1
	v_fmac_f32_e32 v8, v9, v4
	s_delay_alu instid0(VALU_DEP_1) | instskip(NEXT) | instid1(VALU_DEP_1)
	v_fma_f32 v1, -v2, v8, v1
	v_div_fmas_f32 v1, v1, v4, v8
	v_mul_f32_e64 v8, 0x3fb8aa3b, |v3|
	v_cmp_ngt_f32_e64 vcc_lo, 0xc2ce8ed0, |v3|
	s_delay_alu instid0(VALU_DEP_3) | instskip(NEXT) | instid1(VALU_DEP_3)
	v_div_fixup_f32 v1, v1, |v3|, 0x42000000
	v_rndne_f32_e32 v9, v8
	v_fma_f32 v10, 0x3fb8aa3b, |v3|, -v8
	s_delay_alu instid0(VALU_DEP_3) | instskip(NEXT) | instid1(VALU_DEP_3)
	v_add_f32_e32 v1, -2.0, v1
	v_sub_f32_e32 v8, v8, v9
	s_delay_alu instid0(VALU_DEP_3) | instskip(SKIP_1) | instid1(VALU_DEP_4)
	v_fma_f32 v10, 0x32a5705f, |v3|, v10
	v_cvt_i32_f32_e32 v9, v9
	v_fmaak_f32 v2, s2, v1, 0x22a2dc57
	v_cmp_nlt_f32_e64 s2, 0x42b17218, |v3|
	s_delay_alu instid0(VALU_DEP_4) | instskip(NEXT) | instid1(VALU_DEP_3)
	v_add_f32_e32 v8, v8, v10
	v_fmaak_f32 v4, v1, v2, 0xa30aab6e
	s_delay_alu instid0(VALU_DEP_2) | instskip(NEXT) | instid1(VALU_DEP_1)
	v_exp_f32_e32 v8, v8
	v_add_f32_e32 v4, 0xa456751e, v4
	s_delay_alu instid0(VALU_DEP_1) | instskip(NEXT) | instid1(VALU_DEP_1)
	v_fma_f32 v2, v1, v4, -v2
	v_add_f32_e32 v2, 0xa4140365, v2
	s_delay_alu instid0(VALU_DEP_1) | instskip(NEXT) | instid1(VALU_DEP_1)
	v_fma_f32 v4, v1, v2, -v4
	;; [unrolled: 3-line block ×21, first 2 shown]
	v_add_f32_e32 v2, 0xbc1fed03, v2
	s_delay_alu instid0(VALU_DEP_1) | instskip(SKIP_2) | instid1(VALU_DEP_2)
	v_fma_f32 v1, v1, v2, -v4
	v_ldexp_f32 v2, v8, v9
	v_mul_f32_e64 v8, 0x4f800000, |v3|
	v_dual_add_f32 v1, 0x3f4750c6, v1 :: v_dual_cndmask_b32 v2, 0, v2
	s_delay_alu instid0(VALU_DEP_1) | instskip(NEXT) | instid1(VALU_DEP_2)
	v_sub_f32_e32 v1, v1, v4
	v_cndmask_b32_e64 v2, 0x7f800000, v2, s2
	s_mov_b32 s2, exec_lo
	s_delay_alu instid0(VALU_DEP_2)
	v_mul_f32_e32 v4, 0.5, v1
                                        ; implicit-def: $vgpr1
	v_cmpx_ngt_f32_e32 0, v3
	s_xor_b32 s23, exec_lo, s2
	s_cbranch_execz .LBB19_714
; %bb.713:
	v_cmp_gt_f32_e64 vcc_lo, 0xf800000, |v3|
	v_mul_f32_e32 v2, v2, v4
	s_delay_alu instid0(VALU_DEP_2) | instskip(NEXT) | instid1(VALU_DEP_1)
	v_cndmask_b32_e64 v1, |v3|, v8, vcc_lo
	v_sqrt_f32_e32 v3, v1
	s_waitcnt_depctr 0xfff
	v_add_nc_u32_e32 v8, -1, v3
	v_add_nc_u32_e32 v9, 1, v3
	s_delay_alu instid0(VALU_DEP_2) | instskip(NEXT) | instid1(VALU_DEP_2)
	v_fma_f32 v10, -v8, v3, v1
	v_fma_f32 v11, -v9, v3, v1
	s_delay_alu instid0(VALU_DEP_2) | instskip(NEXT) | instid1(VALU_DEP_1)
	v_cmp_ge_f32_e64 s2, 0, v10
	v_cndmask_b32_e64 v3, v3, v8, s2
	s_delay_alu instid0(VALU_DEP_3) | instskip(NEXT) | instid1(VALU_DEP_1)
	v_cmp_lt_f32_e64 s2, 0, v11
	v_cndmask_b32_e64 v3, v3, v9, s2
	s_delay_alu instid0(VALU_DEP_1) | instskip(NEXT) | instid1(VALU_DEP_1)
	v_mul_f32_e32 v8, 0x37800000, v3
	v_cndmask_b32_e32 v3, v3, v8, vcc_lo
	v_cmp_class_f32_e64 vcc_lo, v1, 0x260
	s_delay_alu instid0(VALU_DEP_2) | instskip(NEXT) | instid1(VALU_DEP_1)
	v_cndmask_b32_e32 v1, v3, v1, vcc_lo
	v_div_scale_f32 v3, null, v1, v1, v2
	s_delay_alu instid0(VALU_DEP_1) | instskip(SKIP_2) | instid1(VALU_DEP_1)
	v_rcp_f32_e32 v4, v3
	s_waitcnt_depctr 0xfff
	v_fma_f32 v8, -v3, v4, 1.0
	v_fmac_f32_e32 v4, v8, v4
	v_div_scale_f32 v8, vcc_lo, v2, v1, v2
	s_delay_alu instid0(VALU_DEP_1) | instskip(NEXT) | instid1(VALU_DEP_1)
	v_mul_f32_e32 v9, v8, v4
	v_fma_f32 v10, -v3, v9, v8
	s_delay_alu instid0(VALU_DEP_1) | instskip(NEXT) | instid1(VALU_DEP_1)
	v_fmac_f32_e32 v9, v10, v4
	v_fma_f32 v3, -v3, v9, v8
                                        ; implicit-def: $vgpr8
	s_delay_alu instid0(VALU_DEP_1) | instskip(NEXT) | instid1(VALU_DEP_1)
	v_div_fmas_f32 v3, v3, v4, v9
                                        ; implicit-def: $vgpr4
	v_div_fixup_f32 v1, v3, v1, v2
                                        ; implicit-def: $vgpr3
                                        ; implicit-def: $vgpr2
.LBB19_714:
	s_and_not1_saveexec_b32 s23, s23
	s_cbranch_execz .LBB19_716
; %bb.715:
	v_cmp_gt_f32_e64 vcc_lo, 0xf800000, |v3|
	v_mul_f32_e64 v2, v4, -v2
	s_delay_alu instid0(VALU_DEP_2) | instskip(NEXT) | instid1(VALU_DEP_1)
	v_cndmask_b32_e64 v1, |v3|, v8, vcc_lo
	v_sqrt_f32_e32 v3, v1
	s_waitcnt_depctr 0xfff
	v_add_nc_u32_e32 v8, -1, v3
	v_add_nc_u32_e32 v9, 1, v3
	s_delay_alu instid0(VALU_DEP_2) | instskip(NEXT) | instid1(VALU_DEP_2)
	v_fma_f32 v10, -v8, v3, v1
	v_fma_f32 v11, -v9, v3, v1
	s_delay_alu instid0(VALU_DEP_2) | instskip(NEXT) | instid1(VALU_DEP_1)
	v_cmp_ge_f32_e64 s2, 0, v10
	v_cndmask_b32_e64 v3, v3, v8, s2
	s_delay_alu instid0(VALU_DEP_3) | instskip(NEXT) | instid1(VALU_DEP_1)
	v_cmp_lt_f32_e64 s2, 0, v11
	v_cndmask_b32_e64 v3, v3, v9, s2
	s_delay_alu instid0(VALU_DEP_1) | instskip(NEXT) | instid1(VALU_DEP_1)
	v_mul_f32_e32 v8, 0x37800000, v3
	v_cndmask_b32_e32 v3, v3, v8, vcc_lo
	v_cmp_class_f32_e64 vcc_lo, v1, 0x260
	s_delay_alu instid0(VALU_DEP_2) | instskip(NEXT) | instid1(VALU_DEP_1)
	v_cndmask_b32_e32 v1, v3, v1, vcc_lo
	v_div_scale_f32 v3, null, v1, v1, v2
	s_delay_alu instid0(VALU_DEP_1) | instskip(SKIP_2) | instid1(VALU_DEP_1)
	v_rcp_f32_e32 v4, v3
	s_waitcnt_depctr 0xfff
	v_fma_f32 v8, -v3, v4, 1.0
	v_fmac_f32_e32 v4, v8, v4
	v_div_scale_f32 v8, vcc_lo, v2, v1, v2
	s_delay_alu instid0(VALU_DEP_1) | instskip(NEXT) | instid1(VALU_DEP_1)
	v_mul_f32_e32 v9, v8, v4
	v_fma_f32 v10, -v3, v9, v8
	s_delay_alu instid0(VALU_DEP_1) | instskip(NEXT) | instid1(VALU_DEP_1)
	v_fmac_f32_e32 v9, v10, v4
	v_fma_f32 v3, -v3, v9, v8
	s_delay_alu instid0(VALU_DEP_1) | instskip(NEXT) | instid1(VALU_DEP_1)
	v_div_fmas_f32 v3, v3, v4, v9
	v_div_fixup_f32 v1, v3, v1, v2
.LBB19_716:
	s_or_b32 exec_lo, exec_lo, s23
.LBB19_717:
	s_delay_alu instid0(SALU_CYCLE_1) | instskip(SKIP_2) | instid1(VALU_DEP_1)
	s_or_b32 exec_lo, exec_lo, s22
	v_and_b32_e32 v8, 0xff, v5
	v_add_co_u32 v3, s2, s4, v0
	v_add_co_ci_u32_e64 v4, null, s5, 0, s2
	s_delay_alu instid0(VALU_DEP_3)
	v_cmp_gt_i16_e32 vcc_lo, 11, v8
	s_mov_b32 s22, 0
	s_mov_b32 s23, -1
	s_mov_b32 s2, s38
	s_cbranch_vccnz .LBB19_725
; %bb.718:
	v_cmp_lt_i16_e32 vcc_lo, 25, v8
	s_cbranch_vccz .LBB19_766
; %bb.719:
	v_cmp_lt_i16_e32 vcc_lo, 28, v8
	s_cbranch_vccz .LBB19_767
	;; [unrolled: 3-line block ×4, first 2 shown]
; %bb.722:
	v_cmp_eq_u16_e32 vcc_lo, 46, v8
	s_mov_b32 s23, 0
	s_mov_b32 s2, -1
	s_cbranch_vccz .LBB19_770
; %bb.723:
	v_bfe_u32 v0, v1, 16, 1
	v_cmp_o_f32_e32 vcc_lo, v1, v1
	s_mov_b32 s22, -1
	s_mov_b32 s2, 0
	s_delay_alu instid0(VALU_DEP_2) | instskip(NEXT) | instid1(VALU_DEP_1)
	v_add3_u32 v0, v1, v0, 0x7fff
	v_lshrrev_b32_e32 v0, 16, v0
	s_delay_alu instid0(VALU_DEP_1)
	v_cndmask_b32_e32 v0, 0x7fc0, v0, vcc_lo
	global_store_b32 v[3:4], v0, off
	s_branch .LBB19_770
.LBB19_724:
	s_mov_b32 s41, 0
	s_mov_b32 s2, s38
	s_branch .LBB19_765
.LBB19_725:
	s_and_b32 vcc_lo, exec_lo, s23
	s_cbranch_vccz .LBB19_839
; %bb.726:
	v_cmp_gt_i16_e32 vcc_lo, 5, v8
	s_mov_b32 s22, -1
	s_cbranch_vccnz .LBB19_747
; %bb.727:
	v_cmp_gt_i16_e32 vcc_lo, 8, v8
	s_cbranch_vccnz .LBB19_737
; %bb.728:
	v_cmp_gt_i16_e32 vcc_lo, 9, v8
	s_cbranch_vccnz .LBB19_734
; %bb.729:
	v_cmp_lt_i16_e32 vcc_lo, 9, v8
	s_cbranch_vccz .LBB19_731
; %bb.730:
	v_cvt_f64_f32_e32 v[9:10], v1
	v_mov_b32_e32 v11, 0
	s_mov_b32 s22, 0
	s_delay_alu instid0(VALU_DEP_1)
	v_mov_b32_e32 v12, v11
	global_store_b128 v[3:4], v[9:12], off
.LBB19_731:
	s_and_not1_b32 vcc_lo, exec_lo, s22
	s_cbranch_vccnz .LBB19_733
; %bb.732:
	v_mov_b32_e32 v2, 0
	global_store_b64 v[3:4], v[1:2], off
.LBB19_733:
	s_mov_b32 s22, 0
.LBB19_734:
	s_delay_alu instid0(SALU_CYCLE_1)
	s_and_not1_b32 vcc_lo, exec_lo, s22
	s_cbranch_vccnz .LBB19_736
; %bb.735:
	v_cvt_f16_f32_e32 v0, v1
	s_delay_alu instid0(VALU_DEP_1)
	v_and_b32_e32 v0, 0xffff, v0
	global_store_b32 v[3:4], v0, off
.LBB19_736:
	s_mov_b32 s22, 0
.LBB19_737:
	s_delay_alu instid0(SALU_CYCLE_1)
	s_and_not1_b32 vcc_lo, exec_lo, s22
	s_cbranch_vccnz .LBB19_746
; %bb.738:
	v_cmp_gt_i16_e32 vcc_lo, 6, v8
	s_mov_b32 s22, -1
	s_cbranch_vccnz .LBB19_744
; %bb.739:
	v_cmp_lt_i16_e32 vcc_lo, 6, v8
	s_cbranch_vccz .LBB19_741
; %bb.740:
	v_cvt_f64_f32_e32 v[9:10], v1
	s_mov_b32 s22, 0
	global_store_b64 v[3:4], v[9:10], off
.LBB19_741:
	s_and_not1_b32 vcc_lo, exec_lo, s22
	s_cbranch_vccnz .LBB19_743
; %bb.742:
	global_store_b32 v[3:4], v1, off
.LBB19_743:
	s_mov_b32 s22, 0
.LBB19_744:
	s_delay_alu instid0(SALU_CYCLE_1)
	s_and_not1_b32 vcc_lo, exec_lo, s22
	s_cbranch_vccnz .LBB19_746
; %bb.745:
	v_cvt_f16_f32_e32 v0, v1
	global_store_b16 v[3:4], v0, off
.LBB19_746:
	s_mov_b32 s22, 0
.LBB19_747:
	s_delay_alu instid0(SALU_CYCLE_1)
	s_and_not1_b32 vcc_lo, exec_lo, s22
	s_cbranch_vccnz .LBB19_763
; %bb.748:
	v_cmp_gt_i16_e32 vcc_lo, 2, v8
	s_mov_b32 s22, -1
	s_cbranch_vccnz .LBB19_758
; %bb.749:
	v_cmp_gt_i16_e32 vcc_lo, 3, v8
	s_cbranch_vccnz .LBB19_755
; %bb.750:
	v_cmp_lt_i16_e32 vcc_lo, 3, v8
	s_cbranch_vccz .LBB19_752
; %bb.751:
	v_trunc_f32_e32 v0, v1
	s_mov_b32 s22, 0
	s_delay_alu instid0(VALU_DEP_1) | instskip(NEXT) | instid1(VALU_DEP_1)
	v_mul_f32_e64 v2, 0x2f800000, |v0|
	v_floor_f32_e32 v2, v2
	s_delay_alu instid0(VALU_DEP_1) | instskip(SKIP_2) | instid1(VALU_DEP_3)
	v_fma_f32 v9, 0xcf800000, v2, |v0|
	v_ashrrev_i32_e32 v0, 31, v0
	v_cvt_u32_f32_e32 v2, v2
	v_cvt_u32_f32_e32 v9, v9
	s_delay_alu instid0(VALU_DEP_2) | instskip(NEXT) | instid1(VALU_DEP_2)
	v_xor_b32_e32 v2, v2, v0
	v_xor_b32_e32 v9, v9, v0
	s_delay_alu instid0(VALU_DEP_1) | instskip(NEXT) | instid1(VALU_DEP_3)
	v_sub_co_u32 v9, vcc_lo, v9, v0
	v_sub_co_ci_u32_e32 v10, vcc_lo, v2, v0, vcc_lo
	global_store_b64 v[3:4], v[9:10], off
.LBB19_752:
	s_and_not1_b32 vcc_lo, exec_lo, s22
	s_cbranch_vccnz .LBB19_754
; %bb.753:
	v_cvt_i32_f32_e32 v0, v1
	global_store_b32 v[3:4], v0, off
.LBB19_754:
	s_mov_b32 s22, 0
.LBB19_755:
	s_delay_alu instid0(SALU_CYCLE_1)
	s_and_not1_b32 vcc_lo, exec_lo, s22
	s_cbranch_vccnz .LBB19_757
; %bb.756:
	v_cvt_i32_f32_e32 v0, v1
	global_store_b16 v[3:4], v0, off
.LBB19_757:
	s_mov_b32 s22, 0
.LBB19_758:
	s_delay_alu instid0(SALU_CYCLE_1)
	s_and_not1_b32 vcc_lo, exec_lo, s22
	s_cbranch_vccnz .LBB19_763
; %bb.759:
	v_cmp_lt_i16_e32 vcc_lo, 0, v8
	s_mov_b32 s22, -1
	s_cbranch_vccz .LBB19_761
; %bb.760:
	v_cvt_i32_f32_e32 v0, v1
	s_mov_b32 s22, 0
	global_store_b8 v[3:4], v0, off
.LBB19_761:
	s_and_not1_b32 vcc_lo, exec_lo, s22
	s_cbranch_vccnz .LBB19_763
; %bb.762:
	v_trunc_f32_e32 v0, v1
	s_delay_alu instid0(VALU_DEP_1) | instskip(NEXT) | instid1(VALU_DEP_1)
	v_mul_f32_e64 v1, 0x2f800000, |v0|
	v_floor_f32_e32 v1, v1
	s_delay_alu instid0(VALU_DEP_1) | instskip(SKIP_1) | instid1(VALU_DEP_2)
	v_fma_f32 v1, 0xcf800000, v1, |v0|
	v_ashrrev_i32_e32 v0, 31, v0
	v_cvt_u32_f32_e32 v1, v1
	s_delay_alu instid0(VALU_DEP_1) | instskip(NEXT) | instid1(VALU_DEP_1)
	v_xor_b32_e32 v1, v1, v0
	v_sub_nc_u32_e32 v0, v1, v0
	global_store_b8 v[3:4], v0, off
.LBB19_763:
	s_branch .LBB19_840
.LBB19_764:
	s_mov_b32 s41, 0
.LBB19_765:
                                        ; implicit-def: $vgpr7
	s_branch .LBB19_841
.LBB19_766:
	s_mov_b32 s2, s38
	s_branch .LBB19_797
.LBB19_767:
	s_mov_b32 s2, s38
	s_branch .LBB19_780
.LBB19_768:
	s_mov_b32 s2, s38
	s_branch .LBB19_776
.LBB19_769:
	s_mov_b32 s2, s38
.LBB19_770:
	s_and_b32 vcc_lo, exec_lo, s23
	s_cbranch_vccz .LBB19_775
; %bb.771:
	v_cmp_eq_u16_e32 vcc_lo, 44, v8
	s_mov_b32 s2, -1
	s_cbranch_vccz .LBB19_775
; %bb.772:
	v_bfe_u32 v2, v1, 23, 8
	v_mov_b32_e32 v0, 0xff
	s_mov_b32 s22, exec_lo
	s_delay_alu instid0(VALU_DEP_2)
	v_cmpx_ne_u32_e32 0xff, v2
; %bb.773:
	v_and_b32_e32 v0, 0x400000, v1
	v_and_or_b32 v2, 0x3fffff, v1, v2
	s_delay_alu instid0(VALU_DEP_2) | instskip(NEXT) | instid1(VALU_DEP_2)
	v_cmp_ne_u32_e32 vcc_lo, 0, v0
	v_cmp_ne_u32_e64 s2, 0, v2
	v_lshrrev_b32_e32 v0, 23, v1
	s_delay_alu instid0(VALU_DEP_2) | instskip(NEXT) | instid1(SALU_CYCLE_1)
	s_and_b32 s2, vcc_lo, s2
	v_cndmask_b32_e64 v2, 0, 1, s2
	s_delay_alu instid0(VALU_DEP_1)
	v_add_nc_u32_e32 v0, v0, v2
; %bb.774:
	s_or_b32 exec_lo, exec_lo, s22
	s_mov_b32 s22, -1
	s_mov_b32 s2, 0
	global_store_b8 v[3:4], v0, off
.LBB19_775:
	s_mov_b32 s23, 0
.LBB19_776:
	s_delay_alu instid0(SALU_CYCLE_1)
	s_and_b32 vcc_lo, exec_lo, s23
	s_cbranch_vccz .LBB19_779
; %bb.777:
	v_cmp_eq_u16_e32 vcc_lo, 29, v8
	s_mov_b32 s2, -1
	s_cbranch_vccz .LBB19_779
; %bb.778:
	v_trunc_f32_e32 v0, v1
	s_mov_b32 s22, -1
	s_mov_b32 s2, 0
	s_mov_b32 s23, 0
	s_delay_alu instid0(VALU_DEP_1) | instskip(NEXT) | instid1(VALU_DEP_1)
	v_mul_f32_e32 v2, 0x2f800000, v0
	v_floor_f32_e32 v2, v2
	s_delay_alu instid0(VALU_DEP_1) | instskip(SKIP_1) | instid1(VALU_DEP_2)
	v_fmamk_f32 v0, v2, 0xcf800000, v0
	v_cvt_u32_f32_e32 v10, v2
	v_cvt_u32_f32_e32 v9, v0
	global_store_b64 v[3:4], v[9:10], off
	s_branch .LBB19_780
.LBB19_779:
	s_mov_b32 s23, 0
.LBB19_780:
	s_delay_alu instid0(SALU_CYCLE_1)
	s_and_b32 vcc_lo, exec_lo, s23
	s_cbranch_vccz .LBB19_796
; %bb.781:
	v_cmp_gt_i16_e32 vcc_lo, 27, v8
	s_mov_b32 s22, -1
	s_cbranch_vccnz .LBB19_787
; %bb.782:
	v_cmp_lt_i16_e32 vcc_lo, 27, v8
	s_cbranch_vccz .LBB19_784
; %bb.783:
	v_cvt_u32_f32_e32 v0, v1
	s_mov_b32 s22, 0
	global_store_b32 v[3:4], v0, off
.LBB19_784:
	s_and_not1_b32 vcc_lo, exec_lo, s22
	s_cbranch_vccnz .LBB19_786
; %bb.785:
	v_cvt_u32_f32_e32 v0, v1
	global_store_b16 v[3:4], v0, off
.LBB19_786:
	s_mov_b32 s22, 0
.LBB19_787:
	s_delay_alu instid0(SALU_CYCLE_1)
	s_and_not1_b32 vcc_lo, exec_lo, s22
	s_cbranch_vccnz .LBB19_795
; %bb.788:
	v_and_b32_e32 v0, 0x7fffffff, v1
	v_mov_b32_e32 v2, 0x80
	s_mov_b32 s22, exec_lo
	s_delay_alu instid0(VALU_DEP_2)
	v_cmpx_gt_u32_e32 0x43800000, v0
	s_cbranch_execz .LBB19_794
; %bb.789:
	v_cmp_lt_u32_e32 vcc_lo, 0x3bffffff, v0
	s_mov_b32 s23, 0
                                        ; implicit-def: $vgpr0
	s_and_saveexec_b32 s41, vcc_lo
	s_delay_alu instid0(SALU_CYCLE_1)
	s_xor_b32 s41, exec_lo, s41
	s_cbranch_execz .LBB19_868
; %bb.790:
	v_bfe_u32 v0, v1, 20, 1
	s_mov_b32 s23, exec_lo
	s_delay_alu instid0(VALU_DEP_1) | instskip(NEXT) | instid1(VALU_DEP_1)
	v_add3_u32 v0, v1, v0, 0x487ffff
	v_lshrrev_b32_e32 v0, 20, v0
	s_or_saveexec_b32 s41, s41
                                        ; implicit-def: $sgpr42
	s_delay_alu instid0(SALU_CYCLE_1)
	s_xor_b32 exec_lo, exec_lo, s41
	s_cbranch_execnz .LBB19_869
.LBB19_791:
	s_or_b32 exec_lo, exec_lo, s41
	v_mov_b32_e32 v2, s42
	s_and_saveexec_b32 s41, s23
.LBB19_792:
	v_lshrrev_b32_e32 v2, 24, v1
	s_delay_alu instid0(VALU_DEP_1)
	v_and_or_b32 v2, 0x80, v2, v0
.LBB19_793:
	s_or_b32 exec_lo, exec_lo, s41
.LBB19_794:
	s_delay_alu instid0(SALU_CYCLE_1)
	s_or_b32 exec_lo, exec_lo, s22
	global_store_b8 v[3:4], v2, off
.LBB19_795:
	s_mov_b32 s22, -1
.LBB19_796:
	s_mov_b32 s23, 0
.LBB19_797:
	s_delay_alu instid0(SALU_CYCLE_1)
	s_and_b32 vcc_lo, exec_lo, s23
	s_cbranch_vccz .LBB19_838
; %bb.798:
	v_cmp_lt_i16_e32 vcc_lo, 22, v8
	s_mov_b32 s23, -1
	s_cbranch_vccz .LBB19_830
; %bb.799:
	v_cmp_gt_i16_e32 vcc_lo, 24, v8
	s_mov_b32 s22, -1
	s_cbranch_vccnz .LBB19_819
; %bb.800:
	v_cmp_lt_i16_e32 vcc_lo, 24, v8
	s_cbranch_vccz .LBB19_808
; %bb.801:
	v_and_b32_e32 v0, 0x7fffffff, v1
	v_mov_b32_e32 v2, 0x80
	s_mov_b32 s22, exec_lo
	s_delay_alu instid0(VALU_DEP_2)
	v_cmpx_gt_u32_e32 0x47800000, v0
	s_cbranch_execz .LBB19_807
; %bb.802:
	v_cmp_lt_u32_e32 vcc_lo, 0x37ffffff, v0
	s_mov_b32 s23, 0
                                        ; implicit-def: $vgpr0
	s_and_saveexec_b32 s41, vcc_lo
	s_delay_alu instid0(SALU_CYCLE_1)
	s_xor_b32 s41, exec_lo, s41
	s_cbranch_execz .LBB19_871
; %bb.803:
	v_bfe_u32 v0, v1, 21, 1
	s_mov_b32 s23, exec_lo
	s_delay_alu instid0(VALU_DEP_1) | instskip(NEXT) | instid1(VALU_DEP_1)
	v_add3_u32 v0, v1, v0, 0x88fffff
	v_lshrrev_b32_e32 v0, 21, v0
	s_or_saveexec_b32 s41, s41
                                        ; implicit-def: $sgpr42
	s_delay_alu instid0(SALU_CYCLE_1)
	s_xor_b32 exec_lo, exec_lo, s41
	s_cbranch_execnz .LBB19_872
.LBB19_804:
	s_or_b32 exec_lo, exec_lo, s41
	v_mov_b32_e32 v2, s42
	s_and_saveexec_b32 s41, s23
.LBB19_805:
	v_lshrrev_b32_e32 v2, 24, v1
	s_delay_alu instid0(VALU_DEP_1)
	v_and_or_b32 v2, 0x80, v2, v0
.LBB19_806:
	s_or_b32 exec_lo, exec_lo, s41
.LBB19_807:
	s_delay_alu instid0(SALU_CYCLE_1)
	s_or_b32 exec_lo, exec_lo, s22
	s_mov_b32 s22, 0
	global_store_b8 v[3:4], v2, off
.LBB19_808:
	s_and_b32 vcc_lo, exec_lo, s22
	s_cbranch_vccz .LBB19_818
; %bb.809:
	v_and_b32_e32 v2, 0x7fffffff, v1
	s_mov_b32 s22, exec_lo
                                        ; implicit-def: $vgpr0
	s_delay_alu instid0(VALU_DEP_1)
	v_cmpx_gt_u32_e32 0x43f00000, v2
	s_xor_b32 s22, exec_lo, s22
	s_cbranch_execz .LBB19_815
; %bb.810:
	s_mov_b32 s23, exec_lo
                                        ; implicit-def: $vgpr0
	v_cmpx_lt_u32_e32 0x3c7fffff, v2
	s_xor_b32 s23, exec_lo, s23
; %bb.811:
	v_bfe_u32 v0, v1, 20, 1
	s_delay_alu instid0(VALU_DEP_1) | instskip(NEXT) | instid1(VALU_DEP_1)
	v_add3_u32 v0, v1, v0, 0x407ffff
	v_and_b32_e32 v2, 0xff00000, v0
	v_lshrrev_b32_e32 v0, 20, v0
	s_delay_alu instid0(VALU_DEP_2) | instskip(NEXT) | instid1(VALU_DEP_2)
	v_cmp_ne_u32_e32 vcc_lo, 0x7f00000, v2
	v_cndmask_b32_e32 v0, 0x7e, v0, vcc_lo
; %bb.812:
	s_and_not1_saveexec_b32 s23, s23
; %bb.813:
	v_add_f32_e64 v0, 0x46800000, |v1|
; %bb.814:
	s_or_b32 exec_lo, exec_lo, s23
                                        ; implicit-def: $vgpr2
.LBB19_815:
	s_and_not1_saveexec_b32 s22, s22
; %bb.816:
	v_mov_b32_e32 v0, 0x7f
	v_cmp_lt_u32_e32 vcc_lo, 0x7f800000, v2
	s_delay_alu instid0(VALU_DEP_2)
	v_cndmask_b32_e32 v0, 0x7e, v0, vcc_lo
; %bb.817:
	s_or_b32 exec_lo, exec_lo, s22
	v_lshrrev_b32_e32 v2, 24, v1
	s_delay_alu instid0(VALU_DEP_1)
	v_and_or_b32 v0, 0x80, v2, v0
	global_store_b8 v[3:4], v0, off
.LBB19_818:
	s_mov_b32 s22, 0
.LBB19_819:
	s_delay_alu instid0(SALU_CYCLE_1)
	s_and_not1_b32 vcc_lo, exec_lo, s22
	s_cbranch_vccnz .LBB19_829
; %bb.820:
	v_and_b32_e32 v2, 0x7fffffff, v1
	s_mov_b32 s22, exec_lo
                                        ; implicit-def: $vgpr0
	s_delay_alu instid0(VALU_DEP_1)
	v_cmpx_gt_u32_e32 0x47800000, v2
	s_xor_b32 s22, exec_lo, s22
	s_cbranch_execz .LBB19_826
; %bb.821:
	s_mov_b32 s23, exec_lo
                                        ; implicit-def: $vgpr0
	v_cmpx_lt_u32_e32 0x387fffff, v2
	s_xor_b32 s23, exec_lo, s23
; %bb.822:
	v_bfe_u32 v0, v1, 21, 1
	s_delay_alu instid0(VALU_DEP_1) | instskip(NEXT) | instid1(VALU_DEP_1)
	v_add3_u32 v0, v1, v0, 0x80fffff
	v_lshrrev_b32_e32 v0, 21, v0
; %bb.823:
	s_and_not1_saveexec_b32 s23, s23
; %bb.824:
	v_add_f32_e64 v0, 0x43000000, |v1|
; %bb.825:
	s_or_b32 exec_lo, exec_lo, s23
                                        ; implicit-def: $vgpr2
.LBB19_826:
	s_and_not1_saveexec_b32 s22, s22
; %bb.827:
	v_mov_b32_e32 v0, 0x7f
	v_cmp_lt_u32_e32 vcc_lo, 0x7f800000, v2
	s_delay_alu instid0(VALU_DEP_2)
	v_cndmask_b32_e32 v0, 0x7c, v0, vcc_lo
; %bb.828:
	s_or_b32 exec_lo, exec_lo, s22
	v_lshrrev_b32_e32 v2, 24, v1
	s_delay_alu instid0(VALU_DEP_1)
	v_and_or_b32 v0, 0x80, v2, v0
	global_store_b8 v[3:4], v0, off
.LBB19_829:
	s_mov_b32 s23, 0
	s_mov_b32 s22, -1
.LBB19_830:
	s_and_not1_b32 vcc_lo, exec_lo, s23
	s_cbranch_vccnz .LBB19_838
; %bb.831:
	v_cmp_lt_i16_e32 vcc_lo, 14, v8
	s_mov_b32 s23, -1
	s_cbranch_vccz .LBB19_835
; %bb.832:
	v_cmp_eq_u16_e32 vcc_lo, 15, v8
	s_mov_b32 s2, -1
	s_cbranch_vccz .LBB19_834
; %bb.833:
	v_bfe_u32 v0, v1, 16, 1
	v_cmp_o_f32_e32 vcc_lo, v1, v1
	s_mov_b32 s22, -1
	s_mov_b32 s2, 0
	s_delay_alu instid0(VALU_DEP_2) | instskip(NEXT) | instid1(VALU_DEP_1)
	v_add3_u32 v0, v1, v0, 0x7fff
	v_lshrrev_b32_e32 v0, 16, v0
	s_delay_alu instid0(VALU_DEP_1)
	v_cndmask_b32_e32 v0, 0x7fc0, v0, vcc_lo
	global_store_b16 v[3:4], v0, off
.LBB19_834:
	s_mov_b32 s23, 0
.LBB19_835:
	s_delay_alu instid0(SALU_CYCLE_1)
	s_and_b32 vcc_lo, exec_lo, s23
	s_cbranch_vccz .LBB19_838
; %bb.836:
	v_cmp_eq_u16_e32 vcc_lo, 11, v8
	s_mov_b32 s2, -1
	s_cbranch_vccz .LBB19_838
; %bb.837:
	v_cmp_neq_f32_e32 vcc_lo, 0, v1
	s_mov_b32 s2, 0
	s_mov_b32 s22, -1
	v_cndmask_b32_e64 v0, 0, 1, vcc_lo
	global_store_b8 v[3:4], v0, off
.LBB19_838:
.LBB19_839:
	s_and_not1_b32 vcc_lo, exec_lo, s22
	s_cbranch_vccnz .LBB19_764
.LBB19_840:
	v_add_nc_u32_e32 v7, 0x80, v7
	s_mov_b32 s41, -1
.LBB19_841:
	s_and_not1_b32 s22, s38, exec_lo
	s_and_b32 s2, s2, exec_lo
	s_and_not1_b32 s42, s37, exec_lo
	s_and_b32 s3, s3, exec_lo
	s_or_b32 s23, s22, s2
	s_or_b32 s22, s42, s3
	s_or_not1_b32 s42, s41, exec_lo
.LBB19_842:
	s_or_b32 exec_lo, exec_lo, s40
	s_mov_b32 s2, 0
	s_mov_b32 s3, 0
	;; [unrolled: 1-line block ×3, first 2 shown]
                                        ; implicit-def: $vgpr1_vgpr2
                                        ; implicit-def: $vgpr0
                                        ; implicit-def: $vgpr8
	s_and_saveexec_b32 s40, s42
	s_cbranch_execz .LBB19_940
; %bb.843:
	v_cmp_gt_i32_e32 vcc_lo, s30, v7
	s_mov_b32 s43, s22
	s_mov_b32 s42, 0
                                        ; implicit-def: $vgpr1_vgpr2
                                        ; implicit-def: $vgpr0
                                        ; implicit-def: $vgpr8
	s_and_saveexec_b32 s30, vcc_lo
	s_cbranch_execz .LBB19_939
; %bb.844:
	s_and_not1_b32 vcc_lo, exec_lo, s27
	s_cbranch_vccnz .LBB19_849
; %bb.845:
	v_dual_mov_b32 v0, 0 :: v_dual_mov_b32 v1, 0
	s_and_not1_b32 vcc_lo, exec_lo, s33
	s_mov_b32 s33, 0
	s_cbranch_vccnz .LBB19_854
; %bb.846:
	v_mov_b32_e32 v0, 0
	s_add_i32 s41, s31, 1
	s_cmp_eq_u32 s25, 2
	s_mov_b32 s31, 0
	s_cbranch_scc1 .LBB19_850
; %bb.847:
	v_dual_mov_b32 v1, 0 :: v_dual_mov_b32 v0, 0
	v_mov_b32_e32 v2, v7
	s_and_b32 s31, s41, 28
	s_mov_b64 s[2:3], s[16:17]
.LBB19_848:                             ; =>This Inner Loop Header: Depth=1
	s_clause 0x1
	s_load_b256 s[44:51], s[2:3], 0x4
	s_load_b128 s[60:63], s[2:3], 0x24
	s_load_b256 s[52:59], s[20:21], 0x0
	s_add_u32 s2, s2, 48
	s_addc_u32 s3, s3, 0
	s_add_i32 s42, s42, 4
	s_add_u32 s20, s20, 32
	s_addc_u32 s21, s21, 0
	s_cmp_eq_u32 s31, s42
	s_waitcnt vmcnt(0) lgkmcnt(0)
	v_mul_hi_u32 v3, s45, v2
	s_delay_alu instid0(VALU_DEP_1) | instskip(NEXT) | instid1(VALU_DEP_1)
	v_add_nc_u32_e32 v3, v2, v3
	v_lshrrev_b32_e32 v3, s46, v3
	s_delay_alu instid0(VALU_DEP_1) | instskip(SKIP_1) | instid1(VALU_DEP_2)
	v_mul_hi_u32 v4, s48, v3
	v_mul_lo_u32 v9, v3, s44
	v_add_nc_u32_e32 v4, v3, v4
	s_delay_alu instid0(VALU_DEP_2) | instskip(NEXT) | instid1(VALU_DEP_2)
	v_sub_nc_u32_e32 v2, v2, v9
	v_lshrrev_b32_e32 v4, s49, v4
	s_delay_alu instid0(VALU_DEP_2) | instskip(SKIP_1) | instid1(VALU_DEP_3)
	v_mul_lo_u32 v9, v2, s52
	v_mul_lo_u32 v11, v2, s53
	v_mul_hi_u32 v8, s51, v4
	s_delay_alu instid0(VALU_DEP_1) | instskip(NEXT) | instid1(VALU_DEP_1)
	v_add_nc_u32_e32 v8, v4, v8
	v_lshrrev_b32_e32 v8, s60, v8
	s_delay_alu instid0(VALU_DEP_1) | instskip(SKIP_1) | instid1(VALU_DEP_2)
	v_mul_hi_u32 v10, s62, v8
	v_mul_lo_u32 v12, v8, s50
	v_add_nc_u32_e32 v2, v8, v10
	v_mul_lo_u32 v10, v4, s47
	s_delay_alu instid0(VALU_DEP_3) | instskip(NEXT) | instid1(VALU_DEP_3)
	v_sub_nc_u32_e32 v4, v4, v12
	v_lshrrev_b32_e32 v2, s63, v2
	s_delay_alu instid0(VALU_DEP_2) | instskip(SKIP_2) | instid1(VALU_DEP_4)
	v_mul_lo_u32 v12, v4, s56
	v_mul_lo_u32 v4, v4, s57
	v_sub_nc_u32_e32 v3, v3, v10
	v_mul_lo_u32 v13, v2, s61
	s_delay_alu instid0(VALU_DEP_2) | instskip(SKIP_1) | instid1(VALU_DEP_3)
	v_mul_lo_u32 v10, v3, s54
	v_mul_lo_u32 v3, v3, s55
	v_sub_nc_u32_e32 v8, v8, v13
	s_delay_alu instid0(VALU_DEP_3) | instskip(NEXT) | instid1(VALU_DEP_2)
	v_add3_u32 v0, v9, v0, v10
	v_mul_lo_u32 v13, v8, s58
	v_mul_lo_u32 v8, v8, s59
	v_add3_u32 v1, v11, v1, v3
	s_delay_alu instid0(VALU_DEP_3) | instskip(NEXT) | instid1(VALU_DEP_2)
	v_add3_u32 v0, v12, v0, v13
	v_add3_u32 v1, v4, v1, v8
	s_cbranch_scc0 .LBB19_848
	s_branch .LBB19_851
.LBB19_849:
	s_mov_b32 s33, -1
                                        ; implicit-def: $vgpr0
                                        ; implicit-def: $vgpr1
	s_branch .LBB19_854
.LBB19_850:
	v_dual_mov_b32 v2, v7 :: v_dual_mov_b32 v1, 0
.LBB19_851:
	s_and_b32 s41, s41, 3
	s_delay_alu instid0(SALU_CYCLE_1)
	s_cmp_eq_u32 s41, 0
	s_cbranch_scc1 .LBB19_854
; %bb.852:
	s_lshl_b32 s2, s31, 3
	s_mul_i32 s20, s31, 12
	s_add_u32 s2, s2, s16
	s_addc_u32 s3, s17, 0
	s_add_u32 s2, s2, 0xc4
	s_addc_u32 s3, s3, 0
	;; [unrolled: 2-line block ×3, first 2 shown]
.LBB19_853:                             ; =>This Inner Loop Header: Depth=1
	s_clause 0x1
	s_load_b64 s[42:43], s[20:21], 0x4
	s_load_b32 s31, s[20:21], 0xc
	s_load_b64 s[44:45], s[2:3], 0x0
	s_add_u32 s20, s20, 12
	s_addc_u32 s21, s21, 0
	s_add_u32 s2, s2, 8
	s_addc_u32 s3, s3, 0
	s_add_i32 s41, s41, -1
	s_delay_alu instid0(SALU_CYCLE_1) | instskip(SKIP_2) | instid1(VALU_DEP_1)
	s_cmp_lg_u32 s41, 0
	s_waitcnt vmcnt(0) lgkmcnt(0)
	v_mul_hi_u32 v3, s43, v2
	v_add_nc_u32_e32 v3, v2, v3
	s_delay_alu instid0(VALU_DEP_1) | instskip(NEXT) | instid1(VALU_DEP_1)
	v_lshrrev_b32_e32 v10, s31, v3
	v_mul_lo_u32 v3, v10, s42
	s_delay_alu instid0(VALU_DEP_1) | instskip(NEXT) | instid1(VALU_DEP_1)
	v_sub_nc_u32_e32 v2, v2, v3
	v_mad_u64_u32 v[3:4], null, v2, s44, v[0:1]
	v_mad_u64_u32 v[8:9], null, v2, s45, v[1:2]
	v_mov_b32_e32 v2, v10
	s_delay_alu instid0(VALU_DEP_2)
	v_dual_mov_b32 v0, v3 :: v_dual_mov_b32 v1, v8
	s_cbranch_scc1 .LBB19_853
.LBB19_854:
	s_and_not1_b32 vcc_lo, exec_lo, s33
	s_cbranch_vccnz .LBB19_857
; %bb.855:
	s_waitcnt lgkmcnt(0)
	v_mul_hi_u32 v0, s13, v7
	s_and_not1_b32 vcc_lo, exec_lo, s29
	s_delay_alu instid0(VALU_DEP_1) | instskip(NEXT) | instid1(VALU_DEP_1)
	v_add_nc_u32_e32 v0, v7, v0
	v_lshrrev_b32_e32 v2, s14, v0
	s_delay_alu instid0(VALU_DEP_1) | instskip(NEXT) | instid1(VALU_DEP_1)
	v_mul_lo_u32 v0, v2, s12
	v_sub_nc_u32_e32 v1, v7, v0
	s_delay_alu instid0(VALU_DEP_1)
	v_mul_lo_u32 v0, v1, s8
	v_mul_lo_u32 v1, v1, s9
	s_cbranch_vccnz .LBB19_857
; %bb.856:
	s_waitcnt vmcnt(0)
	v_mul_hi_u32 v3, s18, v2
	s_delay_alu instid0(VALU_DEP_1) | instskip(NEXT) | instid1(VALU_DEP_1)
	v_add_nc_u32_e32 v3, v2, v3
	v_lshrrev_b32_e32 v3, s19, v3
	s_delay_alu instid0(VALU_DEP_1) | instskip(NEXT) | instid1(VALU_DEP_1)
	v_mul_lo_u32 v3, v3, s15
	v_sub_nc_u32_e32 v7, v2, v3
	s_delay_alu instid0(VALU_DEP_1) | instskip(NEXT) | instid1(VALU_DEP_1)
	v_mad_u64_u32 v[2:3], null, v7, s10, v[0:1]
	v_mad_u64_u32 v[3:4], null, v7, s11, v[1:2]
	s_delay_alu instid0(VALU_DEP_1)
	v_dual_mov_b32 v0, v2 :: v_dual_mov_b32 v1, v3
.LBB19_857:
	v_cmp_gt_i16_e32 vcc_lo, 11, v6
	s_waitcnt lgkmcnt(0)
	s_delay_alu instid0(VALU_DEP_2) | instskip(NEXT) | instid1(VALU_DEP_1)
	v_add_co_u32 v1, s2, s6, v1
	v_add_co_ci_u32_e64 v2, null, s7, 0, s2
	s_mov_b32 s6, 0
	s_cbranch_vccnz .LBB19_864
; %bb.858:
	v_cmp_lt_i16_e32 vcc_lo, 25, v6
	s_mov_b32 s3, 0
	s_cbranch_vccz .LBB19_865
; %bb.859:
	v_cmp_lt_i16_e32 vcc_lo, 28, v6
	s_cbranch_vccz .LBB19_866
; %bb.860:
	v_cmp_lt_i16_e32 vcc_lo, 43, v6
	;; [unrolled: 3-line block ×3, first 2 shown]
	s_cbranch_vccz .LBB19_870
; %bb.862:
	v_cmp_eq_u16_e32 vcc_lo, 46, v6
	s_mov_b32 s7, 0
	s_cbranch_vccz .LBB19_873
; %bb.863:
	global_load_b32 v3, v[1:2], off
	s_mov_b32 s2, 0
	s_mov_b32 s6, -1
	s_waitcnt vmcnt(0)
	v_lshlrev_b32_e32 v8, 16, v3
	s_branch .LBB19_875
.LBB19_864:
	s_mov_b32 s7, -1
	s_mov_b32 s3, 0
	s_mov_b32 s2, s22
                                        ; implicit-def: $vgpr8
	s_branch .LBB19_938
.LBB19_865:
	s_mov_b32 s7, -1
	s_mov_b32 s2, s22
                                        ; implicit-def: $vgpr8
	s_branch .LBB19_904
.LBB19_866:
	s_mov_b32 s7, -1
	s_mov_b32 s2, s22
                                        ; implicit-def: $vgpr8
	s_branch .LBB19_885
.LBB19_867:
	s_mov_b32 s7, -1
	s_mov_b32 s2, s22
                                        ; implicit-def: $vgpr8
	s_branch .LBB19_880
.LBB19_868:
	s_or_saveexec_b32 s41, s41
                                        ; implicit-def: $sgpr42
	s_delay_alu instid0(SALU_CYCLE_1)
	s_xor_b32 exec_lo, exec_lo, s41
	s_cbranch_execz .LBB19_791
.LBB19_869:
	v_add_f32_e64 v0, 0x46000000, |v1|
	s_and_not1_b32 s23, s23, exec_lo
	s_mov_b32 s42, 0
	s_delay_alu instid0(VALU_DEP_1) | instskip(NEXT) | instid1(VALU_DEP_1)
	v_and_b32_e32 v0, 0xff, v0
	v_cmp_ne_u32_e32 vcc_lo, 0, v0
	s_and_b32 s43, vcc_lo, exec_lo
	s_delay_alu instid0(SALU_CYCLE_1)
	s_or_b32 s23, s23, s43
	s_or_b32 exec_lo, exec_lo, s41
	v_mov_b32_e32 v2, s42
	s_and_saveexec_b32 s41, s23
	s_cbranch_execnz .LBB19_792
	s_branch .LBB19_793
.LBB19_870:
	s_mov_b32 s7, -1
	s_mov_b32 s2, s22
	s_branch .LBB19_874
.LBB19_871:
	s_or_saveexec_b32 s41, s41
                                        ; implicit-def: $sgpr42
	s_delay_alu instid0(SALU_CYCLE_1)
	s_xor_b32 exec_lo, exec_lo, s41
	s_cbranch_execz .LBB19_804
.LBB19_872:
	v_add_f32_e64 v0, 0x42800000, |v1|
	s_and_not1_b32 s23, s23, exec_lo
	s_mov_b32 s42, 0
	s_delay_alu instid0(VALU_DEP_1) | instskip(NEXT) | instid1(VALU_DEP_1)
	v_and_b32_e32 v0, 0xff, v0
	v_cmp_ne_u32_e32 vcc_lo, 0, v0
	s_and_b32 s43, vcc_lo, exec_lo
	s_delay_alu instid0(SALU_CYCLE_1)
	s_or_b32 s23, s23, s43
	s_or_b32 exec_lo, exec_lo, s41
	v_mov_b32_e32 v2, s42
	s_and_saveexec_b32 s41, s23
	s_cbranch_execnz .LBB19_805
	s_branch .LBB19_806
.LBB19_873:
	s_mov_b32 s2, -1
.LBB19_874:
                                        ; implicit-def: $vgpr8
.LBB19_875:
	s_and_b32 vcc_lo, exec_lo, s7
	s_cbranch_vccz .LBB19_879
; %bb.876:
	v_cmp_eq_u16_e32 vcc_lo, 44, v6
	s_cbranch_vccz .LBB19_878
; %bb.877:
	global_load_u8 v3, v[1:2], off
	s_mov_b32 s2, 0
	s_mov_b32 s6, -1
	s_waitcnt vmcnt(0)
	v_lshlrev_b32_e32 v4, 23, v3
	v_cmp_ne_u32_e32 vcc_lo, 0xff, v3
	s_delay_alu instid0(VALU_DEP_2) | instskip(SKIP_1) | instid1(VALU_DEP_2)
	v_cndmask_b32_e32 v4, 0x7f800001, v4, vcc_lo
	v_cmp_ne_u32_e32 vcc_lo, 0, v3
	v_cndmask_b32_e32 v8, 0x400000, v4, vcc_lo
	s_branch .LBB19_879
.LBB19_878:
	s_mov_b32 s2, -1
                                        ; implicit-def: $vgpr8
.LBB19_879:
	s_mov_b32 s7, 0
.LBB19_880:
	s_delay_alu instid0(SALU_CYCLE_1)
	s_and_b32 vcc_lo, exec_lo, s7
	s_cbranch_vccz .LBB19_884
; %bb.881:
	v_cmp_eq_u16_e32 vcc_lo, 29, v6
	s_cbranch_vccz .LBB19_883
; %bb.882:
	global_load_b64 v[3:4], v[1:2], off
	s_mov_b32 s2, 0
	s_mov_b32 s6, -1
	s_mov_b32 s7, 0
	s_waitcnt vmcnt(0)
	v_clz_i32_u32_e32 v7, v4
	s_delay_alu instid0(VALU_DEP_1) | instskip(NEXT) | instid1(VALU_DEP_1)
	v_min_u32_e32 v7, 32, v7
	v_lshlrev_b64 v[3:4], v7, v[3:4]
	s_delay_alu instid0(VALU_DEP_1) | instskip(NEXT) | instid1(VALU_DEP_1)
	v_min_u32_e32 v3, 1, v3
	v_or_b32_e32 v3, v4, v3
	v_sub_nc_u32_e32 v4, 32, v7
	s_delay_alu instid0(VALU_DEP_2) | instskip(NEXT) | instid1(VALU_DEP_1)
	v_cvt_f32_u32_e32 v3, v3
	v_ldexp_f32 v8, v3, v4
	s_branch .LBB19_885
.LBB19_883:
	s_mov_b32 s2, -1
                                        ; implicit-def: $vgpr8
.LBB19_884:
	s_mov_b32 s7, 0
.LBB19_885:
	s_delay_alu instid0(SALU_CYCLE_1)
	s_and_b32 vcc_lo, exec_lo, s7
	s_cbranch_vccz .LBB19_903
; %bb.886:
	v_cmp_gt_i16_e32 vcc_lo, 27, v6
	s_cbranch_vccnz .LBB19_889
; %bb.887:
	v_cmp_lt_i16_e32 vcc_lo, 27, v6
	s_cbranch_vccz .LBB19_890
; %bb.888:
	global_load_b32 v3, v[1:2], off
	s_mov_b32 s6, 0
	s_waitcnt vmcnt(0)
	v_cvt_f32_u32_e32 v8, v3
	s_branch .LBB19_891
.LBB19_889:
	s_mov_b32 s6, -1
                                        ; implicit-def: $vgpr8
	s_branch .LBB19_894
.LBB19_890:
	s_mov_b32 s6, -1
                                        ; implicit-def: $vgpr8
.LBB19_891:
	s_delay_alu instid0(SALU_CYCLE_1)
	s_and_not1_b32 vcc_lo, exec_lo, s6
	s_cbranch_vccnz .LBB19_893
; %bb.892:
	global_load_u16 v3, v[1:2], off
	s_waitcnt vmcnt(0)
	v_cvt_f32_u32_e32 v8, v3
.LBB19_893:
	s_mov_b32 s6, 0
.LBB19_894:
	s_delay_alu instid0(SALU_CYCLE_1)
	s_and_not1_b32 vcc_lo, exec_lo, s6
	s_cbranch_vccnz .LBB19_902
; %bb.895:
	global_load_u8 v3, v[1:2], off
	s_mov_b32 s6, 0
	s_mov_b32 s8, exec_lo
                                        ; implicit-def: $sgpr7
	s_waitcnt vmcnt(0)
	v_cmpx_lt_i16_e32 0x7f, v3
	s_xor_b32 s8, exec_lo, s8
	s_cbranch_execz .LBB19_916
; %bb.896:
	s_mov_b32 s6, -1
	s_mov_b32 s9, exec_lo
                                        ; implicit-def: $sgpr7
	v_cmpx_eq_u16_e32 0x80, v3
; %bb.897:
	s_mov_b32 s7, 0x7f800001
	s_xor_b32 s6, exec_lo, -1
; %bb.898:
	s_or_b32 exec_lo, exec_lo, s9
	s_delay_alu instid0(SALU_CYCLE_1)
	s_and_b32 s6, s6, exec_lo
	s_or_saveexec_b32 s8, s8
	v_mov_b32_e32 v8, s7
	s_xor_b32 exec_lo, exec_lo, s8
	s_cbranch_execnz .LBB19_917
.LBB19_899:
	s_or_b32 exec_lo, exec_lo, s8
	s_and_saveexec_b32 s7, s6
	s_cbranch_execz .LBB19_901
.LBB19_900:
	v_and_b32_e32 v4, 0xffff, v3
	v_lshlrev_b32_e32 v3, 24, v3
	s_delay_alu instid0(VALU_DEP_2) | instskip(NEXT) | instid1(VALU_DEP_2)
	v_and_b32_e32 v7, 7, v4
	v_and_b32_e32 v3, 0x80000000, v3
	s_delay_alu instid0(VALU_DEP_2) | instskip(NEXT) | instid1(VALU_DEP_1)
	v_clz_i32_u32_e32 v8, v7
	v_min_u32_e32 v8, 32, v8
	s_delay_alu instid0(VALU_DEP_1) | instskip(SKIP_1) | instid1(VALU_DEP_2)
	v_subrev_nc_u32_e32 v9, 28, v8
	v_sub_nc_u32_e32 v8, 29, v8
	v_lshlrev_b32_e32 v9, v9, v4
	v_bfe_u32 v4, v4, 3, 4
	s_delay_alu instid0(VALU_DEP_1) | instskip(NEXT) | instid1(VALU_DEP_3)
	v_cmp_eq_u32_e32 vcc_lo, 0, v4
	v_dual_cndmask_b32 v4, v4, v8 :: v_dual_and_b32 v9, 7, v9
	s_delay_alu instid0(VALU_DEP_1) | instskip(NEXT) | instid1(VALU_DEP_2)
	v_cndmask_b32_e32 v7, v7, v9, vcc_lo
	v_lshl_add_u32 v4, v4, 23, 0x3b800000
	s_delay_alu instid0(VALU_DEP_2) | instskip(NEXT) | instid1(VALU_DEP_1)
	v_lshlrev_b32_e32 v7, 20, v7
	v_or3_b32 v8, v3, v4, v7
.LBB19_901:
	s_or_b32 exec_lo, exec_lo, s7
.LBB19_902:
	s_mov_b32 s6, -1
.LBB19_903:
	s_mov_b32 s7, 0
.LBB19_904:
	s_delay_alu instid0(SALU_CYCLE_1)
	s_and_b32 vcc_lo, exec_lo, s7
	s_cbranch_vccz .LBB19_937
; %bb.905:
	v_cmp_lt_i16_e32 vcc_lo, 22, v6
	s_cbranch_vccz .LBB19_915
; %bb.906:
	v_cmp_gt_i16_e32 vcc_lo, 24, v6
	s_cbranch_vccnz .LBB19_918
; %bb.907:
	v_cmp_lt_i16_e32 vcc_lo, 24, v6
	s_cbranch_vccz .LBB19_919
; %bb.908:
	global_load_u8 v3, v[1:2], off
	s_mov_b32 s7, exec_lo
                                        ; implicit-def: $sgpr6
	s_waitcnt vmcnt(0)
	v_cmpx_lt_i16_e32 0x7f, v3
	s_xor_b32 s7, exec_lo, s7
	s_cbranch_execz .LBB19_931
; %bb.909:
	s_mov_b32 s3, -1
	s_mov_b32 s8, exec_lo
                                        ; implicit-def: $sgpr6
	v_cmpx_eq_u16_e32 0x80, v3
; %bb.910:
	s_mov_b32 s6, 0x7f800001
	s_xor_b32 s3, exec_lo, -1
; %bb.911:
	s_or_b32 exec_lo, exec_lo, s8
	s_delay_alu instid0(SALU_CYCLE_1)
	s_and_b32 s3, s3, exec_lo
	s_or_saveexec_b32 s7, s7
	v_mov_b32_e32 v8, s6
	s_xor_b32 exec_lo, exec_lo, s7
	s_cbranch_execnz .LBB19_932
.LBB19_912:
	s_or_b32 exec_lo, exec_lo, s7
	s_and_saveexec_b32 s6, s3
	s_cbranch_execz .LBB19_914
.LBB19_913:
	v_and_b32_e32 v4, 0xffff, v3
	v_lshlrev_b32_e32 v3, 24, v3
	s_delay_alu instid0(VALU_DEP_2) | instskip(NEXT) | instid1(VALU_DEP_2)
	v_and_b32_e32 v7, 3, v4
	v_and_b32_e32 v3, 0x80000000, v3
	s_delay_alu instid0(VALU_DEP_2) | instskip(NEXT) | instid1(VALU_DEP_1)
	v_clz_i32_u32_e32 v8, v7
	v_min_u32_e32 v8, 32, v8
	s_delay_alu instid0(VALU_DEP_1) | instskip(SKIP_1) | instid1(VALU_DEP_2)
	v_subrev_nc_u32_e32 v9, 29, v8
	v_sub_nc_u32_e32 v8, 30, v8
	v_lshlrev_b32_e32 v9, v9, v4
	v_bfe_u32 v4, v4, 2, 5
	s_delay_alu instid0(VALU_DEP_1) | instskip(NEXT) | instid1(VALU_DEP_3)
	v_cmp_eq_u32_e32 vcc_lo, 0, v4
	v_dual_cndmask_b32 v4, v4, v8 :: v_dual_and_b32 v9, 3, v9
	s_delay_alu instid0(VALU_DEP_1) | instskip(NEXT) | instid1(VALU_DEP_2)
	v_cndmask_b32_e32 v7, v7, v9, vcc_lo
	v_lshl_add_u32 v4, v4, 23, 0x37800000
	s_delay_alu instid0(VALU_DEP_2) | instskip(NEXT) | instid1(VALU_DEP_1)
	v_lshlrev_b32_e32 v7, 21, v7
	v_or3_b32 v8, v3, v4, v7
.LBB19_914:
	s_or_b32 exec_lo, exec_lo, s6
	s_mov_b32 s3, 0
	s_branch .LBB19_920
.LBB19_915:
	s_mov_b32 s3, -1
                                        ; implicit-def: $vgpr8
	s_branch .LBB19_926
.LBB19_916:
	s_or_saveexec_b32 s8, s8
	v_mov_b32_e32 v8, s7
	s_xor_b32 exec_lo, exec_lo, s8
	s_cbranch_execz .LBB19_899
.LBB19_917:
	v_cmp_ne_u16_e32 vcc_lo, 0, v3
	v_mov_b32_e32 v8, 0
	s_and_not1_b32 s6, s6, exec_lo
	s_and_b32 s7, vcc_lo, exec_lo
	s_delay_alu instid0(SALU_CYCLE_1)
	s_or_b32 s6, s6, s7
	s_or_b32 exec_lo, exec_lo, s8
	s_and_saveexec_b32 s7, s6
	s_cbranch_execnz .LBB19_900
	s_branch .LBB19_901
.LBB19_918:
	s_mov_b32 s3, -1
                                        ; implicit-def: $vgpr8
	s_branch .LBB19_923
.LBB19_919:
	s_mov_b32 s3, -1
                                        ; implicit-def: $vgpr8
.LBB19_920:
	s_delay_alu instid0(SALU_CYCLE_1)
	s_and_b32 vcc_lo, exec_lo, s3
	s_cbranch_vccz .LBB19_922
; %bb.921:
	global_load_u8 v3, v[1:2], off
	s_waitcnt vmcnt(0)
	v_lshlrev_b32_e32 v3, 24, v3
	s_delay_alu instid0(VALU_DEP_1) | instskip(NEXT) | instid1(VALU_DEP_1)
	v_and_b32_e32 v4, 0x7f000000, v3
	v_clz_i32_u32_e32 v7, v4
	v_cmp_ne_u32_e32 vcc_lo, 0, v4
	v_add_nc_u32_e32 v9, 0x1000000, v4
	s_delay_alu instid0(VALU_DEP_3) | instskip(NEXT) | instid1(VALU_DEP_1)
	v_min_u32_e32 v7, 32, v7
	v_sub_nc_u32_e64 v7, v7, 4 clamp
	s_delay_alu instid0(VALU_DEP_1) | instskip(SKIP_1) | instid1(VALU_DEP_2)
	v_lshlrev_b32_e32 v8, v7, v4
	v_lshlrev_b32_e32 v7, 23, v7
	v_lshrrev_b32_e32 v8, 4, v8
	s_delay_alu instid0(VALU_DEP_1) | instskip(SKIP_1) | instid1(VALU_DEP_2)
	v_sub_nc_u32_e32 v7, v8, v7
	v_ashrrev_i32_e32 v8, 8, v9
	v_add_nc_u32_e32 v7, 0x3c000000, v7
	s_delay_alu instid0(VALU_DEP_1) | instskip(NEXT) | instid1(VALU_DEP_1)
	v_and_or_b32 v7, 0x7f800000, v8, v7
	v_cndmask_b32_e32 v4, 0, v7, vcc_lo
	s_delay_alu instid0(VALU_DEP_1)
	v_and_or_b32 v8, 0x80000000, v3, v4
.LBB19_922:
	s_mov_b32 s3, 0
.LBB19_923:
	s_delay_alu instid0(SALU_CYCLE_1)
	s_and_not1_b32 vcc_lo, exec_lo, s3
	s_cbranch_vccnz .LBB19_925
; %bb.924:
	global_load_u8 v3, v[1:2], off
	s_waitcnt vmcnt(0)
	v_lshlrev_b32_e32 v4, 25, v3
	v_lshlrev_b16 v3, 8, v3
	s_delay_alu instid0(VALU_DEP_2) | instskip(NEXT) | instid1(VALU_DEP_2)
	v_lshrrev_b32_e32 v7, 4, v4
	v_and_or_b32 v8, 0x7f00, v3, 0.5
	v_cmp_gt_u32_e32 vcc_lo, 0x8000000, v4
	v_bfe_i32 v3, v3, 0, 16
	s_delay_alu instid0(VALU_DEP_4) | instskip(NEXT) | instid1(VALU_DEP_1)
	v_or_b32_e32 v7, 0x70000000, v7
	v_dual_add_f32 v8, -0.5, v8 :: v_dual_mul_f32 v7, 0x7800000, v7
	s_delay_alu instid0(VALU_DEP_1) | instskip(NEXT) | instid1(VALU_DEP_1)
	v_cndmask_b32_e32 v4, v7, v8, vcc_lo
	v_and_or_b32 v8, 0x80000000, v3, v4
.LBB19_925:
	s_mov_b32 s3, 0
	s_mov_b32 s6, -1
.LBB19_926:
	s_and_not1_b32 vcc_lo, exec_lo, s3
	s_mov_b32 s3, 0
	s_cbranch_vccnz .LBB19_937
; %bb.927:
	v_cmp_lt_i16_e32 vcc_lo, 14, v6
	s_cbranch_vccz .LBB19_930
; %bb.928:
	v_cmp_eq_u16_e32 vcc_lo, 15, v6
	s_cbranch_vccz .LBB19_933
; %bb.929:
	global_load_u16 v3, v[1:2], off
	s_mov_b32 s2, 0
	s_mov_b32 s6, -1
	s_waitcnt vmcnt(0)
	v_lshlrev_b32_e32 v8, 16, v3
	s_branch .LBB19_935
.LBB19_930:
	s_mov_b32 s3, -1
	s_branch .LBB19_934
.LBB19_931:
	s_or_saveexec_b32 s7, s7
	v_mov_b32_e32 v8, s6
	s_xor_b32 exec_lo, exec_lo, s7
	s_cbranch_execz .LBB19_912
.LBB19_932:
	v_cmp_ne_u16_e32 vcc_lo, 0, v3
	v_mov_b32_e32 v8, 0
	s_and_not1_b32 s3, s3, exec_lo
	s_and_b32 s6, vcc_lo, exec_lo
	s_delay_alu instid0(SALU_CYCLE_1)
	s_or_b32 s3, s3, s6
	s_or_b32 exec_lo, exec_lo, s7
	s_and_saveexec_b32 s6, s3
	s_cbranch_execnz .LBB19_913
	s_branch .LBB19_914
.LBB19_933:
	s_mov_b32 s2, -1
.LBB19_934:
                                        ; implicit-def: $vgpr8
.LBB19_935:
	s_and_b32 vcc_lo, exec_lo, s3
	s_mov_b32 s3, 0
	s_cbranch_vccz .LBB19_937
; %bb.936:
	v_cmp_ne_u16_e32 vcc_lo, 11, v6
	s_and_not1_b32 s2, s2, exec_lo
	s_mov_b32 s3, -1
                                        ; implicit-def: $vgpr8
	s_and_b32 s7, vcc_lo, exec_lo
	s_delay_alu instid0(SALU_CYCLE_1)
	s_or_b32 s2, s2, s7
.LBB19_937:
	s_mov_b32 s7, 0
.LBB19_938:
	s_and_b32 s41, s6, exec_lo
	s_and_b32 s42, s7, exec_lo
	s_and_not1_b32 s6, s22, exec_lo
	s_and_b32 s7, s2, exec_lo
	s_and_b32 s2, s3, exec_lo
	s_or_b32 s43, s6, s7
.LBB19_939:
	s_or_b32 exec_lo, exec_lo, s30
	s_waitcnt lgkmcnt(0)
	s_and_not1_b32 s6, s22, exec_lo
	s_and_b32 s7, s43, exec_lo
	s_and_b32 s41, s41, exec_lo
	;; [unrolled: 1-line block ×4, first 2 shown]
	s_or_b32 s22, s6, s7
.LBB19_940:
	s_or_b32 exec_lo, exec_lo, s40
	s_waitcnt lgkmcnt(0)
	s_and_not1_b32 s6, s38, exec_lo
	s_and_b32 s7, s23, exec_lo
	s_and_b32 s40, s41, exec_lo
	s_or_b32 s38, s6, s7
	s_and_not1_b32 s6, s37, exec_lo
	s_and_b32 s7, s22, exec_lo
	s_and_b32 s23, s3, exec_lo
	s_and_b32 s3, s2, exec_lo
	s_or_b32 s37, s6, s7
.LBB19_941:
	s_or_b32 exec_lo, exec_lo, s39
	s_delay_alu instid0(SALU_CYCLE_1)
	s_and_not1_b32 s2, s34, exec_lo
	s_waitcnt lgkmcnt(0)
	s_and_b32 s6, s38, exec_lo
	s_and_b32 s7, s37, exec_lo
	s_or_b32 s34, s2, s6
	s_and_not1_b32 s6, s35, exec_lo
	s_and_b32 s2, s40, exec_lo
	s_and_b32 s22, s23, exec_lo
	;; [unrolled: 1-line block ×3, first 2 shown]
	s_or_b32 s35, s6, s7
.LBB19_942:
	s_or_b32 exec_lo, exec_lo, s36
	s_mov_b32 s3, 0
	s_waitcnt lgkmcnt(0)
	s_and_saveexec_b32 s6, s35
	s_cbranch_execnz .LBB19_954
; %bb.943:
	s_or_b32 exec_lo, exec_lo, s6
	s_and_saveexec_b32 s6, s37
	s_delay_alu instid0(SALU_CYCLE_1)
	s_xor_b32 s6, exec_lo, s6
	s_cbranch_execz .LBB19_945
.LBB19_944:
	global_load_u8 v3, v[1:2], off
	s_or_b32 s2, s2, exec_lo
	s_waitcnt vmcnt(0)
	v_cmp_ne_u16_e32 vcc_lo, 0, v3
	v_cndmask_b32_e64 v8, 0, 1.0, vcc_lo
.LBB19_945:
	s_or_b32 exec_lo, exec_lo, s6
	s_and_saveexec_b32 s6, s22
	s_cbranch_execz .LBB19_993
; %bb.946:
	v_cmp_gt_i16_e32 vcc_lo, 5, v6
	s_cbranch_vccnz .LBB19_951
; %bb.947:
	v_cmp_gt_i16_e32 vcc_lo, 8, v6
	s_cbranch_vccnz .LBB19_952
	;; [unrolled: 3-line block ×3, first 2 shown]
; %bb.949:
	v_cmp_lt_i16_e32 vcc_lo, 9, v6
	s_cbranch_vccz .LBB19_956
; %bb.950:
	global_load_b64 v[3:4], v[1:2], off
	s_mov_b32 s7, 0
	s_waitcnt vmcnt(0)
	v_cvt_f32_f64_e32 v8, v[3:4]
	s_branch .LBB19_957
.LBB19_951:
                                        ; implicit-def: $vgpr8
	s_branch .LBB19_974
.LBB19_952:
                                        ; implicit-def: $vgpr8
	s_branch .LBB19_963
.LBB19_953:
	s_mov_b32 s7, -1
                                        ; implicit-def: $vgpr8
	s_branch .LBB19_960
.LBB19_954:
	s_cbranch_execnz .LBB19_1236
; %bb.955:
	s_mov_b32 s3, exec_lo
	s_and_not1_b32 s37, s37, exec_lo
                                        ; implicit-def: $vgpr8
	s_or_b32 exec_lo, exec_lo, s6
	s_and_saveexec_b32 s6, s37
	s_delay_alu instid0(SALU_CYCLE_1)
	s_xor_b32 s6, exec_lo, s6
	s_cbranch_execnz .LBB19_944
	s_branch .LBB19_945
.LBB19_956:
	s_mov_b32 s7, -1
                                        ; implicit-def: $vgpr8
.LBB19_957:
	s_delay_alu instid0(SALU_CYCLE_1)
	s_and_not1_b32 vcc_lo, exec_lo, s7
	s_cbranch_vccnz .LBB19_959
; %bb.958:
	global_load_b32 v8, v[1:2], off
.LBB19_959:
	s_mov_b32 s7, 0
.LBB19_960:
	s_delay_alu instid0(SALU_CYCLE_1)
	s_and_not1_b32 vcc_lo, exec_lo, s7
	s_cbranch_vccnz .LBB19_962
; %bb.961:
	global_load_b32 v3, v[1:2], off
	s_waitcnt vmcnt(0)
	v_cvt_f32_f16_e32 v8, v3
.LBB19_962:
	s_cbranch_execnz .LBB19_973
.LBB19_963:
	v_cmp_gt_i16_e32 vcc_lo, 6, v6
	s_cbranch_vccnz .LBB19_966
; %bb.964:
	v_cmp_lt_i16_e32 vcc_lo, 6, v6
	s_cbranch_vccz .LBB19_967
; %bb.965:
	global_load_b64 v[3:4], v[1:2], off
	s_mov_b32 s7, 0
	s_waitcnt vmcnt(0)
	v_cvt_f32_f64_e32 v8, v[3:4]
	s_branch .LBB19_968
.LBB19_966:
	s_mov_b32 s7, -1
                                        ; implicit-def: $vgpr8
	s_branch .LBB19_971
.LBB19_967:
	s_mov_b32 s7, -1
                                        ; implicit-def: $vgpr8
.LBB19_968:
	s_delay_alu instid0(SALU_CYCLE_1)
	s_and_not1_b32 vcc_lo, exec_lo, s7
	s_cbranch_vccnz .LBB19_970
; %bb.969:
	global_load_b32 v8, v[1:2], off
.LBB19_970:
	s_mov_b32 s7, 0
.LBB19_971:
	s_delay_alu instid0(SALU_CYCLE_1)
	s_and_not1_b32 vcc_lo, exec_lo, s7
	s_cbranch_vccnz .LBB19_973
; %bb.972:
	global_load_u16 v3, v[1:2], off
	s_waitcnt vmcnt(0)
	v_cvt_f32_f16_e32 v8, v3
.LBB19_973:
	s_cbranch_execnz .LBB19_992
.LBB19_974:
	v_cmp_gt_i16_e32 vcc_lo, 2, v6
	s_cbranch_vccnz .LBB19_978
; %bb.975:
	v_cmp_gt_i16_e32 vcc_lo, 3, v6
	s_cbranch_vccnz .LBB19_979
; %bb.976:
	v_cmp_lt_i16_e32 vcc_lo, 3, v6
	s_cbranch_vccz .LBB19_980
; %bb.977:
	global_load_b64 v[3:4], v[1:2], off
	s_mov_b32 s7, 0
	s_waitcnt vmcnt(0)
	v_xor_b32_e32 v7, v3, v4
	v_cls_i32_e32 v8, v4
	s_delay_alu instid0(VALU_DEP_2) | instskip(NEXT) | instid1(VALU_DEP_2)
	v_ashrrev_i32_e32 v7, 31, v7
	v_add_nc_u32_e32 v8, -1, v8
	s_delay_alu instid0(VALU_DEP_2) | instskip(NEXT) | instid1(VALU_DEP_1)
	v_add_nc_u32_e32 v7, 32, v7
	v_min_u32_e32 v7, v8, v7
	s_delay_alu instid0(VALU_DEP_1) | instskip(NEXT) | instid1(VALU_DEP_1)
	v_lshlrev_b64 v[3:4], v7, v[3:4]
	v_min_u32_e32 v3, 1, v3
	s_delay_alu instid0(VALU_DEP_1) | instskip(SKIP_1) | instid1(VALU_DEP_2)
	v_or_b32_e32 v3, v4, v3
	v_sub_nc_u32_e32 v4, 32, v7
	v_cvt_f32_i32_e32 v3, v3
	s_delay_alu instid0(VALU_DEP_1)
	v_ldexp_f32 v8, v3, v4
	s_branch .LBB19_981
.LBB19_978:
                                        ; implicit-def: $vgpr8
	s_branch .LBB19_987
.LBB19_979:
	s_mov_b32 s7, -1
                                        ; implicit-def: $vgpr8
	s_branch .LBB19_984
.LBB19_980:
	s_mov_b32 s7, -1
                                        ; implicit-def: $vgpr8
.LBB19_981:
	s_delay_alu instid0(SALU_CYCLE_1)
	s_and_not1_b32 vcc_lo, exec_lo, s7
	s_cbranch_vccnz .LBB19_983
; %bb.982:
	global_load_b32 v3, v[1:2], off
	s_waitcnt vmcnt(0)
	v_cvt_f32_i32_e32 v8, v3
.LBB19_983:
	s_mov_b32 s7, 0
.LBB19_984:
	s_delay_alu instid0(SALU_CYCLE_1)
	s_and_not1_b32 vcc_lo, exec_lo, s7
	s_cbranch_vccnz .LBB19_986
; %bb.985:
	global_load_i16 v3, v[1:2], off
	s_waitcnt vmcnt(0)
	v_cvt_f32_i32_e32 v8, v3
.LBB19_986:
	s_cbranch_execnz .LBB19_992
.LBB19_987:
	v_cmp_lt_i16_e32 vcc_lo, 0, v6
	s_mov_b32 s7, 0
	s_cbranch_vccz .LBB19_989
; %bb.988:
	global_load_i8 v3, v[1:2], off
	s_waitcnt vmcnt(0)
	v_cvt_f32_i32_e32 v8, v3
	s_branch .LBB19_990
.LBB19_989:
	s_mov_b32 s7, -1
                                        ; implicit-def: $vgpr8
.LBB19_990:
	s_delay_alu instid0(SALU_CYCLE_1)
	s_and_not1_b32 vcc_lo, exec_lo, s7
	s_cbranch_vccnz .LBB19_992
; %bb.991:
	global_load_u8 v1, v[1:2], off
	s_waitcnt vmcnt(0)
	v_cvt_f32_ubyte0_e32 v8, v1
.LBB19_992:
	s_or_b32 s2, s2, exec_lo
.LBB19_993:
	s_or_b32 exec_lo, exec_lo, s6
	s_mov_b32 s8, 0
	s_mov_b32 s7, 0
                                        ; implicit-def: $vgpr6
                                        ; implicit-def: $vgpr3_vgpr4
                                        ; implicit-def: $vgpr1
	s_and_saveexec_b32 s6, s2
	s_cbranch_execz .LBB19_1082
; %bb.994:
	s_waitcnt vmcnt(0)
	s_delay_alu instid0(VALU_DEP_1) | instskip(NEXT) | instid1(VALU_DEP_1)
	v_cmp_ge_f32_e64 s2, 0x41000000, |v8|
                                        ; implicit-def: $vgpr1
	s_and_saveexec_b32 s7, s2
	s_delay_alu instid0(SALU_CYCLE_1)
	s_xor_b32 s2, exec_lo, s7
	s_cbranch_execz .LBB19_1000
; %bb.995:
	v_fma_f32 v1, |v8|, 0.5, -2.0
	s_mov_b32 s7, 0x224cf950
	s_delay_alu instid0(VALU_DEP_1) | instid1(SALU_CYCLE_1)
	v_fmaak_f32 v2, s7, v1, 0xa3c2be86
	s_mov_b32 s7, exec_lo
	s_delay_alu instid0(VALU_DEP_1) | instskip(NEXT) | instid1(VALU_DEP_1)
	v_fmaak_f32 v3, v1, v2, 0xa24cf950
	v_add_f32_e32 v3, 0x25331f1f, v3
	s_delay_alu instid0(VALU_DEP_1) | instskip(NEXT) | instid1(VALU_DEP_1)
	v_fma_f32 v2, v1, v3, -v2
	v_add_f32_e32 v2, 0xa69f5554, v2
	s_delay_alu instid0(VALU_DEP_1) | instskip(NEXT) | instid1(VALU_DEP_1)
	v_fma_f32 v3, v1, v2, -v3
	;; [unrolled: 3-line block ×26, first 2 shown]
	v_add_f32_e32 v1, 0x3e81531c, v1
	s_delay_alu instid0(VALU_DEP_1)
	v_sub_f32_e32 v2, v1, v3
                                        ; implicit-def: $vgpr1
	v_cmpx_ngt_f32_e32 0, v8
	s_xor_b32 s7, exec_lo, s7
	s_cbranch_execz .LBB19_997
; %bb.996:
	v_mul_f32_e64 v1, 0x3fb8aa3b, |v8|
	v_cmp_ngt_f32_e64 vcc_lo, 0xc2ce8ed0, |v8|
	v_mul_f32_e32 v2, 0.5, v2
	s_delay_alu instid0(VALU_DEP_3) | instskip(SKIP_1) | instid1(VALU_DEP_3)
	v_rndne_f32_e32 v3, v1
	v_fma_f32 v4, 0x3fb8aa3b, |v8|, -v1
	v_mul_f32_e64 v2, |v8|, v2
	s_delay_alu instid0(VALU_DEP_3) | instskip(NEXT) | instid1(VALU_DEP_3)
	v_sub_f32_e32 v1, v1, v3
	v_fma_f32 v4, 0x32a5705f, |v8|, v4
	v_cvt_i32_f32_e32 v3, v3
	s_delay_alu instid0(VALU_DEP_2) | instskip(NEXT) | instid1(VALU_DEP_1)
	v_add_f32_e32 v1, v1, v4
	v_exp_f32_e32 v1, v1
	s_waitcnt_depctr 0xfff
	v_ldexp_f32 v1, v1, v3
	s_delay_alu instid0(VALU_DEP_1) | instskip(SKIP_1) | instid1(VALU_DEP_2)
	v_cndmask_b32_e32 v1, 0, v1, vcc_lo
	v_cmp_nlt_f32_e64 vcc_lo, 0x42b17218, |v8|
                                        ; implicit-def: $vgpr8
	v_cndmask_b32_e32 v1, 0x7f800000, v1, vcc_lo
	s_delay_alu instid0(VALU_DEP_1)
	v_mul_f32_e32 v1, v1, v2
                                        ; implicit-def: $vgpr2
.LBB19_997:
	s_and_not1_saveexec_b32 s7, s7
	s_cbranch_execz .LBB19_999
; %bb.998:
	v_mul_f32_e64 v1, 0x3fb8aa3b, |v8|
	v_cmp_ngt_f32_e64 vcc_lo, 0xc2ce8ed0, |v8|
	v_mul_f32_e32 v2, -0.5, v2
	s_delay_alu instid0(VALU_DEP_3) | instskip(SKIP_1) | instid1(VALU_DEP_3)
	v_rndne_f32_e32 v3, v1
	v_fma_f32 v4, 0x3fb8aa3b, |v8|, -v1
	v_mul_f32_e64 v2, |v8|, v2
	s_delay_alu instid0(VALU_DEP_3) | instskip(NEXT) | instid1(VALU_DEP_3)
	v_sub_f32_e32 v1, v1, v3
	v_fma_f32 v4, 0x32a5705f, |v8|, v4
	v_cvt_i32_f32_e32 v3, v3
	s_delay_alu instid0(VALU_DEP_2) | instskip(NEXT) | instid1(VALU_DEP_1)
	v_add_f32_e32 v1, v1, v4
	v_exp_f32_e32 v1, v1
	s_waitcnt_depctr 0xfff
	v_ldexp_f32 v1, v1, v3
	s_delay_alu instid0(VALU_DEP_1) | instskip(SKIP_1) | instid1(VALU_DEP_2)
	v_cndmask_b32_e32 v1, 0, v1, vcc_lo
	v_cmp_nlt_f32_e64 vcc_lo, 0x42b17218, |v8|
	v_cndmask_b32_e32 v1, 0x7f800000, v1, vcc_lo
	s_delay_alu instid0(VALU_DEP_1)
	v_mul_f32_e32 v1, v1, v2
.LBB19_999:
	s_or_b32 exec_lo, exec_lo, s7
                                        ; implicit-def: $vgpr8
.LBB19_1000:
	s_and_not1_saveexec_b32 s7, s2
	s_cbranch_execz .LBB19_1006
; %bb.1001:
	v_and_b32_e32 v1, 0x7fffffff, v8
	s_mov_b32 s2, 0x230aab6e
	s_delay_alu instid0(VALU_DEP_1) | instskip(SKIP_1) | instid1(VALU_DEP_2)
	v_div_scale_f32 v2, null, v1, v1, 0x42000000
	v_div_scale_f32 v1, vcc_lo, 0x42000000, v1, 0x42000000
	v_rcp_f32_e32 v3, v2
	s_waitcnt_depctr 0xfff
	v_fma_f32 v4, -v2, v3, 1.0
	s_delay_alu instid0(VALU_DEP_1) | instskip(NEXT) | instid1(VALU_DEP_1)
	v_fmac_f32_e32 v3, v4, v3
	v_mul_f32_e32 v4, v1, v3
	s_delay_alu instid0(VALU_DEP_1) | instskip(NEXT) | instid1(VALU_DEP_1)
	v_fma_f32 v6, -v2, v4, v1
	v_fmac_f32_e32 v4, v6, v3
	s_delay_alu instid0(VALU_DEP_1) | instskip(NEXT) | instid1(VALU_DEP_1)
	v_fma_f32 v1, -v2, v4, v1
	v_div_fmas_f32 v1, v1, v3, v4
	v_mul_f32_e64 v4, 0x3fb8aa3b, |v8|
	v_cmp_ngt_f32_e64 vcc_lo, 0xc2ce8ed0, |v8|
	s_delay_alu instid0(VALU_DEP_3) | instskip(NEXT) | instid1(VALU_DEP_3)
	v_div_fixup_f32 v1, v1, |v8|, 0x42000000
	v_rndne_f32_e32 v6, v4
	v_fma_f32 v7, 0x3fb8aa3b, |v8|, -v4
	s_delay_alu instid0(VALU_DEP_2) | instskip(NEXT) | instid1(VALU_DEP_2)
	v_dual_add_f32 v1, -2.0, v1 :: v_dual_sub_f32 v4, v4, v6
	v_fma_f32 v7, 0x32a5705f, |v8|, v7
	v_cvt_i32_f32_e32 v6, v6
	s_delay_alu instid0(VALU_DEP_3) | instskip(SKIP_1) | instid1(VALU_DEP_2)
	v_fmaak_f32 v2, s2, v1, 0x22a2dc57
	v_cmp_nlt_f32_e64 s2, 0x42b17218, |v8|
	v_dual_add_f32 v4, v4, v7 :: v_dual_fmaak_f32 v3, v1, v2, 0xa30aab6e
	s_delay_alu instid0(VALU_DEP_1) | instskip(NEXT) | instid1(VALU_DEP_1)
	v_exp_f32_e32 v4, v4
	v_add_f32_e32 v3, 0xa456751e, v3
	s_delay_alu instid0(VALU_DEP_1) | instskip(NEXT) | instid1(VALU_DEP_1)
	v_fma_f32 v2, v1, v3, -v2
	v_add_f32_e32 v2, 0xa4140365, v2
	s_delay_alu instid0(VALU_DEP_1) | instskip(NEXT) | instid1(VALU_DEP_1)
	v_fma_f32 v3, v1, v2, -v3
	;; [unrolled: 3-line block ×21, first 2 shown]
	v_add_f32_e32 v2, 0xbc1fed03, v2
	s_delay_alu instid0(VALU_DEP_1) | instskip(SKIP_2) | instid1(VALU_DEP_2)
	v_fma_f32 v1, v1, v2, -v3
	v_ldexp_f32 v2, v4, v6
	v_mul_f32_e64 v4, 0x4f800000, |v8|
	v_dual_add_f32 v1, 0x3f4750c6, v1 :: v_dual_cndmask_b32 v2, 0, v2
	s_delay_alu instid0(VALU_DEP_1) | instskip(NEXT) | instid1(VALU_DEP_2)
	v_sub_f32_e32 v1, v1, v3
	v_cndmask_b32_e64 v2, 0x7f800000, v2, s2
	s_mov_b32 s2, exec_lo
	s_delay_alu instid0(VALU_DEP_2)
	v_mul_f32_e32 v3, 0.5, v1
                                        ; implicit-def: $vgpr1
	v_cmpx_ngt_f32_e32 0, v8
	s_xor_b32 s8, exec_lo, s2
	s_cbranch_execz .LBB19_1003
; %bb.1002:
	v_cmp_gt_f32_e64 vcc_lo, 0xf800000, |v8|
	v_mul_f32_e32 v2, v2, v3
	s_delay_alu instid0(VALU_DEP_2) | instskip(NEXT) | instid1(VALU_DEP_1)
	v_cndmask_b32_e64 v1, |v8|, v4, vcc_lo
	v_sqrt_f32_e32 v4, v1
	s_waitcnt_depctr 0xfff
	v_add_nc_u32_e32 v6, -1, v4
	v_add_nc_u32_e32 v7, 1, v4
	s_delay_alu instid0(VALU_DEP_2) | instskip(NEXT) | instid1(VALU_DEP_2)
	v_fma_f32 v8, -v6, v4, v1
	v_fma_f32 v9, -v7, v4, v1
	s_delay_alu instid0(VALU_DEP_2) | instskip(NEXT) | instid1(VALU_DEP_1)
	v_cmp_ge_f32_e64 s2, 0, v8
	v_cndmask_b32_e64 v4, v4, v6, s2
	s_delay_alu instid0(VALU_DEP_3) | instskip(NEXT) | instid1(VALU_DEP_1)
	v_cmp_lt_f32_e64 s2, 0, v9
	v_cndmask_b32_e64 v4, v4, v7, s2
	s_delay_alu instid0(VALU_DEP_1) | instskip(NEXT) | instid1(VALU_DEP_1)
	v_mul_f32_e32 v6, 0x37800000, v4
	v_cndmask_b32_e32 v4, v4, v6, vcc_lo
	v_cmp_class_f32_e64 vcc_lo, v1, 0x260
	s_delay_alu instid0(VALU_DEP_2) | instskip(NEXT) | instid1(VALU_DEP_1)
	v_cndmask_b32_e32 v1, v4, v1, vcc_lo
	v_div_scale_f32 v3, null, v1, v1, v2
	s_delay_alu instid0(VALU_DEP_1) | instskip(SKIP_2) | instid1(VALU_DEP_1)
	v_rcp_f32_e32 v4, v3
	s_waitcnt_depctr 0xfff
	v_fma_f32 v6, -v3, v4, 1.0
	v_fmac_f32_e32 v4, v6, v4
	v_div_scale_f32 v6, vcc_lo, v2, v1, v2
	s_delay_alu instid0(VALU_DEP_1) | instskip(NEXT) | instid1(VALU_DEP_1)
	v_mul_f32_e32 v7, v6, v4
	v_fma_f32 v8, -v3, v7, v6
	s_delay_alu instid0(VALU_DEP_1) | instskip(NEXT) | instid1(VALU_DEP_1)
	v_fmac_f32_e32 v7, v8, v4
                                        ; implicit-def: $vgpr8
	v_fma_f32 v3, -v3, v7, v6
	s_delay_alu instid0(VALU_DEP_1) | instskip(NEXT) | instid1(VALU_DEP_1)
	v_div_fmas_f32 v3, v3, v4, v7
                                        ; implicit-def: $vgpr4
	v_div_fixup_f32 v1, v3, v1, v2
                                        ; implicit-def: $vgpr2
                                        ; implicit-def: $vgpr3
.LBB19_1003:
	s_and_not1_saveexec_b32 s8, s8
	s_cbranch_execz .LBB19_1005
; %bb.1004:
	v_cmp_gt_f32_e64 vcc_lo, 0xf800000, |v8|
	v_mul_f32_e64 v2, v3, -v2
	s_delay_alu instid0(VALU_DEP_2) | instskip(NEXT) | instid1(VALU_DEP_1)
	v_cndmask_b32_e64 v1, |v8|, v4, vcc_lo
	v_sqrt_f32_e32 v4, v1
	s_waitcnt_depctr 0xfff
	v_add_nc_u32_e32 v6, -1, v4
	v_add_nc_u32_e32 v7, 1, v4
	s_delay_alu instid0(VALU_DEP_2) | instskip(NEXT) | instid1(VALU_DEP_2)
	v_fma_f32 v8, -v6, v4, v1
	v_fma_f32 v9, -v7, v4, v1
	s_delay_alu instid0(VALU_DEP_2) | instskip(NEXT) | instid1(VALU_DEP_1)
	v_cmp_ge_f32_e64 s2, 0, v8
	v_cndmask_b32_e64 v4, v4, v6, s2
	s_delay_alu instid0(VALU_DEP_3) | instskip(NEXT) | instid1(VALU_DEP_1)
	v_cmp_lt_f32_e64 s2, 0, v9
	v_cndmask_b32_e64 v4, v4, v7, s2
	s_delay_alu instid0(VALU_DEP_1) | instskip(NEXT) | instid1(VALU_DEP_1)
	v_mul_f32_e32 v6, 0x37800000, v4
	v_cndmask_b32_e32 v4, v4, v6, vcc_lo
	v_cmp_class_f32_e64 vcc_lo, v1, 0x260
	s_delay_alu instid0(VALU_DEP_2) | instskip(NEXT) | instid1(VALU_DEP_1)
	v_cndmask_b32_e32 v1, v4, v1, vcc_lo
	v_div_scale_f32 v3, null, v1, v1, v2
	s_delay_alu instid0(VALU_DEP_1) | instskip(SKIP_2) | instid1(VALU_DEP_1)
	v_rcp_f32_e32 v4, v3
	s_waitcnt_depctr 0xfff
	v_fma_f32 v6, -v3, v4, 1.0
	v_fmac_f32_e32 v4, v6, v4
	v_div_scale_f32 v6, vcc_lo, v2, v1, v2
	s_delay_alu instid0(VALU_DEP_1) | instskip(NEXT) | instid1(VALU_DEP_1)
	v_mul_f32_e32 v7, v6, v4
	v_fma_f32 v8, -v3, v7, v6
	s_delay_alu instid0(VALU_DEP_1) | instskip(NEXT) | instid1(VALU_DEP_1)
	v_fmac_f32_e32 v7, v8, v4
	v_fma_f32 v3, -v3, v7, v6
	s_delay_alu instid0(VALU_DEP_1) | instskip(NEXT) | instid1(VALU_DEP_1)
	v_div_fmas_f32 v3, v3, v4, v7
	v_div_fixup_f32 v1, v3, v1, v2
.LBB19_1005:
	s_or_b32 exec_lo, exec_lo, s8
.LBB19_1006:
	s_delay_alu instid0(SALU_CYCLE_1) | instskip(SKIP_2) | instid1(VALU_DEP_1)
	s_or_b32 exec_lo, exec_lo, s7
	v_and_b32_e32 v6, 0xff, v5
	v_add_co_u32 v3, s2, s4, v0
	v_add_co_ci_u32_e64 v4, null, s5, 0, s2
	s_delay_alu instid0(VALU_DEP_3)
	v_cmp_gt_i16_e32 vcc_lo, 11, v6
	s_mov_b32 s8, 0
	s_mov_b32 s4, -1
	s_mov_b32 s2, s34
	s_cbranch_vccnz .LBB19_1081
; %bb.1007:
	v_cmp_lt_i16_e32 vcc_lo, 25, v6
	s_mov_b32 s2, s34
	s_cbranch_vccz .LBB19_1040
; %bb.1008:
	v_cmp_lt_i16_e32 vcc_lo, 28, v6
	s_mov_b32 s2, s34
	s_cbranch_vccz .LBB19_1024
	;; [unrolled: 4-line block ×4, first 2 shown]
; %bb.1011:
	v_cmp_eq_u16_e32 vcc_lo, 46, v6
	s_mov_b32 s2, -1
	s_cbranch_vccz .LBB19_1013
; %bb.1012:
	v_bfe_u32 v0, v1, 16, 1
	v_cmp_o_f32_e32 vcc_lo, v1, v1
	s_mov_b32 s2, 0
	s_delay_alu instid0(VALU_DEP_2) | instskip(NEXT) | instid1(VALU_DEP_1)
	v_add3_u32 v0, v1, v0, 0x7fff
	v_lshrrev_b32_e32 v0, 16, v0
	s_delay_alu instid0(VALU_DEP_1)
	v_cndmask_b32_e32 v0, 0x7fc0, v0, vcc_lo
	global_store_b32 v[3:4], v0, off
.LBB19_1013:
	s_mov_b32 s4, 0
.LBB19_1014:
	s_delay_alu instid0(SALU_CYCLE_1)
	s_and_b32 vcc_lo, exec_lo, s4
	s_cbranch_vccz .LBB19_1019
; %bb.1015:
	v_cmp_eq_u16_e32 vcc_lo, 44, v6
	s_mov_b32 s2, -1
	s_cbranch_vccz .LBB19_1019
; %bb.1016:
	v_bfe_u32 v2, v1, 23, 8
	v_mov_b32_e32 v0, 0xff
	s_mov_b32 s4, exec_lo
	s_delay_alu instid0(VALU_DEP_2)
	v_cmpx_ne_u32_e32 0xff, v2
; %bb.1017:
	v_and_b32_e32 v0, 0x400000, v1
	v_and_or_b32 v2, 0x3fffff, v1, v2
	s_delay_alu instid0(VALU_DEP_2) | instskip(NEXT) | instid1(VALU_DEP_2)
	v_cmp_ne_u32_e32 vcc_lo, 0, v0
	v_cmp_ne_u32_e64 s2, 0, v2
	v_lshrrev_b32_e32 v0, 23, v1
	s_delay_alu instid0(VALU_DEP_2) | instskip(NEXT) | instid1(SALU_CYCLE_1)
	s_and_b32 s2, vcc_lo, s2
	v_cndmask_b32_e64 v2, 0, 1, s2
	s_delay_alu instid0(VALU_DEP_1)
	v_add_nc_u32_e32 v0, v0, v2
; %bb.1018:
	s_or_b32 exec_lo, exec_lo, s4
	s_mov_b32 s2, 0
	global_store_b8 v[3:4], v0, off
.LBB19_1019:
	s_mov_b32 s4, 0
.LBB19_1020:
	s_delay_alu instid0(SALU_CYCLE_1)
	s_and_b32 vcc_lo, exec_lo, s4
	s_cbranch_vccz .LBB19_1023
; %bb.1021:
	v_cmp_eq_u16_e32 vcc_lo, 29, v6
	s_mov_b32 s2, -1
	s_cbranch_vccz .LBB19_1023
; %bb.1022:
	v_trunc_f32_e32 v0, v1
	s_mov_b32 s2, 0
	s_delay_alu instid0(VALU_DEP_1) | instskip(NEXT) | instid1(VALU_DEP_1)
	v_mul_f32_e32 v2, 0x2f800000, v0
	v_floor_f32_e32 v2, v2
	s_delay_alu instid0(VALU_DEP_1) | instskip(SKIP_1) | instid1(VALU_DEP_2)
	v_fmamk_f32 v0, v2, 0xcf800000, v0
	v_cvt_u32_f32_e32 v8, v2
	v_cvt_u32_f32_e32 v7, v0
	global_store_b64 v[3:4], v[7:8], off
.LBB19_1023:
	s_mov_b32 s4, 0
.LBB19_1024:
	s_delay_alu instid0(SALU_CYCLE_1)
	s_and_b32 vcc_lo, exec_lo, s4
	s_cbranch_vccz .LBB19_1039
; %bb.1025:
	v_cmp_gt_i16_e32 vcc_lo, 27, v6
	s_mov_b32 s4, -1
	s_cbranch_vccnz .LBB19_1031
; %bb.1026:
	v_cmp_lt_i16_e32 vcc_lo, 27, v6
	v_cvt_u32_f32_e32 v0, v1
	s_cbranch_vccz .LBB19_1028
; %bb.1027:
	s_mov_b32 s4, 0
	global_store_b32 v[3:4], v0, off
.LBB19_1028:
	s_and_not1_b32 vcc_lo, exec_lo, s4
	s_cbranch_vccnz .LBB19_1030
; %bb.1029:
	global_store_b16 v[3:4], v0, off
.LBB19_1030:
	s_mov_b32 s4, 0
.LBB19_1031:
	s_delay_alu instid0(SALU_CYCLE_1)
	s_and_not1_b32 vcc_lo, exec_lo, s4
	s_cbranch_vccnz .LBB19_1039
; %bb.1032:
	v_and_b32_e32 v0, 0x7fffffff, v1
	v_mov_b32_e32 v2, 0x80
	s_mov_b32 s4, exec_lo
	s_delay_alu instid0(VALU_DEP_2)
	v_cmpx_gt_u32_e32 0x43800000, v0
	s_cbranch_execz .LBB19_1038
; %bb.1033:
	v_cmp_lt_u32_e32 vcc_lo, 0x3bffffff, v0
	s_mov_b32 s5, 0
                                        ; implicit-def: $vgpr0
	s_and_saveexec_b32 s7, vcc_lo
	s_delay_alu instid0(SALU_CYCLE_1)
	s_xor_b32 s7, exec_lo, s7
	s_cbranch_execz .LBB19_1339
; %bb.1034:
	v_bfe_u32 v0, v1, 20, 1
	s_mov_b32 s5, exec_lo
	s_delay_alu instid0(VALU_DEP_1) | instskip(NEXT) | instid1(VALU_DEP_1)
	v_add3_u32 v0, v1, v0, 0x487ffff
	v_lshrrev_b32_e32 v0, 20, v0
	s_or_saveexec_b32 s7, s7
                                        ; implicit-def: $sgpr8
	s_delay_alu instid0(SALU_CYCLE_1)
	s_xor_b32 exec_lo, exec_lo, s7
	s_cbranch_execnz .LBB19_1340
.LBB19_1035:
	s_or_b32 exec_lo, exec_lo, s7
	v_mov_b32_e32 v2, s8
	s_and_saveexec_b32 s7, s5
.LBB19_1036:
	v_lshrrev_b32_e32 v2, 24, v1
	s_delay_alu instid0(VALU_DEP_1)
	v_and_or_b32 v2, 0x80, v2, v0
.LBB19_1037:
	s_or_b32 exec_lo, exec_lo, s7
.LBB19_1038:
	s_delay_alu instid0(SALU_CYCLE_1)
	s_or_b32 exec_lo, exec_lo, s4
	global_store_b8 v[3:4], v2, off
.LBB19_1039:
	s_mov_b32 s4, 0
.LBB19_1040:
	s_delay_alu instid0(SALU_CYCLE_1)
	s_and_b32 vcc_lo, exec_lo, s4
	s_mov_b32 s4, 0
	s_cbranch_vccz .LBB19_1080
; %bb.1041:
	v_cmp_lt_i16_e32 vcc_lo, 22, v6
	s_mov_b32 s5, -1
	s_cbranch_vccz .LBB19_1073
; %bb.1042:
	v_cmp_gt_i16_e32 vcc_lo, 24, v6
	s_cbranch_vccnz .LBB19_1062
; %bb.1043:
	v_cmp_lt_i16_e32 vcc_lo, 24, v6
	s_cbranch_vccz .LBB19_1051
; %bb.1044:
	v_and_b32_e32 v0, 0x7fffffff, v1
	v_mov_b32_e32 v2, 0x80
	s_mov_b32 s5, exec_lo
	s_delay_alu instid0(VALU_DEP_2)
	v_cmpx_gt_u32_e32 0x47800000, v0
	s_cbranch_execz .LBB19_1050
; %bb.1045:
	v_cmp_lt_u32_e32 vcc_lo, 0x37ffffff, v0
	s_mov_b32 s7, 0
                                        ; implicit-def: $vgpr0
	s_and_saveexec_b32 s8, vcc_lo
	s_delay_alu instid0(SALU_CYCLE_1)
	s_xor_b32 s8, exec_lo, s8
	s_cbranch_execz .LBB19_1383
; %bb.1046:
	v_bfe_u32 v0, v1, 21, 1
	s_mov_b32 s7, exec_lo
	s_delay_alu instid0(VALU_DEP_1) | instskip(NEXT) | instid1(VALU_DEP_1)
	v_add3_u32 v0, v1, v0, 0x88fffff
	v_lshrrev_b32_e32 v0, 21, v0
	s_or_saveexec_b32 s8, s8
                                        ; implicit-def: $sgpr9
	s_delay_alu instid0(SALU_CYCLE_1)
	s_xor_b32 exec_lo, exec_lo, s8
	s_cbranch_execnz .LBB19_1384
.LBB19_1047:
	s_or_b32 exec_lo, exec_lo, s8
	v_mov_b32_e32 v2, s9
	s_and_saveexec_b32 s8, s7
.LBB19_1048:
	v_lshrrev_b32_e32 v2, 24, v1
	s_delay_alu instid0(VALU_DEP_1)
	v_and_or_b32 v2, 0x80, v2, v0
.LBB19_1049:
	s_or_b32 exec_lo, exec_lo, s8
.LBB19_1050:
	s_delay_alu instid0(SALU_CYCLE_1)
	s_or_b32 exec_lo, exec_lo, s5
	s_mov_b32 s5, 0
	global_store_b8 v[3:4], v2, off
.LBB19_1051:
	s_and_b32 vcc_lo, exec_lo, s5
	s_cbranch_vccz .LBB19_1061
; %bb.1052:
	v_and_b32_e32 v2, 0x7fffffff, v1
	s_mov_b32 s5, exec_lo
                                        ; implicit-def: $vgpr0
	s_delay_alu instid0(VALU_DEP_1)
	v_cmpx_gt_u32_e32 0x43f00000, v2
	s_xor_b32 s5, exec_lo, s5
	s_cbranch_execz .LBB19_1058
; %bb.1053:
	s_mov_b32 s7, exec_lo
                                        ; implicit-def: $vgpr0
	v_cmpx_lt_u32_e32 0x3c7fffff, v2
	s_xor_b32 s7, exec_lo, s7
; %bb.1054:
	v_bfe_u32 v0, v1, 20, 1
	s_delay_alu instid0(VALU_DEP_1) | instskip(NEXT) | instid1(VALU_DEP_1)
	v_add3_u32 v0, v1, v0, 0x407ffff
	v_and_b32_e32 v2, 0xff00000, v0
	v_lshrrev_b32_e32 v0, 20, v0
	s_delay_alu instid0(VALU_DEP_2) | instskip(NEXT) | instid1(VALU_DEP_2)
	v_cmp_ne_u32_e32 vcc_lo, 0x7f00000, v2
	v_cndmask_b32_e32 v0, 0x7e, v0, vcc_lo
; %bb.1055:
	s_and_not1_saveexec_b32 s7, s7
; %bb.1056:
	v_add_f32_e64 v0, 0x46800000, |v1|
; %bb.1057:
	s_or_b32 exec_lo, exec_lo, s7
                                        ; implicit-def: $vgpr2
.LBB19_1058:
	s_and_not1_saveexec_b32 s5, s5
; %bb.1059:
	v_mov_b32_e32 v0, 0x7f
	v_cmp_lt_u32_e32 vcc_lo, 0x7f800000, v2
	s_delay_alu instid0(VALU_DEP_2)
	v_cndmask_b32_e32 v0, 0x7e, v0, vcc_lo
; %bb.1060:
	s_or_b32 exec_lo, exec_lo, s5
	v_lshrrev_b32_e32 v2, 24, v1
	s_delay_alu instid0(VALU_DEP_1)
	v_and_or_b32 v0, 0x80, v2, v0
	global_store_b8 v[3:4], v0, off
.LBB19_1061:
	s_mov_b32 s5, 0
.LBB19_1062:
	s_delay_alu instid0(SALU_CYCLE_1)
	s_and_not1_b32 vcc_lo, exec_lo, s5
	s_cbranch_vccnz .LBB19_1072
; %bb.1063:
	v_and_b32_e32 v2, 0x7fffffff, v1
	s_mov_b32 s5, exec_lo
                                        ; implicit-def: $vgpr0
	s_delay_alu instid0(VALU_DEP_1)
	v_cmpx_gt_u32_e32 0x47800000, v2
	s_xor_b32 s5, exec_lo, s5
	s_cbranch_execz .LBB19_1069
; %bb.1064:
	s_mov_b32 s7, exec_lo
                                        ; implicit-def: $vgpr0
	v_cmpx_lt_u32_e32 0x387fffff, v2
	s_xor_b32 s7, exec_lo, s7
; %bb.1065:
	v_bfe_u32 v0, v1, 21, 1
	s_delay_alu instid0(VALU_DEP_1) | instskip(NEXT) | instid1(VALU_DEP_1)
	v_add3_u32 v0, v1, v0, 0x80fffff
	v_lshrrev_b32_e32 v0, 21, v0
; %bb.1066:
	s_and_not1_saveexec_b32 s7, s7
; %bb.1067:
	v_add_f32_e64 v0, 0x43000000, |v1|
; %bb.1068:
	s_or_b32 exec_lo, exec_lo, s7
                                        ; implicit-def: $vgpr2
.LBB19_1069:
	s_and_not1_saveexec_b32 s5, s5
; %bb.1070:
	v_mov_b32_e32 v0, 0x7f
	v_cmp_lt_u32_e32 vcc_lo, 0x7f800000, v2
	s_delay_alu instid0(VALU_DEP_2)
	v_cndmask_b32_e32 v0, 0x7c, v0, vcc_lo
; %bb.1071:
	s_or_b32 exec_lo, exec_lo, s5
	v_lshrrev_b32_e32 v2, 24, v1
	s_delay_alu instid0(VALU_DEP_1)
	v_and_or_b32 v0, 0x80, v2, v0
	global_store_b8 v[3:4], v0, off
.LBB19_1072:
	s_mov_b32 s5, 0
.LBB19_1073:
	s_delay_alu instid0(SALU_CYCLE_1)
	s_and_not1_b32 vcc_lo, exec_lo, s5
	s_mov_b32 s8, 0
	s_cbranch_vccnz .LBB19_1081
; %bb.1074:
	v_cmp_lt_i16_e32 vcc_lo, 14, v6
	s_mov_b32 s5, -1
	s_cbranch_vccz .LBB19_1078
; %bb.1075:
	v_cmp_eq_u16_e32 vcc_lo, 15, v6
	s_mov_b32 s2, -1
	s_cbranch_vccz .LBB19_1077
; %bb.1076:
	v_bfe_u32 v0, v1, 16, 1
	v_cmp_o_f32_e32 vcc_lo, v1, v1
	s_mov_b32 s2, 0
	s_delay_alu instid0(VALU_DEP_2) | instskip(NEXT) | instid1(VALU_DEP_1)
	v_add3_u32 v0, v1, v0, 0x7fff
	v_lshrrev_b32_e32 v0, 16, v0
	s_delay_alu instid0(VALU_DEP_1)
	v_cndmask_b32_e32 v0, 0x7fc0, v0, vcc_lo
	global_store_b16 v[3:4], v0, off
.LBB19_1077:
	s_mov_b32 s5, 0
.LBB19_1078:
	s_delay_alu instid0(SALU_CYCLE_1)
	s_and_b32 vcc_lo, exec_lo, s5
	s_cbranch_vccz .LBB19_1081
; %bb.1079:
	v_cmp_ne_u16_e32 vcc_lo, 11, v6
	s_and_not1_b32 s2, s2, exec_lo
	s_mov_b32 s8, -1
	s_and_b32 s5, vcc_lo, exec_lo
	s_delay_alu instid0(SALU_CYCLE_1)
	s_or_b32 s2, s2, s5
	s_branch .LBB19_1081
.LBB19_1080:
	s_mov_b32 s8, 0
.LBB19_1081:
	s_and_b32 s7, s4, exec_lo
	s_and_not1_b32 s4, s34, exec_lo
	s_and_b32 s2, s2, exec_lo
	s_and_b32 s8, s8, exec_lo
	s_or_b32 s34, s4, s2
.LBB19_1082:
	s_or_b32 exec_lo, exec_lo, s6
	s_and_saveexec_b32 s2, s34
	s_cbranch_execnz .LBB19_1196
; %bb.1083:
	s_or_b32 exec_lo, exec_lo, s2
	s_and_saveexec_b32 s2, s8
	s_delay_alu instid0(SALU_CYCLE_1)
	s_xor_b32 s2, exec_lo, s2
	s_cbranch_execz .LBB19_1085
.LBB19_1084:
	v_cmp_neq_f32_e32 vcc_lo, 0, v1
	v_cndmask_b32_e64 v0, 0, 1, vcc_lo
	s_waitcnt vmcnt(0)
	global_store_b8 v[3:4], v0, off
.LBB19_1085:
	s_or_b32 exec_lo, exec_lo, s2
	s_and_saveexec_b32 s2, s7
	s_delay_alu instid0(SALU_CYCLE_1)
	s_xor_b32 s2, exec_lo, s2
	s_cbranch_execz .LBB19_1123
; %bb.1086:
	v_cmp_gt_i16_e32 vcc_lo, 5, v6
	s_mov_b32 s4, -1
	s_cbranch_vccnz .LBB19_1107
; %bb.1087:
	v_cmp_gt_i16_e32 vcc_lo, 8, v6
	s_cbranch_vccnz .LBB19_1097
; %bb.1088:
	v_cmp_gt_i16_e32 vcc_lo, 9, v6
	s_cbranch_vccnz .LBB19_1094
; %bb.1089:
	v_cmp_lt_i16_e32 vcc_lo, 9, v6
	s_cbranch_vccz .LBB19_1091
; %bb.1090:
	s_waitcnt vmcnt(0)
	v_cvt_f64_f32_e32 v[7:8], v1
	v_mov_b32_e32 v9, 0
	s_mov_b32 s4, 0
	s_delay_alu instid0(VALU_DEP_1)
	v_mov_b32_e32 v10, v9
	global_store_b128 v[3:4], v[7:10], off
.LBB19_1091:
	s_and_not1_b32 vcc_lo, exec_lo, s4
	s_cbranch_vccnz .LBB19_1093
; %bb.1092:
	v_mov_b32_e32 v2, 0
	s_waitcnt vmcnt(0)
	global_store_b64 v[3:4], v[1:2], off
.LBB19_1093:
	s_mov_b32 s4, 0
.LBB19_1094:
	s_delay_alu instid0(SALU_CYCLE_1)
	s_and_not1_b32 vcc_lo, exec_lo, s4
	s_cbranch_vccnz .LBB19_1096
; %bb.1095:
	v_cvt_f16_f32_e32 v0, v1
	s_delay_alu instid0(VALU_DEP_1)
	v_and_b32_e32 v0, 0xffff, v0
	s_waitcnt vmcnt(0)
	global_store_b32 v[3:4], v0, off
.LBB19_1096:
	s_mov_b32 s4, 0
.LBB19_1097:
	s_delay_alu instid0(SALU_CYCLE_1)
	s_and_not1_b32 vcc_lo, exec_lo, s4
	s_cbranch_vccnz .LBB19_1106
; %bb.1098:
	v_cmp_gt_i16_e32 vcc_lo, 6, v6
	s_mov_b32 s4, -1
	s_cbranch_vccnz .LBB19_1104
; %bb.1099:
	v_cmp_lt_i16_e32 vcc_lo, 6, v6
	s_cbranch_vccz .LBB19_1101
; %bb.1100:
	s_waitcnt vmcnt(0)
	v_cvt_f64_f32_e32 v[7:8], v1
	s_mov_b32 s4, 0
	global_store_b64 v[3:4], v[7:8], off
.LBB19_1101:
	s_and_not1_b32 vcc_lo, exec_lo, s4
	s_cbranch_vccnz .LBB19_1103
; %bb.1102:
	s_waitcnt vmcnt(0)
	global_store_b32 v[3:4], v1, off
.LBB19_1103:
	s_mov_b32 s4, 0
.LBB19_1104:
	s_delay_alu instid0(SALU_CYCLE_1)
	s_and_not1_b32 vcc_lo, exec_lo, s4
	s_cbranch_vccnz .LBB19_1106
; %bb.1105:
	v_cvt_f16_f32_e32 v0, v1
	s_waitcnt vmcnt(0)
	global_store_b16 v[3:4], v0, off
.LBB19_1106:
	s_mov_b32 s4, 0
.LBB19_1107:
	s_delay_alu instid0(SALU_CYCLE_1)
	s_and_not1_b32 vcc_lo, exec_lo, s4
	s_cbranch_vccnz .LBB19_1123
; %bb.1108:
	v_cmp_gt_i16_e32 vcc_lo, 2, v6
	s_mov_b32 s4, -1
	s_cbranch_vccnz .LBB19_1118
; %bb.1109:
	v_cmp_gt_i16_e32 vcc_lo, 3, v6
	s_cbranch_vccnz .LBB19_1115
; %bb.1110:
	v_cmp_lt_i16_e32 vcc_lo, 3, v6
	s_cbranch_vccz .LBB19_1112
; %bb.1111:
	v_trunc_f32_e32 v0, v1
	s_mov_b32 s4, 0
	s_delay_alu instid0(VALU_DEP_1) | instskip(NEXT) | instid1(VALU_DEP_1)
	v_mul_f32_e64 v2, 0x2f800000, |v0|
	v_floor_f32_e32 v2, v2
	s_delay_alu instid0(VALU_DEP_1) | instskip(SKIP_2) | instid1(VALU_DEP_3)
	v_fma_f32 v5, 0xcf800000, v2, |v0|
	v_ashrrev_i32_e32 v0, 31, v0
	v_cvt_u32_f32_e32 v2, v2
	v_cvt_u32_f32_e32 v5, v5
	s_delay_alu instid0(VALU_DEP_2) | instskip(NEXT) | instid1(VALU_DEP_2)
	v_xor_b32_e32 v2, v2, v0
	v_xor_b32_e32 v5, v5, v0
	s_delay_alu instid0(VALU_DEP_1) | instskip(SKIP_1) | instid1(VALU_DEP_3)
	v_sub_co_u32 v7, vcc_lo, v5, v0
	s_waitcnt vmcnt(0)
	v_sub_co_ci_u32_e32 v8, vcc_lo, v2, v0, vcc_lo
	global_store_b64 v[3:4], v[7:8], off
.LBB19_1112:
	s_and_not1_b32 vcc_lo, exec_lo, s4
	s_cbranch_vccnz .LBB19_1114
; %bb.1113:
	v_cvt_i32_f32_e32 v0, v1
	s_waitcnt vmcnt(0)
	global_store_b32 v[3:4], v0, off
.LBB19_1114:
	s_mov_b32 s4, 0
.LBB19_1115:
	s_delay_alu instid0(SALU_CYCLE_1)
	s_and_not1_b32 vcc_lo, exec_lo, s4
	s_cbranch_vccnz .LBB19_1117
; %bb.1116:
	v_cvt_i32_f32_e32 v0, v1
	s_waitcnt vmcnt(0)
	global_store_b16 v[3:4], v0, off
.LBB19_1117:
	s_mov_b32 s4, 0
.LBB19_1118:
	s_delay_alu instid0(SALU_CYCLE_1)
	s_and_not1_b32 vcc_lo, exec_lo, s4
	s_cbranch_vccnz .LBB19_1123
; %bb.1119:
	v_cmp_lt_i16_e32 vcc_lo, 0, v6
	s_mov_b32 s4, -1
	s_cbranch_vccz .LBB19_1121
; %bb.1120:
	v_cvt_i32_f32_e32 v0, v1
	s_mov_b32 s4, 0
	s_waitcnt vmcnt(0)
	global_store_b8 v[3:4], v0, off
.LBB19_1121:
	s_and_not1_b32 vcc_lo, exec_lo, s4
	s_cbranch_vccnz .LBB19_1123
; %bb.1122:
	v_trunc_f32_e32 v0, v1
	s_delay_alu instid0(VALU_DEP_1) | instskip(NEXT) | instid1(VALU_DEP_1)
	v_mul_f32_e64 v1, 0x2f800000, |v0|
	v_floor_f32_e32 v1, v1
	s_delay_alu instid0(VALU_DEP_1) | instskip(SKIP_1) | instid1(VALU_DEP_2)
	v_fma_f32 v1, 0xcf800000, v1, |v0|
	v_ashrrev_i32_e32 v0, 31, v0
	v_cvt_u32_f32_e32 v1, v1
	s_delay_alu instid0(VALU_DEP_1) | instskip(NEXT) | instid1(VALU_DEP_1)
	v_xor_b32_e32 v1, v1, v0
	v_sub_nc_u32_e32 v0, v1, v0
	s_waitcnt vmcnt(0)
	global_store_b8 v[3:4], v0, off
.LBB19_1123:
	s_or_b32 exec_lo, exec_lo, s2
	s_delay_alu instid0(SALU_CYCLE_1)
	s_and_b32 s8, s3, exec_lo
                                        ; implicit-def: $vgpr8
                                        ; implicit-def: $vgpr7
.LBB19_1124:
	s_or_saveexec_b32 s9, s28
	s_mov_b32 s3, 0
                                        ; implicit-def: $vgpr0_vgpr1
                                        ; implicit-def: $vgpr13
                                        ; implicit-def: $vgpr10
	s_xor_b32 exec_lo, exec_lo, s9
	s_cbranch_execz .LBB19_2188
; %bb.1125:
	v_cndmask_b32_e64 v0, 0, 1, s27
	s_and_not1_b32 vcc_lo, exec_lo, s27
	s_cbranch_vccnz .LBB19_1131
; %bb.1126:
	s_waitcnt vmcnt(0)
	v_dual_mov_b32 v3, 0 :: v_dual_mov_b32 v4, 0
	s_cmp_lg_u32 s24, 0
	s_mov_b32 s6, 0
	s_cbranch_scc0 .LBB19_1135
; %bb.1127:
	s_min_u32 s7, s25, 15
	v_mov_b32_e32 v3, 0
	s_add_i32 s7, s7, 1
	s_cmp_eq_u32 s25, 2
	s_mov_b32 s10, 0
	s_cbranch_scc1 .LBB19_1132
; %bb.1128:
	v_dual_mov_b32 v4, 0 :: v_dual_mov_b32 v3, 0
	v_mov_b32_e32 v1, v7
	s_add_u32 s2, s16, 0xc4
	s_addc_u32 s3, s17, 0
	s_and_b32 s10, s7, 28
	s_mov_b32 s11, 0
	s_mov_b64 s[4:5], s[16:17]
.LBB19_1129:                            ; =>This Inner Loop Header: Depth=1
	s_clause 0x1
	s_load_b256 s[36:43], s[4:5], 0x4
	s_load_b128 s[12:15], s[4:5], 0x24
	s_load_b256 s[44:51], s[2:3], 0x0
	s_add_u32 s4, s4, 48
	s_addc_u32 s5, s5, 0
	s_add_i32 s11, s11, 4
	s_add_u32 s2, s2, 32
	s_addc_u32 s3, s3, 0
	s_cmp_lg_u32 s10, s11
	s_waitcnt lgkmcnt(0)
	v_mul_hi_u32 v2, s37, v1
	s_delay_alu instid0(VALU_DEP_1) | instskip(NEXT) | instid1(VALU_DEP_1)
	v_add_nc_u32_e32 v2, v1, v2
	v_lshrrev_b32_e32 v2, s38, v2
	s_delay_alu instid0(VALU_DEP_1) | instskip(SKIP_1) | instid1(VALU_DEP_2)
	v_mul_hi_u32 v5, s40, v2
	v_mul_lo_u32 v9, v2, s36
	v_add_nc_u32_e32 v5, v2, v5
	s_delay_alu instid0(VALU_DEP_2) | instskip(NEXT) | instid1(VALU_DEP_2)
	v_sub_nc_u32_e32 v1, v1, v9
	v_lshrrev_b32_e32 v5, s41, v5
	s_delay_alu instid0(VALU_DEP_2) | instskip(SKIP_1) | instid1(VALU_DEP_3)
	v_mul_lo_u32 v9, v1, s44
	v_mul_lo_u32 v11, v1, s45
	v_mul_hi_u32 v6, s43, v5
	s_delay_alu instid0(VALU_DEP_1) | instskip(NEXT) | instid1(VALU_DEP_1)
	v_add_nc_u32_e32 v6, v5, v6
	v_lshrrev_b32_e32 v6, s12, v6
	s_delay_alu instid0(VALU_DEP_1) | instskip(SKIP_1) | instid1(VALU_DEP_2)
	v_mul_hi_u32 v10, s14, v6
	v_mul_lo_u32 v12, v6, s42
	v_add_nc_u32_e32 v1, v6, v10
	v_mul_lo_u32 v10, v5, s39
	s_delay_alu instid0(VALU_DEP_3) | instskip(NEXT) | instid1(VALU_DEP_3)
	v_sub_nc_u32_e32 v5, v5, v12
	v_lshrrev_b32_e32 v1, s15, v1
	s_delay_alu instid0(VALU_DEP_2) | instskip(SKIP_2) | instid1(VALU_DEP_4)
	v_mul_lo_u32 v12, v5, s48
	v_mul_lo_u32 v5, v5, s49
	v_sub_nc_u32_e32 v2, v2, v10
	v_mul_lo_u32 v13, v1, s13
	s_delay_alu instid0(VALU_DEP_2) | instskip(SKIP_1) | instid1(VALU_DEP_3)
	v_mul_lo_u32 v10, v2, s46
	v_mul_lo_u32 v2, v2, s47
	v_sub_nc_u32_e32 v6, v6, v13
	s_delay_alu instid0(VALU_DEP_3) | instskip(NEXT) | instid1(VALU_DEP_2)
	v_add3_u32 v3, v9, v3, v10
	v_mul_lo_u32 v13, v6, s50
	v_mul_lo_u32 v6, v6, s51
	v_add3_u32 v2, v11, v4, v2
	s_delay_alu instid0(VALU_DEP_3) | instskip(NEXT) | instid1(VALU_DEP_2)
	v_add3_u32 v3, v12, v3, v13
	v_add3_u32 v4, v5, v2, v6
	s_cbranch_scc1 .LBB19_1129
; %bb.1130:
	s_and_b32 s7, s7, 3
	s_delay_alu instid0(SALU_CYCLE_1)
	s_cmp_eq_u32 s7, 0
	s_cbranch_scc0 .LBB19_1133
	s_branch .LBB19_1135
.LBB19_1131:
	s_mov_b32 s6, -1
                                        ; implicit-def: $vgpr3
                                        ; implicit-def: $vgpr4
	s_branch .LBB19_1135
.LBB19_1132:
	v_dual_mov_b32 v1, v7 :: v_dual_mov_b32 v4, 0
	s_and_b32 s7, s7, 3
	s_delay_alu instid0(SALU_CYCLE_1)
	s_cmp_eq_u32 s7, 0
	s_cbranch_scc1 .LBB19_1135
.LBB19_1133:
	s_lshl_b32 s2, s10, 3
	s_mul_i32 s4, s10, 12
	s_add_u32 s2, s2, s16
	s_addc_u32 s3, 0, s17
	s_add_u32 s2, s2, 0xc4
	s_addc_u32 s3, s3, 0
	;; [unrolled: 2-line block ×3, first 2 shown]
	.p2align	6
.LBB19_1134:                            ; =>This Inner Loop Header: Depth=1
	s_clause 0x1
	s_load_b64 s[10:11], s[4:5], 0x4
	s_load_b32 s14, s[4:5], 0xc
	s_load_b64 s[12:13], s[2:3], 0x0
	s_add_u32 s4, s4, 12
	s_addc_u32 s5, s5, 0
	s_add_u32 s2, s2, 8
	s_addc_u32 s3, s3, 0
	s_add_i32 s7, s7, -1
	s_delay_alu instid0(SALU_CYCLE_1) | instskip(SKIP_2) | instid1(VALU_DEP_1)
	s_cmp_lg_u32 s7, 0
	s_waitcnt lgkmcnt(0)
	v_mul_hi_u32 v2, s11, v1
	v_add_nc_u32_e32 v2, v1, v2
	s_delay_alu instid0(VALU_DEP_1) | instskip(NEXT) | instid1(VALU_DEP_1)
	v_lshrrev_b32_e32 v9, s14, v2
	v_mul_lo_u32 v2, v9, s10
	s_delay_alu instid0(VALU_DEP_1) | instskip(NEXT) | instid1(VALU_DEP_1)
	v_sub_nc_u32_e32 v1, v1, v2
	v_mad_u64_u32 v[5:6], null, v1, s12, v[3:4]
	s_delay_alu instid0(VALU_DEP_1) | instskip(SKIP_1) | instid1(VALU_DEP_2)
	v_mad_u64_u32 v[2:3], null, v1, s13, v[4:5]
	v_mov_b32_e32 v1, v9
	v_dual_mov_b32 v3, v5 :: v_dual_mov_b32 v4, v2
	s_cbranch_scc1 .LBB19_1134
.LBB19_1135:
	s_and_not1_b32 vcc_lo, exec_lo, s6
	s_cbranch_vccnz .LBB19_1138
; %bb.1136:
	s_clause 0x1
	s_load_b128 s[4:7], s[16:17], 0x4
	s_load_b64 s[2:3], s[16:17], 0xc4
	s_cmp_lt_u32 s24, 2
	s_waitcnt lgkmcnt(0)
	v_mul_hi_u32 v1, s5, v7
	s_delay_alu instid0(VALU_DEP_1) | instskip(NEXT) | instid1(VALU_DEP_1)
	v_add_nc_u32_e32 v1, v7, v1
	v_lshrrev_b32_e32 v1, s6, v1
	s_delay_alu instid0(VALU_DEP_1) | instskip(NEXT) | instid1(VALU_DEP_1)
	v_mul_lo_u32 v2, v1, s4
	v_sub_nc_u32_e32 v2, v7, v2
	s_waitcnt vmcnt(0)
	s_delay_alu instid0(VALU_DEP_1)
	v_mul_lo_u32 v3, v2, s2
	v_mul_lo_u32 v4, v2, s3
	s_cbranch_scc1 .LBB19_1138
; %bb.1137:
	s_clause 0x1
	s_load_b128 s[4:7], s[16:17], 0x10
	s_load_b64 s[2:3], s[16:17], 0xcc
	s_waitcnt lgkmcnt(0)
	v_mul_hi_u32 v2, s5, v1
	s_delay_alu instid0(VALU_DEP_1) | instskip(NEXT) | instid1(VALU_DEP_1)
	v_add_nc_u32_e32 v2, v1, v2
	v_lshrrev_b32_e32 v2, s6, v2
	s_delay_alu instid0(VALU_DEP_1) | instskip(NEXT) | instid1(VALU_DEP_1)
	v_mul_lo_u32 v2, v2, s4
	v_sub_nc_u32_e32 v5, v1, v2
	s_delay_alu instid0(VALU_DEP_1) | instskip(SKIP_1) | instid1(VALU_DEP_1)
	v_mad_u64_u32 v[1:2], null, v5, s2, v[3:4]
	v_mad_u64_u32 v[2:3], null, v5, s3, v[4:5]
	v_dual_mov_b32 v3, v1 :: v_dual_mov_b32 v4, v2
.LBB19_1138:
	v_cmp_ne_u32_e32 vcc_lo, 1, v0
	v_add_nc_u32_e32 v1, 0x80, v7
	s_cbranch_vccnz .LBB19_1144
; %bb.1139:
	v_mov_b32_e32 v2, 0
	v_mov_b32_e32 v6, 0
	s_cmp_lg_u32 s24, 0
	s_mov_b32 s6, 0
	s_cbranch_scc0 .LBB19_1148
; %bb.1140:
	s_min_u32 s7, s25, 15
	v_mov_b32_e32 v2, 0
	s_add_i32 s7, s7, 1
	s_cmp_eq_u32 s25, 2
	s_mov_b32 s10, 0
	s_cbranch_scc1 .LBB19_1145
; %bb.1141:
	v_dual_mov_b32 v6, 0 :: v_dual_mov_b32 v5, v1
	v_mov_b32_e32 v2, 0
	s_add_u32 s2, s16, 0xc4
	s_addc_u32 s3, s17, 0
	s_and_b32 s10, s7, 28
	s_mov_b32 s11, 0
	s_mov_b64 s[4:5], s[16:17]
.LBB19_1142:                            ; =>This Inner Loop Header: Depth=1
	s_clause 0x1
	s_load_b256 s[36:43], s[4:5], 0x4
	s_load_b128 s[12:15], s[4:5], 0x24
	s_load_b256 s[44:51], s[2:3], 0x0
	s_add_u32 s4, s4, 48
	s_addc_u32 s5, s5, 0
	s_add_i32 s11, s11, 4
	s_add_u32 s2, s2, 32
	s_addc_u32 s3, s3, 0
	s_cmp_lg_u32 s10, s11
	s_waitcnt lgkmcnt(0)
	v_mul_hi_u32 v9, s37, v5
	s_delay_alu instid0(VALU_DEP_1) | instskip(NEXT) | instid1(VALU_DEP_1)
	v_add_nc_u32_e32 v9, v5, v9
	v_lshrrev_b32_e32 v9, s38, v9
	s_delay_alu instid0(VALU_DEP_1) | instskip(SKIP_1) | instid1(VALU_DEP_2)
	v_mul_hi_u32 v10, s40, v9
	v_mul_lo_u32 v12, v9, s36
	v_add_nc_u32_e32 v10, v9, v10
	s_delay_alu instid0(VALU_DEP_2) | instskip(NEXT) | instid1(VALU_DEP_2)
	v_sub_nc_u32_e32 v5, v5, v12
	v_lshrrev_b32_e32 v10, s41, v10
	s_delay_alu instid0(VALU_DEP_2) | instskip(SKIP_1) | instid1(VALU_DEP_3)
	v_mul_lo_u32 v12, v5, s44
	v_mul_lo_u32 v14, v5, s45
	v_mul_hi_u32 v11, s43, v10
	s_delay_alu instid0(VALU_DEP_1) | instskip(NEXT) | instid1(VALU_DEP_1)
	v_add_nc_u32_e32 v11, v10, v11
	v_lshrrev_b32_e32 v11, s12, v11
	s_delay_alu instid0(VALU_DEP_1) | instskip(SKIP_1) | instid1(VALU_DEP_2)
	v_mul_hi_u32 v13, s14, v11
	v_mul_lo_u32 v15, v11, s42
	v_add_nc_u32_e32 v5, v11, v13
	v_mul_lo_u32 v13, v10, s39
	s_delay_alu instid0(VALU_DEP_3) | instskip(NEXT) | instid1(VALU_DEP_3)
	v_sub_nc_u32_e32 v10, v10, v15
	v_lshrrev_b32_e32 v5, s15, v5
	s_delay_alu instid0(VALU_DEP_2) | instskip(SKIP_2) | instid1(VALU_DEP_4)
	v_mul_lo_u32 v15, v10, s48
	v_mul_lo_u32 v10, v10, s49
	v_sub_nc_u32_e32 v9, v9, v13
	v_mul_lo_u32 v16, v5, s13
	s_delay_alu instid0(VALU_DEP_2) | instskip(SKIP_1) | instid1(VALU_DEP_3)
	v_mul_lo_u32 v13, v9, s46
	v_mul_lo_u32 v9, v9, s47
	v_sub_nc_u32_e32 v11, v11, v16
	s_delay_alu instid0(VALU_DEP_3) | instskip(NEXT) | instid1(VALU_DEP_2)
	v_add3_u32 v2, v12, v2, v13
	v_mul_lo_u32 v16, v11, s50
	v_mul_lo_u32 v11, v11, s51
	v_add3_u32 v6, v14, v6, v9
	s_delay_alu instid0(VALU_DEP_3) | instskip(NEXT) | instid1(VALU_DEP_2)
	v_add3_u32 v2, v15, v2, v16
	v_add3_u32 v6, v10, v6, v11
	s_cbranch_scc1 .LBB19_1142
; %bb.1143:
	s_and_b32 s7, s7, 3
	s_delay_alu instid0(SALU_CYCLE_1)
	s_cmp_eq_u32 s7, 0
	s_cbranch_scc0 .LBB19_1146
	s_branch .LBB19_1148
.LBB19_1144:
	s_mov_b32 s6, -1
                                        ; implicit-def: $vgpr2
                                        ; implicit-def: $vgpr6
	s_branch .LBB19_1148
.LBB19_1145:
	v_dual_mov_b32 v5, v1 :: v_dual_mov_b32 v6, 0
	s_and_b32 s7, s7, 3
	s_delay_alu instid0(SALU_CYCLE_1)
	s_cmp_eq_u32 s7, 0
	s_cbranch_scc1 .LBB19_1148
.LBB19_1146:
	s_lshl_b32 s2, s10, 3
	s_mul_i32 s4, s10, 12
	s_add_u32 s2, s2, s16
	s_addc_u32 s3, 0, s17
	s_add_u32 s2, s2, 0xc4
	s_addc_u32 s3, s3, 0
	;; [unrolled: 2-line block ×3, first 2 shown]
	.p2align	6
.LBB19_1147:                            ; =>This Inner Loop Header: Depth=1
	s_clause 0x1
	s_load_b64 s[10:11], s[4:5], 0x4
	s_load_b32 s14, s[4:5], 0xc
	s_load_b64 s[12:13], s[2:3], 0x0
	s_add_u32 s4, s4, 12
	s_addc_u32 s5, s5, 0
	s_add_u32 s2, s2, 8
	s_addc_u32 s3, s3, 0
	s_add_i32 s7, s7, -1
	s_delay_alu instid0(SALU_CYCLE_1) | instskip(SKIP_2) | instid1(VALU_DEP_1)
	s_cmp_lg_u32 s7, 0
	s_waitcnt lgkmcnt(0)
	v_mul_hi_u32 v9, s11, v5
	v_add_nc_u32_e32 v9, v5, v9
	s_delay_alu instid0(VALU_DEP_1) | instskip(NEXT) | instid1(VALU_DEP_1)
	v_lshrrev_b32_e32 v12, s14, v9
	v_mul_lo_u32 v9, v12, s10
	s_delay_alu instid0(VALU_DEP_1) | instskip(SKIP_1) | instid1(VALU_DEP_1)
	v_sub_nc_u32_e32 v5, v5, v9
	s_waitcnt vmcnt(0)
	v_mad_u64_u32 v[9:10], null, v5, s12, v[2:3]
	v_mad_u64_u32 v[10:11], null, v5, s13, v[6:7]
	s_delay_alu instid0(VALU_DEP_2) | instskip(NEXT) | instid1(VALU_DEP_2)
	v_dual_mov_b32 v5, v12 :: v_dual_mov_b32 v2, v9
	v_mov_b32_e32 v6, v10
	s_cbranch_scc1 .LBB19_1147
.LBB19_1148:
	s_and_not1_b32 vcc_lo, exec_lo, s6
	s_cbranch_vccnz .LBB19_1151
; %bb.1149:
	s_clause 0x1
	s_load_b128 s[4:7], s[16:17], 0x4
	s_load_b64 s[2:3], s[16:17], 0xc4
	s_cmp_lt_u32 s24, 2
	s_waitcnt lgkmcnt(0)
	v_mul_hi_u32 v2, s5, v1
	s_delay_alu instid0(VALU_DEP_1) | instskip(NEXT) | instid1(VALU_DEP_1)
	v_add_nc_u32_e32 v2, v1, v2
	v_lshrrev_b32_e32 v5, s6, v2
	s_delay_alu instid0(VALU_DEP_1) | instskip(NEXT) | instid1(VALU_DEP_1)
	v_mul_lo_u32 v2, v5, s4
	v_sub_nc_u32_e32 v1, v1, v2
	s_delay_alu instid0(VALU_DEP_1)
	v_mul_lo_u32 v2, v1, s2
	v_mul_lo_u32 v6, v1, s3
	s_cbranch_scc1 .LBB19_1151
; %bb.1150:
	s_clause 0x1
	s_load_b128 s[4:7], s[16:17], 0x10
	s_load_b64 s[2:3], s[16:17], 0xcc
	s_waitcnt lgkmcnt(0)
	v_mul_hi_u32 v1, s5, v5
	s_delay_alu instid0(VALU_DEP_1) | instskip(NEXT) | instid1(VALU_DEP_1)
	v_add_nc_u32_e32 v1, v5, v1
	v_lshrrev_b32_e32 v1, s6, v1
	s_delay_alu instid0(VALU_DEP_1) | instskip(NEXT) | instid1(VALU_DEP_1)
	v_mul_lo_u32 v1, v1, s4
	v_sub_nc_u32_e32 v5, v5, v1
	s_waitcnt vmcnt(0)
	s_delay_alu instid0(VALU_DEP_1) | instskip(SKIP_1) | instid1(VALU_DEP_2)
	v_mad_u64_u32 v[9:10], null, v5, s2, v[2:3]
	v_mad_u64_u32 v[1:2], null, v5, s3, v[6:7]
	v_mov_b32_e32 v2, v9
	s_delay_alu instid0(VALU_DEP_2)
	v_mov_b32_e32 v6, v1
.LBB19_1151:
	v_cmp_ne_u32_e32 vcc_lo, 1, v0
	v_add_nc_u32_e32 v5, 0x100, v7
	s_cbranch_vccnz .LBB19_1157
; %bb.1152:
	v_mov_b32_e32 v1, 0
	v_mov_b32_e32 v7, 0
	s_cmp_lg_u32 s24, 0
	s_mov_b32 s6, 0
	s_cbranch_scc0 .LBB19_1161
; %bb.1153:
	s_min_u32 s7, s25, 15
	v_mov_b32_e32 v1, 0
	s_add_i32 s7, s7, 1
	s_cmp_eq_u32 s25, 2
	s_mov_b32 s10, 0
	s_cbranch_scc1 .LBB19_1158
; %bb.1154:
	v_mov_b32_e32 v7, 0
	v_mov_b32_e32 v1, 0
	;; [unrolled: 1-line block ×3, first 2 shown]
	s_add_u32 s2, s16, 0xc4
	s_addc_u32 s3, s17, 0
	s_and_b32 s10, s7, 28
	s_mov_b32 s11, 0
	s_mov_b64 s[4:5], s[16:17]
.LBB19_1155:                            ; =>This Inner Loop Header: Depth=1
	s_clause 0x1
	s_load_b256 s[36:43], s[4:5], 0x4
	s_load_b128 s[12:15], s[4:5], 0x24
	s_load_b256 s[44:51], s[2:3], 0x0
	s_add_u32 s4, s4, 48
	s_addc_u32 s5, s5, 0
	s_add_i32 s11, s11, 4
	s_add_u32 s2, s2, 32
	s_addc_u32 s3, s3, 0
	s_cmp_lg_u32 s10, s11
	s_waitcnt lgkmcnt(0)
	v_mul_hi_u32 v10, s37, v9
	s_delay_alu instid0(VALU_DEP_1) | instskip(NEXT) | instid1(VALU_DEP_1)
	v_add_nc_u32_e32 v10, v9, v10
	v_lshrrev_b32_e32 v10, s38, v10
	s_delay_alu instid0(VALU_DEP_1) | instskip(SKIP_1) | instid1(VALU_DEP_2)
	v_mul_hi_u32 v11, s40, v10
	v_mul_lo_u32 v13, v10, s36
	v_add_nc_u32_e32 v11, v10, v11
	s_delay_alu instid0(VALU_DEP_2) | instskip(NEXT) | instid1(VALU_DEP_2)
	v_sub_nc_u32_e32 v9, v9, v13
	v_lshrrev_b32_e32 v11, s41, v11
	s_delay_alu instid0(VALU_DEP_2) | instskip(SKIP_1) | instid1(VALU_DEP_3)
	v_mul_lo_u32 v13, v9, s44
	v_mul_lo_u32 v15, v9, s45
	v_mul_hi_u32 v12, s43, v11
	s_delay_alu instid0(VALU_DEP_1) | instskip(NEXT) | instid1(VALU_DEP_1)
	v_add_nc_u32_e32 v12, v11, v12
	v_lshrrev_b32_e32 v12, s12, v12
	s_delay_alu instid0(VALU_DEP_1) | instskip(SKIP_1) | instid1(VALU_DEP_2)
	v_mul_hi_u32 v14, s14, v12
	v_mul_lo_u32 v16, v12, s42
	v_add_nc_u32_e32 v9, v12, v14
	v_mul_lo_u32 v14, v11, s39
	s_delay_alu instid0(VALU_DEP_3) | instskip(NEXT) | instid1(VALU_DEP_3)
	v_sub_nc_u32_e32 v11, v11, v16
	v_lshrrev_b32_e32 v9, s15, v9
	s_delay_alu instid0(VALU_DEP_2) | instskip(SKIP_2) | instid1(VALU_DEP_4)
	v_mul_lo_u32 v16, v11, s48
	v_mul_lo_u32 v11, v11, s49
	v_sub_nc_u32_e32 v10, v10, v14
	v_mul_lo_u32 v17, v9, s13
	s_delay_alu instid0(VALU_DEP_2) | instskip(SKIP_1) | instid1(VALU_DEP_3)
	v_mul_lo_u32 v14, v10, s46
	v_mul_lo_u32 v10, v10, s47
	v_sub_nc_u32_e32 v12, v12, v17
	s_delay_alu instid0(VALU_DEP_3) | instskip(NEXT) | instid1(VALU_DEP_2)
	v_add3_u32 v1, v13, v1, v14
	v_mul_lo_u32 v17, v12, s50
	v_mul_lo_u32 v12, v12, s51
	v_add3_u32 v7, v15, v7, v10
	s_delay_alu instid0(VALU_DEP_3) | instskip(NEXT) | instid1(VALU_DEP_2)
	v_add3_u32 v1, v16, v1, v17
	v_add3_u32 v7, v11, v7, v12
	s_cbranch_scc1 .LBB19_1155
; %bb.1156:
	s_and_b32 s7, s7, 3
	s_delay_alu instid0(SALU_CYCLE_1)
	s_cmp_eq_u32 s7, 0
	s_cbranch_scc0 .LBB19_1159
	s_branch .LBB19_1161
.LBB19_1157:
	s_mov_b32 s6, -1
                                        ; implicit-def: $vgpr1
                                        ; implicit-def: $vgpr7
	s_branch .LBB19_1161
.LBB19_1158:
	v_mov_b32_e32 v9, v5
	v_mov_b32_e32 v7, 0
	s_and_b32 s7, s7, 3
	s_delay_alu instid0(SALU_CYCLE_1)
	s_cmp_eq_u32 s7, 0
	s_cbranch_scc1 .LBB19_1161
.LBB19_1159:
	s_lshl_b32 s2, s10, 3
	s_mul_i32 s4, s10, 12
	s_add_u32 s2, s2, s16
	s_addc_u32 s3, 0, s17
	s_add_u32 s2, s2, 0xc4
	s_addc_u32 s3, s3, 0
	;; [unrolled: 2-line block ×3, first 2 shown]
	.p2align	6
.LBB19_1160:                            ; =>This Inner Loop Header: Depth=1
	s_clause 0x1
	s_load_b64 s[10:11], s[4:5], 0x4
	s_load_b32 s14, s[4:5], 0xc
	s_load_b64 s[12:13], s[2:3], 0x0
	s_add_u32 s4, s4, 12
	s_addc_u32 s5, s5, 0
	s_add_u32 s2, s2, 8
	s_addc_u32 s3, s3, 0
	s_add_i32 s7, s7, -1
	s_delay_alu instid0(SALU_CYCLE_1) | instskip(SKIP_2) | instid1(VALU_DEP_1)
	s_cmp_lg_u32 s7, 0
	s_waitcnt lgkmcnt(0)
	v_mul_hi_u32 v10, s11, v9
	v_add_nc_u32_e32 v10, v9, v10
	s_delay_alu instid0(VALU_DEP_1) | instskip(NEXT) | instid1(VALU_DEP_1)
	v_lshrrev_b32_e32 v13, s14, v10
	v_mul_lo_u32 v10, v13, s10
	s_delay_alu instid0(VALU_DEP_1) | instskip(NEXT) | instid1(VALU_DEP_1)
	v_sub_nc_u32_e32 v9, v9, v10
	v_mad_u64_u32 v[10:11], null, v9, s12, v[1:2]
	s_waitcnt vmcnt(0)
	v_mad_u64_u32 v[11:12], null, v9, s13, v[7:8]
	v_mov_b32_e32 v9, v13
	s_delay_alu instid0(VALU_DEP_3) | instskip(NEXT) | instid1(VALU_DEP_3)
	v_mov_b32_e32 v1, v10
	v_mov_b32_e32 v7, v11
	s_cbranch_scc1 .LBB19_1160
.LBB19_1161:
	s_and_not1_b32 vcc_lo, exec_lo, s6
	s_cbranch_vccnz .LBB19_1164
; %bb.1162:
	s_clause 0x1
	s_load_b128 s[4:7], s[16:17], 0x4
	s_load_b64 s[2:3], s[16:17], 0xc4
	s_cmp_lt_u32 s24, 2
	s_waitcnt lgkmcnt(0)
	v_mul_hi_u32 v1, s5, v5
	s_delay_alu instid0(VALU_DEP_1) | instskip(NEXT) | instid1(VALU_DEP_1)
	v_add_nc_u32_e32 v1, v5, v1
	v_lshrrev_b32_e32 v9, s6, v1
	s_delay_alu instid0(VALU_DEP_1) | instskip(NEXT) | instid1(VALU_DEP_1)
	v_mul_lo_u32 v1, v9, s4
	v_sub_nc_u32_e32 v5, v5, v1
	s_delay_alu instid0(VALU_DEP_1)
	v_mul_lo_u32 v1, v5, s2
	v_mul_lo_u32 v7, v5, s3
	s_cbranch_scc1 .LBB19_1164
; %bb.1163:
	s_clause 0x1
	s_load_b128 s[4:7], s[16:17], 0x10
	s_load_b64 s[2:3], s[16:17], 0xcc
	s_waitcnt lgkmcnt(0)
	v_mul_hi_u32 v5, s5, v9
	s_delay_alu instid0(VALU_DEP_1) | instskip(NEXT) | instid1(VALU_DEP_1)
	v_add_nc_u32_e32 v5, v9, v5
	v_lshrrev_b32_e32 v5, s6, v5
	s_delay_alu instid0(VALU_DEP_1) | instskip(NEXT) | instid1(VALU_DEP_1)
	v_mul_lo_u32 v5, v5, s4
	v_sub_nc_u32_e32 v5, v9, v5
	s_delay_alu instid0(VALU_DEP_1) | instskip(SKIP_2) | instid1(VALU_DEP_2)
	v_mad_u64_u32 v[9:10], null, v5, s2, v[1:2]
	s_waitcnt vmcnt(0)
	v_mad_u64_u32 v[10:11], null, v5, s3, v[7:8]
	v_mov_b32_e32 v1, v9
	s_delay_alu instid0(VALU_DEP_2)
	v_mov_b32_e32 v7, v10
.LBB19_1164:
	v_cmp_ne_u32_e32 vcc_lo, 1, v0
	s_cbranch_vccnz .LBB19_1170
; %bb.1165:
	v_dual_mov_b32 v0, 0 :: v_dual_mov_b32 v5, 0
	s_cmp_lg_u32 s24, 0
	s_mov_b32 s6, 0
	s_cbranch_scc0 .LBB19_1174
; %bb.1166:
	s_min_u32 s7, s25, 15
	v_mov_b32_e32 v0, 0
	s_add_i32 s7, s7, 1
	s_cmp_eq_u32 s25, 2
	s_mov_b32 s10, 0
	s_cbranch_scc1 .LBB19_1171
; %bb.1167:
	v_dual_mov_b32 v5, 0 :: v_dual_mov_b32 v0, 0
	s_waitcnt vmcnt(0)
	v_mov_b32_e32 v9, v8
	s_add_u32 s2, s16, 0xc4
	s_addc_u32 s3, s17, 0
	s_and_b32 s10, s7, 28
	s_mov_b32 s11, 0
	s_mov_b64 s[4:5], s[16:17]
.LBB19_1168:                            ; =>This Inner Loop Header: Depth=1
	s_clause 0x1
	s_load_b256 s[36:43], s[4:5], 0x4
	s_load_b128 s[12:15], s[4:5], 0x24
	s_load_b256 s[44:51], s[2:3], 0x0
	s_add_u32 s4, s4, 48
	s_addc_u32 s5, s5, 0
	s_add_i32 s11, s11, 4
	s_add_u32 s2, s2, 32
	s_addc_u32 s3, s3, 0
	s_cmp_lg_u32 s10, s11
	s_waitcnt lgkmcnt(0)
	v_mul_hi_u32 v10, s37, v9
	s_delay_alu instid0(VALU_DEP_1) | instskip(NEXT) | instid1(VALU_DEP_1)
	v_add_nc_u32_e32 v10, v9, v10
	v_lshrrev_b32_e32 v10, s38, v10
	s_delay_alu instid0(VALU_DEP_1) | instskip(SKIP_1) | instid1(VALU_DEP_2)
	v_mul_hi_u32 v11, s40, v10
	v_mul_lo_u32 v13, v10, s36
	v_add_nc_u32_e32 v11, v10, v11
	s_delay_alu instid0(VALU_DEP_2) | instskip(NEXT) | instid1(VALU_DEP_2)
	v_sub_nc_u32_e32 v9, v9, v13
	v_lshrrev_b32_e32 v11, s41, v11
	s_delay_alu instid0(VALU_DEP_2) | instskip(SKIP_1) | instid1(VALU_DEP_3)
	v_mul_lo_u32 v13, v9, s44
	v_mul_lo_u32 v15, v9, s45
	v_mul_hi_u32 v12, s43, v11
	s_delay_alu instid0(VALU_DEP_1) | instskip(NEXT) | instid1(VALU_DEP_1)
	v_add_nc_u32_e32 v12, v11, v12
	v_lshrrev_b32_e32 v12, s12, v12
	s_delay_alu instid0(VALU_DEP_1) | instskip(SKIP_1) | instid1(VALU_DEP_2)
	v_mul_hi_u32 v14, s14, v12
	v_mul_lo_u32 v16, v12, s42
	v_add_nc_u32_e32 v9, v12, v14
	v_mul_lo_u32 v14, v11, s39
	s_delay_alu instid0(VALU_DEP_3) | instskip(NEXT) | instid1(VALU_DEP_3)
	v_sub_nc_u32_e32 v11, v11, v16
	v_lshrrev_b32_e32 v9, s15, v9
	s_delay_alu instid0(VALU_DEP_2) | instskip(SKIP_2) | instid1(VALU_DEP_4)
	v_mul_lo_u32 v16, v11, s48
	v_mul_lo_u32 v11, v11, s49
	v_sub_nc_u32_e32 v10, v10, v14
	v_mul_lo_u32 v17, v9, s13
	s_delay_alu instid0(VALU_DEP_2) | instskip(SKIP_1) | instid1(VALU_DEP_3)
	v_mul_lo_u32 v14, v10, s46
	v_mul_lo_u32 v10, v10, s47
	v_sub_nc_u32_e32 v12, v12, v17
	s_delay_alu instid0(VALU_DEP_3) | instskip(NEXT) | instid1(VALU_DEP_2)
	v_add3_u32 v0, v13, v0, v14
	v_mul_lo_u32 v17, v12, s50
	v_mul_lo_u32 v12, v12, s51
	v_add3_u32 v5, v15, v5, v10
	s_delay_alu instid0(VALU_DEP_3) | instskip(NEXT) | instid1(VALU_DEP_2)
	v_add3_u32 v0, v16, v0, v17
	v_add3_u32 v5, v11, v5, v12
	s_cbranch_scc1 .LBB19_1168
; %bb.1169:
	s_and_b32 s7, s7, 3
	s_delay_alu instid0(SALU_CYCLE_1)
	s_cmp_eq_u32 s7, 0
	s_cbranch_scc0 .LBB19_1172
	s_branch .LBB19_1174
.LBB19_1170:
	s_mov_b32 s6, -1
                                        ; implicit-def: $vgpr0
                                        ; implicit-def: $vgpr5
	s_branch .LBB19_1174
.LBB19_1171:
	s_waitcnt vmcnt(0)
	v_mov_b32_e32 v9, v8
	v_mov_b32_e32 v5, 0
	s_and_b32 s7, s7, 3
	s_delay_alu instid0(SALU_CYCLE_1)
	s_cmp_eq_u32 s7, 0
	s_cbranch_scc1 .LBB19_1174
.LBB19_1172:
	s_lshl_b32 s2, s10, 3
	s_mul_i32 s4, s10, 12
	s_add_u32 s2, s2, s16
	s_addc_u32 s3, 0, s17
	s_add_u32 s2, s2, 0xc4
	s_addc_u32 s3, s3, 0
	;; [unrolled: 2-line block ×3, first 2 shown]
	.p2align	6
.LBB19_1173:                            ; =>This Inner Loop Header: Depth=1
	s_clause 0x1
	s_load_b64 s[10:11], s[4:5], 0x4
	s_load_b32 s14, s[4:5], 0xc
	s_load_b64 s[12:13], s[2:3], 0x0
	s_add_u32 s4, s4, 12
	s_addc_u32 s5, s5, 0
	s_add_u32 s2, s2, 8
	s_addc_u32 s3, s3, 0
	s_add_i32 s7, s7, -1
	s_delay_alu instid0(SALU_CYCLE_1) | instskip(SKIP_2) | instid1(VALU_DEP_1)
	s_cmp_lg_u32 s7, 0
	s_waitcnt lgkmcnt(0)
	v_mul_hi_u32 v10, s11, v9
	v_add_nc_u32_e32 v10, v9, v10
	s_delay_alu instid0(VALU_DEP_1) | instskip(NEXT) | instid1(VALU_DEP_1)
	v_lshrrev_b32_e32 v13, s14, v10
	v_mul_lo_u32 v10, v13, s10
	s_delay_alu instid0(VALU_DEP_1) | instskip(NEXT) | instid1(VALU_DEP_1)
	v_sub_nc_u32_e32 v9, v9, v10
	v_mad_u64_u32 v[10:11], null, v9, s12, v[0:1]
	v_mad_u64_u32 v[11:12], null, v9, s13, v[5:6]
	s_delay_alu instid0(VALU_DEP_2) | instskip(NEXT) | instid1(VALU_DEP_2)
	v_dual_mov_b32 v9, v13 :: v_dual_mov_b32 v0, v10
	v_mov_b32_e32 v5, v11
	s_cbranch_scc1 .LBB19_1173
.LBB19_1174:
	s_and_not1_b32 vcc_lo, exec_lo, s6
	s_cbranch_vccnz .LBB19_1177
; %bb.1175:
	s_clause 0x1
	s_load_b128 s[4:7], s[16:17], 0x4
	s_load_b64 s[2:3], s[16:17], 0xc4
	s_cmp_lt_u32 s24, 2
	s_waitcnt vmcnt(0) lgkmcnt(0)
	v_mul_hi_u32 v0, s5, v8
	s_delay_alu instid0(VALU_DEP_1) | instskip(NEXT) | instid1(VALU_DEP_1)
	v_add_nc_u32_e32 v0, v8, v0
	v_lshrrev_b32_e32 v9, s6, v0
	s_delay_alu instid0(VALU_DEP_1) | instskip(NEXT) | instid1(VALU_DEP_1)
	v_mul_lo_u32 v0, v9, s4
	v_sub_nc_u32_e32 v5, v8, v0
	s_delay_alu instid0(VALU_DEP_1)
	v_mul_lo_u32 v0, v5, s2
	v_mul_lo_u32 v5, v5, s3
	s_cbranch_scc1 .LBB19_1177
; %bb.1176:
	s_clause 0x1
	s_load_b128 s[4:7], s[16:17], 0x10
	s_load_b64 s[2:3], s[16:17], 0xcc
	s_waitcnt lgkmcnt(0)
	v_mul_hi_u32 v8, s5, v9
	s_delay_alu instid0(VALU_DEP_1) | instskip(NEXT) | instid1(VALU_DEP_1)
	v_add_nc_u32_e32 v8, v9, v8
	v_lshrrev_b32_e32 v8, s6, v8
	s_delay_alu instid0(VALU_DEP_1) | instskip(NEXT) | instid1(VALU_DEP_1)
	v_mul_lo_u32 v8, v8, s4
	v_sub_nc_u32_e32 v11, v9, v8
	s_delay_alu instid0(VALU_DEP_1) | instskip(SKIP_1) | instid1(VALU_DEP_1)
	v_mad_u64_u32 v[8:9], null, v11, s2, v[0:1]
	v_mad_u64_u32 v[9:10], null, v11, s3, v[5:6]
	v_dual_mov_b32 v0, v8 :: v_dual_mov_b32 v5, v9
.LBB19_1177:
	s_clause 0x1
	s_load_b32 s2, s[0:1], 0x160
	s_load_b128 s[4:7], s[16:17], 0x148
	s_mov_b32 s10, 0
	s_waitcnt lgkmcnt(0)
	s_lshr_b32 s0, s2, 16
	s_delay_alu instid0(SALU_CYCLE_1) | instskip(SKIP_2) | instid1(VALU_DEP_1)
	v_and_b32_e64 v11, 0xff, s0
	s_waitcnt vmcnt(0)
	v_add_co_u32 v8, s0, s6, v4
	v_add_co_ci_u32_e64 v9, null, s7, 0, s0
	s_delay_alu instid0(VALU_DEP_3)
	v_cmp_gt_i16_e32 vcc_lo, 11, v11
	s_cbranch_vccnz .LBB19_1184
; %bb.1178:
	v_cmp_lt_i16_e32 vcc_lo, 25, v11
	s_mov_b32 s3, 0
	s_cbranch_vccz .LBB19_1190
; %bb.1179:
	v_cmp_lt_i16_e32 vcc_lo, 28, v11
	s_cbranch_vccz .LBB19_1192
; %bb.1180:
	v_cmp_lt_i16_e32 vcc_lo, 43, v11
	;; [unrolled: 3-line block ×3, first 2 shown]
	s_cbranch_vccz .LBB19_1198
; %bb.1182:
	v_cmp_eq_u16_e32 vcc_lo, 46, v11
	s_mov_b32 s1, 0
	s_cbranch_vccz .LBB19_1240
; %bb.1183:
	global_load_b32 v4, v[8:9], off
	s_mov_b32 s0, 0
	s_mov_b32 s10, -1
	s_waitcnt vmcnt(0)
	v_lshlrev_b32_e32 v10, 16, v4
	s_branch .LBB19_1242
.LBB19_1184:
	s_mov_b32 s1, s8
                                        ; implicit-def: $vgpr10
	s_cbranch_execz .LBB19_1305
; %bb.1185:
	v_cmp_gt_i16_e32 vcc_lo, 5, v11
	s_cbranch_vccnz .LBB19_1191
; %bb.1186:
	v_cmp_gt_i16_e32 vcc_lo, 8, v11
	s_cbranch_vccnz .LBB19_1193
	;; [unrolled: 3-line block ×3, first 2 shown]
; %bb.1188:
	v_cmp_lt_i16_e32 vcc_lo, 9, v11
	s_cbranch_vccz .LBB19_1199
; %bb.1189:
	global_load_b64 v[12:13], v[8:9], off
	s_mov_b32 s0, 0
	s_waitcnt vmcnt(0)
	v_cvt_f32_f64_e32 v10, v[12:13]
	s_branch .LBB19_1200
.LBB19_1190:
	s_mov_b32 s0, 0
                                        ; implicit-def: $vgpr10
	s_cbranch_execnz .LBB19_1270
	s_branch .LBB19_1301
.LBB19_1191:
                                        ; implicit-def: $vgpr10
	s_branch .LBB19_1217
.LBB19_1192:
	s_mov_b32 s1, -1
	s_mov_b32 s0, 0
                                        ; implicit-def: $vgpr10
	s_branch .LBB19_1251
.LBB19_1193:
                                        ; implicit-def: $vgpr10
	s_branch .LBB19_1206
.LBB19_1194:
	s_mov_b32 s0, 0
                                        ; implicit-def: $vgpr10
	s_cbranch_execnz .LBB19_1247
	s_branch .LBB19_1250
.LBB19_1195:
	s_mov_b32 s0, -1
                                        ; implicit-def: $vgpr10
	s_branch .LBB19_1203
.LBB19_1196:
	s_cbranch_execnz .LBB19_1238
; %bb.1197:
	s_or_b32 s3, s3, exec_lo
	s_and_not1_b32 s8, s8, exec_lo
	s_or_b32 exec_lo, exec_lo, s2
	s_and_saveexec_b32 s2, s8
	s_delay_alu instid0(SALU_CYCLE_1)
	s_xor_b32 s2, exec_lo, s2
	s_cbranch_execnz .LBB19_1084
	s_branch .LBB19_1085
.LBB19_1198:
	s_mov_b32 s1, -1
	s_mov_b32 s0, 0
	s_branch .LBB19_1241
.LBB19_1199:
	s_mov_b32 s0, -1
                                        ; implicit-def: $vgpr10
.LBB19_1200:
	s_delay_alu instid0(SALU_CYCLE_1)
	s_and_not1_b32 vcc_lo, exec_lo, s0
	s_cbranch_vccnz .LBB19_1202
; %bb.1201:
	global_load_b32 v10, v[8:9], off
.LBB19_1202:
	s_mov_b32 s0, 0
.LBB19_1203:
	s_delay_alu instid0(SALU_CYCLE_1)
	s_and_not1_b32 vcc_lo, exec_lo, s0
	s_cbranch_vccnz .LBB19_1205
; %bb.1204:
	global_load_b32 v4, v[8:9], off
	s_waitcnt vmcnt(0)
	v_cvt_f32_f16_e32 v10, v4
.LBB19_1205:
	s_cbranch_execnz .LBB19_1216
.LBB19_1206:
	v_cmp_gt_i16_e32 vcc_lo, 6, v11
	s_cbranch_vccnz .LBB19_1209
; %bb.1207:
	v_cmp_lt_i16_e32 vcc_lo, 6, v11
	s_cbranch_vccz .LBB19_1210
; %bb.1208:
	global_load_b64 v[12:13], v[8:9], off
	s_mov_b32 s0, 0
	s_waitcnt vmcnt(0)
	v_cvt_f32_f64_e32 v10, v[12:13]
	s_branch .LBB19_1211
.LBB19_1209:
	s_mov_b32 s0, -1
                                        ; implicit-def: $vgpr10
	s_branch .LBB19_1214
.LBB19_1210:
	s_mov_b32 s0, -1
                                        ; implicit-def: $vgpr10
.LBB19_1211:
	s_delay_alu instid0(SALU_CYCLE_1)
	s_and_not1_b32 vcc_lo, exec_lo, s0
	s_cbranch_vccnz .LBB19_1213
; %bb.1212:
	global_load_b32 v10, v[8:9], off
.LBB19_1213:
	s_mov_b32 s0, 0
.LBB19_1214:
	s_delay_alu instid0(SALU_CYCLE_1)
	s_and_not1_b32 vcc_lo, exec_lo, s0
	s_cbranch_vccnz .LBB19_1216
; %bb.1215:
	global_load_u16 v4, v[8:9], off
	s_waitcnt vmcnt(0)
	v_cvt_f32_f16_e32 v10, v4
.LBB19_1216:
	s_cbranch_execnz .LBB19_1235
.LBB19_1217:
	v_cmp_gt_i16_e32 vcc_lo, 2, v11
	s_cbranch_vccnz .LBB19_1221
; %bb.1218:
	v_cmp_gt_i16_e32 vcc_lo, 3, v11
	s_cbranch_vccnz .LBB19_1222
; %bb.1219:
	v_cmp_lt_i16_e32 vcc_lo, 3, v11
	s_cbranch_vccz .LBB19_1223
; %bb.1220:
	global_load_b64 v[12:13], v[8:9], off
	s_mov_b32 s0, 0
	s_waitcnt vmcnt(0)
	v_xor_b32_e32 v4, v12, v13
	v_cls_i32_e32 v10, v13
	s_delay_alu instid0(VALU_DEP_2) | instskip(NEXT) | instid1(VALU_DEP_2)
	v_ashrrev_i32_e32 v4, 31, v4
	v_add_nc_u32_e32 v10, -1, v10
	s_delay_alu instid0(VALU_DEP_2) | instskip(NEXT) | instid1(VALU_DEP_1)
	v_add_nc_u32_e32 v4, 32, v4
	v_min_u32_e32 v4, v10, v4
	s_delay_alu instid0(VALU_DEP_1) | instskip(SKIP_1) | instid1(VALU_DEP_2)
	v_lshlrev_b64 v[12:13], v4, v[12:13]
	v_sub_nc_u32_e32 v4, 32, v4
	v_min_u32_e32 v10, 1, v12
	s_delay_alu instid0(VALU_DEP_1) | instskip(NEXT) | instid1(VALU_DEP_1)
	v_or_b32_e32 v10, v13, v10
	v_cvt_f32_i32_e32 v10, v10
	s_delay_alu instid0(VALU_DEP_1)
	v_ldexp_f32 v10, v10, v4
	s_branch .LBB19_1224
.LBB19_1221:
                                        ; implicit-def: $vgpr10
	s_branch .LBB19_1230
.LBB19_1222:
	s_mov_b32 s0, -1
                                        ; implicit-def: $vgpr10
	s_branch .LBB19_1227
.LBB19_1223:
	s_mov_b32 s0, -1
                                        ; implicit-def: $vgpr10
.LBB19_1224:
	s_delay_alu instid0(SALU_CYCLE_1)
	s_and_not1_b32 vcc_lo, exec_lo, s0
	s_cbranch_vccnz .LBB19_1226
; %bb.1225:
	global_load_b32 v4, v[8:9], off
	s_waitcnt vmcnt(0)
	v_cvt_f32_i32_e32 v10, v4
.LBB19_1226:
	s_mov_b32 s0, 0
.LBB19_1227:
	s_delay_alu instid0(SALU_CYCLE_1)
	s_and_not1_b32 vcc_lo, exec_lo, s0
	s_cbranch_vccnz .LBB19_1229
; %bb.1228:
	global_load_i16 v4, v[8:9], off
	s_waitcnt vmcnt(0)
	v_cvt_f32_i32_e32 v10, v4
.LBB19_1229:
	s_cbranch_execnz .LBB19_1235
.LBB19_1230:
	v_cmp_lt_i16_e32 vcc_lo, 0, v11
	s_mov_b32 s0, 0
	s_cbranch_vccz .LBB19_1232
; %bb.1231:
	global_load_i8 v4, v[8:9], off
	s_waitcnt vmcnt(0)
	v_cvt_f32_i32_e32 v10, v4
	s_branch .LBB19_1233
.LBB19_1232:
	s_mov_b32 s0, -1
                                        ; implicit-def: $vgpr10
.LBB19_1233:
	s_delay_alu instid0(SALU_CYCLE_1)
	s_and_not1_b32 vcc_lo, exec_lo, s0
	s_cbranch_vccnz .LBB19_1235
; %bb.1234:
	global_load_u8 v4, v[8:9], off
	s_waitcnt vmcnt(0)
	v_cvt_f32_ubyte0_e32 v10, v4
.LBB19_1235:
	s_branch .LBB19_1306
.LBB19_1236:
	s_trap 2
	s_sendmsg_rtn_b32 s0, sendmsg(MSG_RTN_GET_DOORBELL)
	s_mov_b32 ttmp2, m0
	s_waitcnt lgkmcnt(0)
	s_and_b32 s0, s0, 0x3ff
	s_delay_alu instid0(SALU_CYCLE_1) | instskip(NEXT) | instid1(SALU_CYCLE_1)
	s_bitset1_b32 s0, 10
	s_mov_b32 m0, s0
	s_sendmsg sendmsg(MSG_INTERRUPT)
	s_mov_b32 m0, ttmp2
.LBB19_1237:                            ; =>This Inner Loop Header: Depth=1
	s_sethalt 5
	s_branch .LBB19_1237
.LBB19_1238:
	s_trap 2
	s_sendmsg_rtn_b32 s0, sendmsg(MSG_RTN_GET_DOORBELL)
	s_mov_b32 ttmp2, m0
	s_waitcnt lgkmcnt(0)
	s_and_b32 s0, s0, 0x3ff
	s_delay_alu instid0(SALU_CYCLE_1) | instskip(NEXT) | instid1(SALU_CYCLE_1)
	s_bitset1_b32 s0, 10
	s_mov_b32 m0, s0
	s_sendmsg sendmsg(MSG_INTERRUPT)
	s_mov_b32 m0, ttmp2
.LBB19_1239:                            ; =>This Inner Loop Header: Depth=1
	s_sethalt 5
	s_branch .LBB19_1239
.LBB19_1240:
	s_mov_b32 s0, -1
.LBB19_1241:
                                        ; implicit-def: $vgpr10
.LBB19_1242:
	s_and_b32 vcc_lo, exec_lo, s1
	s_cbranch_vccz .LBB19_1245
; %bb.1243:
	v_cmp_eq_u16_e32 vcc_lo, 44, v11
	s_cbranch_vccz .LBB19_1246
; %bb.1244:
	global_load_u8 v4, v[8:9], off
	s_mov_b32 s0, 0
	s_mov_b32 s10, -1
	s_waitcnt vmcnt(0)
	v_lshlrev_b32_e32 v10, 23, v4
	v_cmp_ne_u32_e32 vcc_lo, 0xff, v4
	s_delay_alu instid0(VALU_DEP_2) | instskip(SKIP_1) | instid1(VALU_DEP_2)
	v_cndmask_b32_e32 v10, 0x7f800001, v10, vcc_lo
	v_cmp_ne_u32_e32 vcc_lo, 0, v4
	v_cndmask_b32_e32 v10, 0x400000, v10, vcc_lo
.LBB19_1245:
	s_branch .LBB19_1250
.LBB19_1246:
	s_mov_b32 s0, -1
                                        ; implicit-def: $vgpr10
	s_branch .LBB19_1250
.LBB19_1247:
	v_cmp_eq_u16_e32 vcc_lo, 29, v11
	s_cbranch_vccz .LBB19_1249
; %bb.1248:
	global_load_b64 v[12:13], v[8:9], off
	s_mov_b32 s0, 0
	s_mov_b32 s10, -1
	s_mov_b32 s1, 0
	s_waitcnt vmcnt(0)
	v_clz_i32_u32_e32 v4, v13
	s_delay_alu instid0(VALU_DEP_1) | instskip(NEXT) | instid1(VALU_DEP_1)
	v_min_u32_e32 v4, 32, v4
	v_lshlrev_b64 v[12:13], v4, v[12:13]
	v_sub_nc_u32_e32 v4, 32, v4
	s_delay_alu instid0(VALU_DEP_2) | instskip(NEXT) | instid1(VALU_DEP_1)
	v_min_u32_e32 v10, 1, v12
	v_or_b32_e32 v10, v13, v10
	s_delay_alu instid0(VALU_DEP_1) | instskip(NEXT) | instid1(VALU_DEP_1)
	v_cvt_f32_u32_e32 v10, v10
	v_ldexp_f32 v10, v10, v4
	s_branch .LBB19_1251
.LBB19_1249:
	s_mov_b32 s0, -1
                                        ; implicit-def: $vgpr10
.LBB19_1250:
	s_mov_b32 s1, 0
.LBB19_1251:
	s_delay_alu instid0(SALU_CYCLE_1)
	s_and_b32 vcc_lo, exec_lo, s1
	s_cbranch_vccz .LBB19_1269
; %bb.1252:
	v_cmp_gt_i16_e32 vcc_lo, 27, v11
	s_cbranch_vccnz .LBB19_1255
; %bb.1253:
	v_cmp_lt_i16_e32 vcc_lo, 27, v11
	s_cbranch_vccz .LBB19_1256
; %bb.1254:
	global_load_b32 v4, v[8:9], off
	s_mov_b32 s1, 0
	s_waitcnt vmcnt(0)
	v_cvt_f32_u32_e32 v10, v4
	s_branch .LBB19_1257
.LBB19_1255:
	s_mov_b32 s1, -1
                                        ; implicit-def: $vgpr10
	s_branch .LBB19_1260
.LBB19_1256:
	s_mov_b32 s1, -1
                                        ; implicit-def: $vgpr10
.LBB19_1257:
	s_delay_alu instid0(SALU_CYCLE_1)
	s_and_not1_b32 vcc_lo, exec_lo, s1
	s_cbranch_vccnz .LBB19_1259
; %bb.1258:
	global_load_u16 v4, v[8:9], off
	s_waitcnt vmcnt(0)
	v_cvt_f32_u32_e32 v10, v4
.LBB19_1259:
	s_mov_b32 s1, 0
.LBB19_1260:
	s_delay_alu instid0(SALU_CYCLE_1)
	s_and_not1_b32 vcc_lo, exec_lo, s1
	s_cbranch_vccnz .LBB19_1268
; %bb.1261:
	global_load_u8 v4, v[8:9], off
	s_mov_b32 s1, 0
	s_mov_b32 s11, exec_lo
                                        ; implicit-def: $sgpr10
	s_waitcnt vmcnt(0)
	v_cmpx_lt_i16_e32 0x7f, v4
	s_xor_b32 s11, exec_lo, s11
	s_cbranch_execz .LBB19_1281
; %bb.1262:
	s_mov_b32 s1, -1
	s_mov_b32 s12, exec_lo
                                        ; implicit-def: $sgpr10
	v_cmpx_eq_u16_e32 0x80, v4
; %bb.1263:
	s_mov_b32 s10, 0x7f800001
	s_xor_b32 s1, exec_lo, -1
; %bb.1264:
	s_or_b32 exec_lo, exec_lo, s12
	s_delay_alu instid0(SALU_CYCLE_1)
	s_and_b32 s1, s1, exec_lo
	s_or_saveexec_b32 s11, s11
	v_mov_b32_e32 v10, s10
	s_xor_b32 exec_lo, exec_lo, s11
	s_cbranch_execnz .LBB19_1282
.LBB19_1265:
	s_or_b32 exec_lo, exec_lo, s11
	s_and_saveexec_b32 s10, s1
	s_cbranch_execz .LBB19_1267
.LBB19_1266:
	v_and_b32_e32 v10, 0xffff, v4
	v_lshlrev_b32_e32 v4, 24, v4
	s_delay_alu instid0(VALU_DEP_2) | instskip(NEXT) | instid1(VALU_DEP_2)
	v_and_b32_e32 v12, 7, v10
	v_and_b32_e32 v4, 0x80000000, v4
	s_delay_alu instid0(VALU_DEP_2) | instskip(NEXT) | instid1(VALU_DEP_1)
	v_clz_i32_u32_e32 v13, v12
	v_min_u32_e32 v13, 32, v13
	s_delay_alu instid0(VALU_DEP_1) | instskip(SKIP_1) | instid1(VALU_DEP_2)
	v_subrev_nc_u32_e32 v14, 28, v13
	v_sub_nc_u32_e32 v13, 29, v13
	v_lshlrev_b32_e32 v14, v14, v10
	v_bfe_u32 v10, v10, 3, 4
	s_delay_alu instid0(VALU_DEP_2) | instskip(NEXT) | instid1(VALU_DEP_2)
	v_and_b32_e32 v14, 7, v14
	v_cmp_eq_u32_e32 vcc_lo, 0, v10
	v_cndmask_b32_e32 v10, v10, v13, vcc_lo
	s_delay_alu instid0(VALU_DEP_3) | instskip(NEXT) | instid1(VALU_DEP_2)
	v_cndmask_b32_e32 v12, v12, v14, vcc_lo
	v_lshl_add_u32 v10, v10, 23, 0x3b800000
	s_delay_alu instid0(VALU_DEP_2) | instskip(NEXT) | instid1(VALU_DEP_1)
	v_lshlrev_b32_e32 v12, 20, v12
	v_or3_b32 v10, v4, v10, v12
.LBB19_1267:
	s_or_b32 exec_lo, exec_lo, s10
.LBB19_1268:
	s_mov_b32 s10, -1
.LBB19_1269:
	s_branch .LBB19_1301
.LBB19_1270:
	v_cmp_lt_i16_e32 vcc_lo, 22, v11
	s_cbranch_vccz .LBB19_1280
; %bb.1271:
	v_cmp_gt_i16_e32 vcc_lo, 24, v11
	s_cbranch_vccnz .LBB19_1283
; %bb.1272:
	v_cmp_lt_i16_e32 vcc_lo, 24, v11
	s_cbranch_vccz .LBB19_1284
; %bb.1273:
	global_load_u8 v4, v[8:9], off
	s_mov_b32 s1, 0
	s_mov_b32 s10, exec_lo
                                        ; implicit-def: $sgpr3
	s_waitcnt vmcnt(0)
	v_cmpx_lt_i16_e32 0x7f, v4
	s_xor_b32 s10, exec_lo, s10
	s_cbranch_execz .LBB19_1295
; %bb.1274:
	s_mov_b32 s1, -1
	s_mov_b32 s11, exec_lo
                                        ; implicit-def: $sgpr3
	v_cmpx_eq_u16_e32 0x80, v4
; %bb.1275:
	s_mov_b32 s3, 0x7f800001
	s_xor_b32 s1, exec_lo, -1
; %bb.1276:
	s_or_b32 exec_lo, exec_lo, s11
	s_delay_alu instid0(SALU_CYCLE_1)
	s_and_b32 s1, s1, exec_lo
	s_or_saveexec_b32 s10, s10
	v_mov_b32_e32 v10, s3
	s_xor_b32 exec_lo, exec_lo, s10
	s_cbranch_execnz .LBB19_1296
.LBB19_1277:
	s_or_b32 exec_lo, exec_lo, s10
	s_and_saveexec_b32 s3, s1
	s_cbranch_execz .LBB19_1279
.LBB19_1278:
	v_and_b32_e32 v10, 0xffff, v4
	v_lshlrev_b32_e32 v4, 24, v4
	s_delay_alu instid0(VALU_DEP_2) | instskip(NEXT) | instid1(VALU_DEP_2)
	v_and_b32_e32 v12, 3, v10
	v_and_b32_e32 v4, 0x80000000, v4
	s_delay_alu instid0(VALU_DEP_2) | instskip(NEXT) | instid1(VALU_DEP_1)
	v_clz_i32_u32_e32 v13, v12
	v_min_u32_e32 v13, 32, v13
	s_delay_alu instid0(VALU_DEP_1) | instskip(SKIP_1) | instid1(VALU_DEP_2)
	v_subrev_nc_u32_e32 v14, 29, v13
	v_sub_nc_u32_e32 v13, 30, v13
	v_lshlrev_b32_e32 v14, v14, v10
	v_bfe_u32 v10, v10, 2, 5
	s_delay_alu instid0(VALU_DEP_2) | instskip(NEXT) | instid1(VALU_DEP_2)
	v_and_b32_e32 v14, 3, v14
	v_cmp_eq_u32_e32 vcc_lo, 0, v10
	v_cndmask_b32_e32 v10, v10, v13, vcc_lo
	s_delay_alu instid0(VALU_DEP_3) | instskip(NEXT) | instid1(VALU_DEP_2)
	v_cndmask_b32_e32 v12, v12, v14, vcc_lo
	v_lshl_add_u32 v10, v10, 23, 0x37800000
	s_delay_alu instid0(VALU_DEP_2) | instskip(NEXT) | instid1(VALU_DEP_1)
	v_lshlrev_b32_e32 v12, 21, v12
	v_or3_b32 v10, v4, v10, v12
.LBB19_1279:
	s_or_b32 exec_lo, exec_lo, s3
	s_mov_b32 s1, 0
	s_branch .LBB19_1285
.LBB19_1280:
                                        ; implicit-def: $vgpr10
	s_mov_b32 s3, 0
	s_branch .LBB19_1291
.LBB19_1281:
	s_or_saveexec_b32 s11, s11
	v_mov_b32_e32 v10, s10
	s_xor_b32 exec_lo, exec_lo, s11
	s_cbranch_execz .LBB19_1265
.LBB19_1282:
	v_cmp_ne_u16_e32 vcc_lo, 0, v4
	v_mov_b32_e32 v10, 0
	s_and_not1_b32 s1, s1, exec_lo
	s_and_b32 s10, vcc_lo, exec_lo
	s_delay_alu instid0(SALU_CYCLE_1)
	s_or_b32 s1, s1, s10
	s_or_b32 exec_lo, exec_lo, s11
	s_and_saveexec_b32 s10, s1
	s_cbranch_execnz .LBB19_1266
	s_branch .LBB19_1267
.LBB19_1283:
	s_mov_b32 s1, -1
                                        ; implicit-def: $vgpr10
	s_branch .LBB19_1288
.LBB19_1284:
	s_mov_b32 s1, -1
                                        ; implicit-def: $vgpr10
.LBB19_1285:
	s_delay_alu instid0(SALU_CYCLE_1)
	s_and_b32 vcc_lo, exec_lo, s1
	s_cbranch_vccz .LBB19_1287
; %bb.1286:
	global_load_u8 v4, v[8:9], off
	s_waitcnt vmcnt(0)
	v_lshlrev_b32_e32 v4, 24, v4
	s_delay_alu instid0(VALU_DEP_1) | instskip(NEXT) | instid1(VALU_DEP_1)
	v_and_b32_e32 v10, 0x7f000000, v4
	v_clz_i32_u32_e32 v12, v10
	v_cmp_ne_u32_e32 vcc_lo, 0, v10
	v_add_nc_u32_e32 v14, 0x1000000, v10
	s_delay_alu instid0(VALU_DEP_3) | instskip(NEXT) | instid1(VALU_DEP_1)
	v_min_u32_e32 v12, 32, v12
	v_sub_nc_u32_e64 v12, v12, 4 clamp
	s_delay_alu instid0(VALU_DEP_1) | instskip(SKIP_1) | instid1(VALU_DEP_2)
	v_lshlrev_b32_e32 v13, v12, v10
	v_lshlrev_b32_e32 v12, 23, v12
	v_lshrrev_b32_e32 v13, 4, v13
	s_delay_alu instid0(VALU_DEP_1) | instskip(SKIP_1) | instid1(VALU_DEP_2)
	v_sub_nc_u32_e32 v12, v13, v12
	v_ashrrev_i32_e32 v13, 8, v14
	v_add_nc_u32_e32 v12, 0x3c000000, v12
	s_delay_alu instid0(VALU_DEP_1) | instskip(NEXT) | instid1(VALU_DEP_1)
	v_and_or_b32 v12, 0x7f800000, v13, v12
	v_cndmask_b32_e32 v10, 0, v12, vcc_lo
	s_delay_alu instid0(VALU_DEP_1)
	v_and_or_b32 v10, 0x80000000, v4, v10
.LBB19_1287:
	s_mov_b32 s1, 0
.LBB19_1288:
	s_delay_alu instid0(SALU_CYCLE_1)
	s_and_not1_b32 vcc_lo, exec_lo, s1
	s_cbranch_vccnz .LBB19_1290
; %bb.1289:
	global_load_u8 v4, v[8:9], off
	s_waitcnt vmcnt(0)
	v_lshlrev_b32_e32 v10, 25, v4
	v_lshlrev_b16 v4, 8, v4
	s_delay_alu instid0(VALU_DEP_1) | instskip(SKIP_1) | instid1(VALU_DEP_2)
	v_and_or_b32 v13, 0x7f00, v4, 0.5
	v_bfe_i32 v4, v4, 0, 16
	v_add_f32_e32 v13, -0.5, v13
	v_lshrrev_b32_e32 v12, 4, v10
	v_cmp_gt_u32_e32 vcc_lo, 0x8000000, v10
	s_delay_alu instid0(VALU_DEP_2) | instskip(NEXT) | instid1(VALU_DEP_1)
	v_or_b32_e32 v12, 0x70000000, v12
	v_mul_f32_e32 v12, 0x7800000, v12
	s_delay_alu instid0(VALU_DEP_1) | instskip(NEXT) | instid1(VALU_DEP_1)
	v_cndmask_b32_e32 v10, v12, v13, vcc_lo
	v_and_or_b32 v10, 0x80000000, v4, v10
.LBB19_1290:
	s_mov_b32 s10, -1
	s_mov_b32 s3, 0
	s_cbranch_execnz .LBB19_1301
.LBB19_1291:
	v_cmp_lt_i16_e32 vcc_lo, 14, v11
	s_cbranch_vccz .LBB19_1294
; %bb.1292:
	v_cmp_eq_u16_e32 vcc_lo, 15, v11
	s_cbranch_vccz .LBB19_1297
; %bb.1293:
	global_load_u16 v4, v[8:9], off
	s_mov_b32 s0, 0
	s_mov_b32 s10, -1
	s_waitcnt vmcnt(0)
	v_lshlrev_b32_e32 v10, 16, v4
	s_branch .LBB19_1298
.LBB19_1294:
	s_mov_b32 s1, -1
                                        ; implicit-def: $vgpr10
	s_branch .LBB19_1299
.LBB19_1295:
	s_or_saveexec_b32 s10, s10
	v_mov_b32_e32 v10, s3
	s_xor_b32 exec_lo, exec_lo, s10
	s_cbranch_execz .LBB19_1277
.LBB19_1296:
	v_cmp_ne_u16_e32 vcc_lo, 0, v4
	v_mov_b32_e32 v10, 0
	s_and_not1_b32 s1, s1, exec_lo
	s_and_b32 s3, vcc_lo, exec_lo
	s_delay_alu instid0(SALU_CYCLE_1)
	s_or_b32 s1, s1, s3
	s_or_b32 exec_lo, exec_lo, s10
	s_and_saveexec_b32 s3, s1
	s_cbranch_execnz .LBB19_1278
	s_branch .LBB19_1279
.LBB19_1297:
	s_mov_b32 s0, -1
                                        ; implicit-def: $vgpr10
.LBB19_1298:
	s_mov_b32 s1, 0
.LBB19_1299:
	s_delay_alu instid0(SALU_CYCLE_1)
	s_and_b32 vcc_lo, exec_lo, s1
	s_cbranch_vccz .LBB19_1301
; %bb.1300:
	v_cmp_ne_u16_e64 s0, 11, v11
	s_mov_b32 s3, -1
                                        ; implicit-def: $vgpr10
.LBB19_1301:
	s_delay_alu instid0(VALU_DEP_1)
	s_and_b32 vcc_lo, exec_lo, s0
	s_mov_b32 s1, s8
	s_cbranch_vccnz .LBB19_1337
; %bb.1302:
	s_and_not1_b32 vcc_lo, exec_lo, s3
	s_cbranch_vccnz .LBB19_1304
.LBB19_1303:
	global_load_u8 v4, v[8:9], off
	s_mov_b32 s10, -1
	s_waitcnt vmcnt(0)
	v_cmp_ne_u16_e32 vcc_lo, 0, v4
	v_cndmask_b32_e64 v10, 0, 1.0, vcc_lo
.LBB19_1304:
.LBB19_1305:
	s_and_not1_b32 vcc_lo, exec_lo, s10
	s_cbranch_vccnz .LBB19_2186
.LBB19_1306:
	s_waitcnt vmcnt(0)
	s_delay_alu instid0(VALU_DEP_1) | instskip(NEXT) | instid1(VALU_DEP_1)
	v_cmp_ge_f32_e64 s0, 0x41000000, |v10|
                                        ; implicit-def: $vgpr4
	s_and_saveexec_b32 s3, s0
	s_delay_alu instid0(SALU_CYCLE_1)
	s_xor_b32 s0, exec_lo, s3
	s_cbranch_execz .LBB19_1312
; %bb.1307:
	v_fma_f32 v4, |v10|, 0.5, -2.0
	s_mov_b32 s3, 0x224cf950
	s_delay_alu instid0(VALU_DEP_1) | instid1(SALU_CYCLE_1)
	v_fmaak_f32 v8, s3, v4, 0xa3c2be86
	s_mov_b32 s3, exec_lo
	s_delay_alu instid0(VALU_DEP_1) | instskip(NEXT) | instid1(VALU_DEP_1)
	v_fmaak_f32 v9, v4, v8, 0xa24cf950
	v_add_f32_e32 v9, 0x25331f1f, v9
	s_delay_alu instid0(VALU_DEP_1) | instskip(NEXT) | instid1(VALU_DEP_1)
	v_fma_f32 v8, v4, v9, -v8
	v_add_f32_e32 v8, 0xa69f5554, v8
	s_delay_alu instid0(VALU_DEP_1) | instskip(NEXT) | instid1(VALU_DEP_1)
	v_fma_f32 v9, v4, v8, -v9
	;; [unrolled: 3-line block ×26, first 2 shown]
	v_add_f32_e32 v4, 0x3e81531c, v4
	s_delay_alu instid0(VALU_DEP_1)
	v_sub_f32_e32 v8, v4, v9
                                        ; implicit-def: $vgpr4
	v_cmpx_ngt_f32_e32 0, v10
	s_xor_b32 s3, exec_lo, s3
	s_cbranch_execz .LBB19_1309
; %bb.1308:
	v_mul_f32_e64 v4, 0x3fb8aa3b, |v10|
	v_cmp_ngt_f32_e64 vcc_lo, 0xc2ce8ed0, |v10|
	v_mul_f32_e32 v8, 0.5, v8
	s_delay_alu instid0(VALU_DEP_3) | instskip(SKIP_1) | instid1(VALU_DEP_3)
	v_rndne_f32_e32 v9, v4
	v_fma_f32 v12, 0x3fb8aa3b, |v10|, -v4
	v_mul_f32_e64 v8, |v10|, v8
	s_delay_alu instid0(VALU_DEP_3) | instskip(NEXT) | instid1(VALU_DEP_3)
	v_sub_f32_e32 v4, v4, v9
	v_fma_f32 v12, 0x32a5705f, |v10|, v12
	v_cvt_i32_f32_e32 v9, v9
	s_delay_alu instid0(VALU_DEP_2) | instskip(NEXT) | instid1(VALU_DEP_1)
	v_add_f32_e32 v4, v4, v12
	v_exp_f32_e32 v4, v4
	s_waitcnt_depctr 0xfff
	v_ldexp_f32 v4, v4, v9
	s_delay_alu instid0(VALU_DEP_1) | instskip(SKIP_1) | instid1(VALU_DEP_2)
	v_cndmask_b32_e32 v4, 0, v4, vcc_lo
	v_cmp_nlt_f32_e64 vcc_lo, 0x42b17218, |v10|
                                        ; implicit-def: $vgpr10
	v_cndmask_b32_e32 v4, 0x7f800000, v4, vcc_lo
	s_delay_alu instid0(VALU_DEP_1)
	v_mul_f32_e32 v4, v4, v8
                                        ; implicit-def: $vgpr8
.LBB19_1309:
	s_and_not1_saveexec_b32 s3, s3
	s_cbranch_execz .LBB19_1311
; %bb.1310:
	v_mul_f32_e64 v4, 0x3fb8aa3b, |v10|
	v_cmp_ngt_f32_e64 vcc_lo, 0xc2ce8ed0, |v10|
	v_mul_f32_e32 v8, -0.5, v8
	s_delay_alu instid0(VALU_DEP_3) | instskip(SKIP_1) | instid1(VALU_DEP_3)
	v_rndne_f32_e32 v9, v4
	v_fma_f32 v12, 0x3fb8aa3b, |v10|, -v4
	v_mul_f32_e64 v8, |v10|, v8
	s_delay_alu instid0(VALU_DEP_3) | instskip(NEXT) | instid1(VALU_DEP_3)
	v_sub_f32_e32 v4, v4, v9
	v_fma_f32 v12, 0x32a5705f, |v10|, v12
	v_cvt_i32_f32_e32 v9, v9
	s_delay_alu instid0(VALU_DEP_2) | instskip(NEXT) | instid1(VALU_DEP_1)
	v_add_f32_e32 v4, v4, v12
	v_exp_f32_e32 v4, v4
	s_waitcnt_depctr 0xfff
	v_ldexp_f32 v4, v4, v9
	s_delay_alu instid0(VALU_DEP_1) | instskip(SKIP_1) | instid1(VALU_DEP_2)
	v_cndmask_b32_e32 v4, 0, v4, vcc_lo
	v_cmp_nlt_f32_e64 vcc_lo, 0x42b17218, |v10|
	v_cndmask_b32_e32 v4, 0x7f800000, v4, vcc_lo
	s_delay_alu instid0(VALU_DEP_1)
	v_mul_f32_e32 v4, v4, v8
.LBB19_1311:
	s_or_b32 exec_lo, exec_lo, s3
                                        ; implicit-def: $vgpr10
.LBB19_1312:
	s_and_not1_saveexec_b32 s3, s0
	s_cbranch_execz .LBB19_1318
; %bb.1313:
	v_and_b32_e32 v4, 0x7fffffff, v10
	s_mov_b32 s0, 0x230aab6e
	s_delay_alu instid0(VALU_DEP_1) | instskip(NEXT) | instid1(VALU_DEP_1)
	v_div_scale_f32 v8, null, v4, v4, 0x42000000
	v_rcp_f32_e32 v9, v8
	s_waitcnt_depctr 0xfff
	v_fma_f32 v12, -v8, v9, 1.0
	s_delay_alu instid0(VALU_DEP_1) | instskip(SKIP_1) | instid1(VALU_DEP_1)
	v_fmac_f32_e32 v9, v12, v9
	v_div_scale_f32 v4, vcc_lo, 0x42000000, v4, 0x42000000
	v_mul_f32_e32 v12, v4, v9
	s_delay_alu instid0(VALU_DEP_1) | instskip(NEXT) | instid1(VALU_DEP_1)
	v_fma_f32 v13, -v8, v12, v4
	v_fmac_f32_e32 v12, v13, v9
	s_delay_alu instid0(VALU_DEP_1) | instskip(NEXT) | instid1(VALU_DEP_1)
	v_fma_f32 v4, -v8, v12, v4
	v_div_fmas_f32 v4, v4, v9, v12
	v_mul_f32_e64 v12, 0x3fb8aa3b, |v10|
	v_cmp_ngt_f32_e64 vcc_lo, 0xc2ce8ed0, |v10|
	s_delay_alu instid0(VALU_DEP_3) | instskip(NEXT) | instid1(VALU_DEP_3)
	v_div_fixup_f32 v4, v4, |v10|, 0x42000000
	v_rndne_f32_e32 v13, v12
	v_fma_f32 v14, 0x3fb8aa3b, |v10|, -v12
	s_delay_alu instid0(VALU_DEP_3) | instskip(NEXT) | instid1(VALU_DEP_3)
	v_add_f32_e32 v4, -2.0, v4
	v_sub_f32_e32 v12, v12, v13
	s_delay_alu instid0(VALU_DEP_3) | instskip(SKIP_1) | instid1(VALU_DEP_4)
	v_fma_f32 v14, 0x32a5705f, |v10|, v14
	v_cvt_i32_f32_e32 v13, v13
	v_fmaak_f32 v8, s0, v4, 0x22a2dc57
	v_cmp_nlt_f32_e64 s0, 0x42b17218, |v10|
	s_delay_alu instid0(VALU_DEP_4) | instskip(NEXT) | instid1(VALU_DEP_3)
	v_add_f32_e32 v12, v12, v14
	v_fmaak_f32 v9, v4, v8, 0xa30aab6e
	s_delay_alu instid0(VALU_DEP_2) | instskip(NEXT) | instid1(VALU_DEP_1)
	v_exp_f32_e32 v12, v12
	v_add_f32_e32 v9, 0xa456751e, v9
	s_delay_alu instid0(VALU_DEP_1) | instskip(NEXT) | instid1(VALU_DEP_1)
	v_fma_f32 v8, v4, v9, -v8
	v_add_f32_e32 v8, 0xa4140365, v8
	s_delay_alu instid0(VALU_DEP_1) | instskip(NEXT) | instid1(VALU_DEP_1)
	v_fma_f32 v9, v4, v8, -v9
	;; [unrolled: 3-line block ×21, first 2 shown]
	v_add_f32_e32 v8, 0xbc1fed03, v8
	s_delay_alu instid0(VALU_DEP_1) | instskip(SKIP_2) | instid1(VALU_DEP_3)
	v_fma_f32 v4, v4, v8, -v9
	v_ldexp_f32 v8, v12, v13
	v_mul_f32_e64 v12, 0x4f800000, |v10|
	v_add_f32_e32 v4, 0x3f4750c6, v4
	s_delay_alu instid0(VALU_DEP_3) | instskip(NEXT) | instid1(VALU_DEP_2)
	v_cndmask_b32_e32 v8, 0, v8, vcc_lo
	v_sub_f32_e32 v4, v4, v9
	s_delay_alu instid0(VALU_DEP_2) | instskip(SKIP_1) | instid1(VALU_DEP_2)
	v_cndmask_b32_e64 v8, 0x7f800000, v8, s0
	s_mov_b32 s0, exec_lo
	v_mul_f32_e32 v9, 0.5, v4
                                        ; implicit-def: $vgpr4
	v_cmpx_ngt_f32_e32 0, v10
	s_xor_b32 s10, exec_lo, s0
	s_cbranch_execz .LBB19_1315
; %bb.1314:
	v_cmp_gt_f32_e64 vcc_lo, 0xf800000, |v10|
	v_mul_f32_e32 v8, v8, v9
	s_delay_alu instid0(VALU_DEP_2) | instskip(NEXT) | instid1(VALU_DEP_1)
	v_cndmask_b32_e64 v4, |v10|, v12, vcc_lo
	v_sqrt_f32_e32 v10, v4
	s_waitcnt_depctr 0xfff
	v_add_nc_u32_e32 v12, -1, v10
	v_add_nc_u32_e32 v13, 1, v10
	s_delay_alu instid0(VALU_DEP_2) | instskip(NEXT) | instid1(VALU_DEP_2)
	v_fma_f32 v14, -v12, v10, v4
	v_fma_f32 v15, -v13, v10, v4
	s_delay_alu instid0(VALU_DEP_2) | instskip(NEXT) | instid1(VALU_DEP_1)
	v_cmp_ge_f32_e64 s0, 0, v14
	v_cndmask_b32_e64 v10, v10, v12, s0
	s_delay_alu instid0(VALU_DEP_3) | instskip(NEXT) | instid1(VALU_DEP_1)
	v_cmp_lt_f32_e64 s0, 0, v15
	v_cndmask_b32_e64 v10, v10, v13, s0
	s_delay_alu instid0(VALU_DEP_1) | instskip(NEXT) | instid1(VALU_DEP_1)
	v_mul_f32_e32 v12, 0x37800000, v10
	v_cndmask_b32_e32 v10, v10, v12, vcc_lo
	v_cmp_class_f32_e64 vcc_lo, v4, 0x260
	s_delay_alu instid0(VALU_DEP_2) | instskip(NEXT) | instid1(VALU_DEP_1)
	v_cndmask_b32_e32 v4, v10, v4, vcc_lo
	v_div_scale_f32 v9, null, v4, v4, v8
	s_delay_alu instid0(VALU_DEP_1) | instskip(SKIP_2) | instid1(VALU_DEP_1)
	v_rcp_f32_e32 v10, v9
	s_waitcnt_depctr 0xfff
	v_fma_f32 v12, -v9, v10, 1.0
	v_fmac_f32_e32 v10, v12, v10
	v_div_scale_f32 v12, vcc_lo, v8, v4, v8
	s_delay_alu instid0(VALU_DEP_1) | instskip(NEXT) | instid1(VALU_DEP_1)
	v_mul_f32_e32 v13, v12, v10
	v_fma_f32 v14, -v9, v13, v12
	s_delay_alu instid0(VALU_DEP_1) | instskip(NEXT) | instid1(VALU_DEP_1)
	v_fmac_f32_e32 v13, v14, v10
	v_fma_f32 v9, -v9, v13, v12
                                        ; implicit-def: $vgpr12
	s_delay_alu instid0(VALU_DEP_1) | instskip(NEXT) | instid1(VALU_DEP_1)
	v_div_fmas_f32 v9, v9, v10, v13
                                        ; implicit-def: $vgpr10
	v_div_fixup_f32 v4, v9, v4, v8
                                        ; implicit-def: $vgpr8
                                        ; implicit-def: $vgpr9
.LBB19_1315:
	s_and_not1_saveexec_b32 s10, s10
	s_cbranch_execz .LBB19_1317
; %bb.1316:
	v_cmp_gt_f32_e64 vcc_lo, 0xf800000, |v10|
	v_mul_f32_e64 v8, v9, -v8
	s_delay_alu instid0(VALU_DEP_2) | instskip(NEXT) | instid1(VALU_DEP_1)
	v_cndmask_b32_e64 v4, |v10|, v12, vcc_lo
	v_sqrt_f32_e32 v10, v4
	s_waitcnt_depctr 0xfff
	v_add_nc_u32_e32 v12, -1, v10
	v_add_nc_u32_e32 v13, 1, v10
	s_delay_alu instid0(VALU_DEP_2) | instskip(NEXT) | instid1(VALU_DEP_2)
	v_fma_f32 v14, -v12, v10, v4
	v_fma_f32 v15, -v13, v10, v4
	s_delay_alu instid0(VALU_DEP_2) | instskip(NEXT) | instid1(VALU_DEP_1)
	v_cmp_ge_f32_e64 s0, 0, v14
	v_cndmask_b32_e64 v10, v10, v12, s0
	s_delay_alu instid0(VALU_DEP_3) | instskip(NEXT) | instid1(VALU_DEP_1)
	v_cmp_lt_f32_e64 s0, 0, v15
	v_cndmask_b32_e64 v10, v10, v13, s0
	s_delay_alu instid0(VALU_DEP_1) | instskip(NEXT) | instid1(VALU_DEP_1)
	v_mul_f32_e32 v12, 0x37800000, v10
	v_cndmask_b32_e32 v10, v10, v12, vcc_lo
	v_cmp_class_f32_e64 vcc_lo, v4, 0x260
	s_delay_alu instid0(VALU_DEP_2) | instskip(NEXT) | instid1(VALU_DEP_1)
	v_cndmask_b32_e32 v4, v10, v4, vcc_lo
	v_div_scale_f32 v9, null, v4, v4, v8
	s_delay_alu instid0(VALU_DEP_1) | instskip(SKIP_2) | instid1(VALU_DEP_1)
	v_rcp_f32_e32 v10, v9
	s_waitcnt_depctr 0xfff
	v_fma_f32 v12, -v9, v10, 1.0
	v_fmac_f32_e32 v10, v12, v10
	v_div_scale_f32 v12, vcc_lo, v8, v4, v8
	s_delay_alu instid0(VALU_DEP_1) | instskip(NEXT) | instid1(VALU_DEP_1)
	v_mul_f32_e32 v13, v12, v10
	v_fma_f32 v14, -v9, v13, v12
	s_delay_alu instid0(VALU_DEP_1) | instskip(NEXT) | instid1(VALU_DEP_1)
	v_fmac_f32_e32 v13, v14, v10
	v_fma_f32 v9, -v9, v13, v12
	s_delay_alu instid0(VALU_DEP_1) | instskip(NEXT) | instid1(VALU_DEP_1)
	v_div_fmas_f32 v9, v9, v10, v13
	v_div_fixup_f32 v4, v9, v4, v8
.LBB19_1317:
	s_or_b32 exec_lo, exec_lo, s10
.LBB19_1318:
	s_delay_alu instid0(SALU_CYCLE_1) | instskip(SKIP_2) | instid1(VALU_DEP_1)
	s_or_b32 exec_lo, exec_lo, s3
	v_cmp_gt_i16_e32 vcc_lo, 11, v11
	v_add_co_u32 v8, s0, s6, v6
	v_add_co_ci_u32_e64 v9, null, s7, 0, s0
	s_mov_b32 s10, 0
	s_cbranch_vccnz .LBB19_1325
; %bb.1319:
	v_cmp_lt_i16_e32 vcc_lo, 25, v11
	s_mov_b32 s3, 0
	s_cbranch_vccz .LBB19_1331
; %bb.1320:
	v_cmp_lt_i16_e32 vcc_lo, 28, v11
	s_cbranch_vccz .LBB19_1333
; %bb.1321:
	v_cmp_lt_i16_e32 vcc_lo, 43, v11
	;; [unrolled: 3-line block ×3, first 2 shown]
	s_cbranch_vccz .LBB19_1341
; %bb.1323:
	v_cmp_eq_u16_e32 vcc_lo, 46, v11
	s_mov_b32 s11, 0
	s_cbranch_vccz .LBB19_1385
; %bb.1324:
	global_load_b32 v6, v[8:9], off
	s_mov_b32 s0, 0
	s_mov_b32 s10, -1
	s_waitcnt vmcnt(0)
	v_lshlrev_b32_e32 v10, 16, v6
	s_branch .LBB19_1387
.LBB19_1325:
                                        ; implicit-def: $vgpr10
	s_cbranch_execz .LBB19_1452
; %bb.1326:
	v_cmp_gt_i16_e32 vcc_lo, 5, v11
	s_cbranch_vccnz .LBB19_1332
; %bb.1327:
	v_cmp_gt_i16_e32 vcc_lo, 8, v11
	s_cbranch_vccnz .LBB19_1334
	;; [unrolled: 3-line block ×3, first 2 shown]
; %bb.1329:
	v_cmp_lt_i16_e32 vcc_lo, 9, v11
	s_cbranch_vccz .LBB19_1342
; %bb.1330:
	global_load_b64 v[12:13], v[8:9], off
	s_mov_b32 s0, 0
	s_waitcnt vmcnt(0)
	v_cvt_f32_f64_e32 v10, v[12:13]
	s_branch .LBB19_1343
.LBB19_1331:
	s_mov_b32 s0, 0
                                        ; implicit-def: $vgpr10
	s_cbranch_execnz .LBB19_1416
	s_branch .LBB19_1448
.LBB19_1332:
                                        ; implicit-def: $vgpr10
	s_branch .LBB19_1361
.LBB19_1333:
	s_mov_b32 s11, -1
	s_mov_b32 s0, 0
                                        ; implicit-def: $vgpr10
	s_branch .LBB19_1397
.LBB19_1334:
	s_mov_b32 s0, -1
                                        ; implicit-def: $vgpr10
	s_branch .LBB19_1349
.LBB19_1335:
	s_mov_b32 s11, -1
	s_mov_b32 s0, 0
                                        ; implicit-def: $vgpr10
	s_branch .LBB19_1392
.LBB19_1336:
	s_mov_b32 s0, -1
                                        ; implicit-def: $vgpr10
	s_branch .LBB19_1346
.LBB19_1337:
	s_cbranch_execnz .LBB19_1381
; %bb.1338:
	s_or_b32 s1, s8, exec_lo
                                        ; implicit-def: $vgpr10
	s_cbranch_execz .LBB19_1303
	s_branch .LBB19_1304
.LBB19_1339:
	s_or_saveexec_b32 s7, s7
                                        ; implicit-def: $sgpr8
	s_delay_alu instid0(SALU_CYCLE_1)
	s_xor_b32 exec_lo, exec_lo, s7
	s_cbranch_execz .LBB19_1035
.LBB19_1340:
	v_add_f32_e64 v0, 0x46000000, |v1|
	s_and_not1_b32 s5, s5, exec_lo
	s_mov_b32 s8, 0
	s_delay_alu instid0(VALU_DEP_1) | instskip(NEXT) | instid1(VALU_DEP_1)
	v_and_b32_e32 v0, 0xff, v0
	v_cmp_ne_u32_e32 vcc_lo, 0, v0
	s_and_b32 s9, vcc_lo, exec_lo
	s_delay_alu instid0(SALU_CYCLE_1)
	s_or_b32 s5, s5, s9
	s_or_b32 exec_lo, exec_lo, s7
	v_mov_b32_e32 v2, s8
	s_and_saveexec_b32 s7, s5
	s_cbranch_execnz .LBB19_1036
	s_branch .LBB19_1037
.LBB19_1341:
	s_mov_b32 s11, -1
	s_mov_b32 s0, 0
	s_branch .LBB19_1386
.LBB19_1342:
	s_mov_b32 s0, -1
                                        ; implicit-def: $vgpr10
.LBB19_1343:
	s_delay_alu instid0(SALU_CYCLE_1)
	s_and_not1_b32 vcc_lo, exec_lo, s0
	s_cbranch_vccnz .LBB19_1345
; %bb.1344:
	global_load_b32 v10, v[8:9], off
.LBB19_1345:
	s_mov_b32 s0, 0
.LBB19_1346:
	s_delay_alu instid0(SALU_CYCLE_1)
	s_and_not1_b32 vcc_lo, exec_lo, s0
	s_cbranch_vccnz .LBB19_1348
; %bb.1347:
	global_load_b32 v6, v[8:9], off
	s_waitcnt vmcnt(0)
	v_cvt_f32_f16_e32 v10, v6
.LBB19_1348:
	s_mov_b32 s0, 0
.LBB19_1349:
	s_delay_alu instid0(SALU_CYCLE_1)
	s_and_not1_b32 vcc_lo, exec_lo, s0
	s_cbranch_vccnz .LBB19_1360
; %bb.1350:
	v_cmp_gt_i16_e32 vcc_lo, 6, v11
	s_cbranch_vccnz .LBB19_1353
; %bb.1351:
	v_cmp_lt_i16_e32 vcc_lo, 6, v11
	s_cbranch_vccz .LBB19_1354
; %bb.1352:
	global_load_b64 v[12:13], v[8:9], off
	s_mov_b32 s0, 0
	s_waitcnt vmcnt(0)
	v_cvt_f32_f64_e32 v10, v[12:13]
	s_branch .LBB19_1355
.LBB19_1353:
	s_mov_b32 s0, -1
                                        ; implicit-def: $vgpr10
	s_branch .LBB19_1358
.LBB19_1354:
	s_mov_b32 s0, -1
                                        ; implicit-def: $vgpr10
.LBB19_1355:
	s_delay_alu instid0(SALU_CYCLE_1)
	s_and_not1_b32 vcc_lo, exec_lo, s0
	s_cbranch_vccnz .LBB19_1357
; %bb.1356:
	global_load_b32 v10, v[8:9], off
.LBB19_1357:
	s_mov_b32 s0, 0
.LBB19_1358:
	s_delay_alu instid0(SALU_CYCLE_1)
	s_and_not1_b32 vcc_lo, exec_lo, s0
	s_cbranch_vccnz .LBB19_1360
; %bb.1359:
	global_load_u16 v6, v[8:9], off
	s_waitcnt vmcnt(0)
	v_cvt_f32_f16_e32 v10, v6
.LBB19_1360:
	s_cbranch_execnz .LBB19_1380
.LBB19_1361:
	v_cmp_gt_i16_e32 vcc_lo, 2, v11
	s_cbranch_vccnz .LBB19_1365
; %bb.1362:
	v_cmp_gt_i16_e32 vcc_lo, 3, v11
	s_cbranch_vccnz .LBB19_1366
; %bb.1363:
	v_cmp_lt_i16_e32 vcc_lo, 3, v11
	s_cbranch_vccz .LBB19_1367
; %bb.1364:
	global_load_b64 v[12:13], v[8:9], off
	s_mov_b32 s0, 0
	s_waitcnt vmcnt(0)
	v_xor_b32_e32 v6, v12, v13
	v_cls_i32_e32 v10, v13
	s_delay_alu instid0(VALU_DEP_2) | instskip(NEXT) | instid1(VALU_DEP_2)
	v_ashrrev_i32_e32 v6, 31, v6
	v_add_nc_u32_e32 v10, -1, v10
	s_delay_alu instid0(VALU_DEP_2) | instskip(NEXT) | instid1(VALU_DEP_1)
	v_add_nc_u32_e32 v6, 32, v6
	v_min_u32_e32 v6, v10, v6
	s_delay_alu instid0(VALU_DEP_1) | instskip(SKIP_1) | instid1(VALU_DEP_2)
	v_lshlrev_b64 v[12:13], v6, v[12:13]
	v_sub_nc_u32_e32 v6, 32, v6
	v_min_u32_e32 v10, 1, v12
	s_delay_alu instid0(VALU_DEP_1) | instskip(NEXT) | instid1(VALU_DEP_1)
	v_or_b32_e32 v10, v13, v10
	v_cvt_f32_i32_e32 v10, v10
	s_delay_alu instid0(VALU_DEP_1)
	v_ldexp_f32 v10, v10, v6
	s_branch .LBB19_1368
.LBB19_1365:
	s_mov_b32 s0, -1
                                        ; implicit-def: $vgpr10
	s_branch .LBB19_1374
.LBB19_1366:
	s_mov_b32 s0, -1
                                        ; implicit-def: $vgpr10
	s_branch .LBB19_1371
.LBB19_1367:
	s_mov_b32 s0, -1
                                        ; implicit-def: $vgpr10
.LBB19_1368:
	s_delay_alu instid0(SALU_CYCLE_1)
	s_and_not1_b32 vcc_lo, exec_lo, s0
	s_cbranch_vccnz .LBB19_1370
; %bb.1369:
	global_load_b32 v6, v[8:9], off
	s_waitcnt vmcnt(0)
	v_cvt_f32_i32_e32 v10, v6
.LBB19_1370:
	s_mov_b32 s0, 0
.LBB19_1371:
	s_delay_alu instid0(SALU_CYCLE_1)
	s_and_not1_b32 vcc_lo, exec_lo, s0
	s_cbranch_vccnz .LBB19_1373
; %bb.1372:
	global_load_i16 v6, v[8:9], off
	s_waitcnt vmcnt(0)
	v_cvt_f32_i32_e32 v10, v6
.LBB19_1373:
	s_mov_b32 s0, 0
.LBB19_1374:
	s_delay_alu instid0(SALU_CYCLE_1)
	s_and_not1_b32 vcc_lo, exec_lo, s0
	s_cbranch_vccnz .LBB19_1380
; %bb.1375:
	v_cmp_lt_i16_e32 vcc_lo, 0, v11
	s_mov_b32 s0, 0
	s_cbranch_vccz .LBB19_1377
; %bb.1376:
	global_load_i8 v6, v[8:9], off
	s_waitcnt vmcnt(0)
	v_cvt_f32_i32_e32 v10, v6
	s_branch .LBB19_1378
.LBB19_1377:
	s_mov_b32 s0, -1
                                        ; implicit-def: $vgpr10
.LBB19_1378:
	s_delay_alu instid0(SALU_CYCLE_1)
	s_and_not1_b32 vcc_lo, exec_lo, s0
	s_cbranch_vccnz .LBB19_1380
; %bb.1379:
	global_load_u8 v6, v[8:9], off
	s_waitcnt vmcnt(0)
	v_cvt_f32_ubyte0_e32 v10, v6
.LBB19_1380:
	s_branch .LBB19_1453
.LBB19_1381:
	s_trap 2
	s_sendmsg_rtn_b32 s0, sendmsg(MSG_RTN_GET_DOORBELL)
	s_mov_b32 ttmp2, m0
	s_waitcnt lgkmcnt(0)
	s_and_b32 s0, s0, 0x3ff
	s_delay_alu instid0(SALU_CYCLE_1) | instskip(NEXT) | instid1(SALU_CYCLE_1)
	s_bitset1_b32 s0, 10
	s_mov_b32 m0, s0
	s_sendmsg sendmsg(MSG_INTERRUPT)
	s_mov_b32 m0, ttmp2
.LBB19_1382:                            ; =>This Inner Loop Header: Depth=1
	s_sethalt 5
	s_branch .LBB19_1382
.LBB19_1383:
	s_or_saveexec_b32 s8, s8
                                        ; implicit-def: $sgpr9
	s_delay_alu instid0(SALU_CYCLE_1)
	s_xor_b32 exec_lo, exec_lo, s8
	s_cbranch_execz .LBB19_1047
.LBB19_1384:
	v_add_f32_e64 v0, 0x42800000, |v1|
	s_and_not1_b32 s7, s7, exec_lo
	s_mov_b32 s9, 0
	s_delay_alu instid0(VALU_DEP_1) | instskip(NEXT) | instid1(VALU_DEP_1)
	v_and_b32_e32 v0, 0xff, v0
	v_cmp_ne_u32_e32 vcc_lo, 0, v0
	s_and_b32 s10, vcc_lo, exec_lo
	s_delay_alu instid0(SALU_CYCLE_1)
	s_or_b32 s7, s7, s10
	s_or_b32 exec_lo, exec_lo, s8
	v_mov_b32_e32 v2, s9
	s_and_saveexec_b32 s8, s7
	s_cbranch_execnz .LBB19_1048
	s_branch .LBB19_1049
.LBB19_1385:
	s_mov_b32 s0, -1
.LBB19_1386:
                                        ; implicit-def: $vgpr10
.LBB19_1387:
	s_and_b32 vcc_lo, exec_lo, s11
	s_cbranch_vccz .LBB19_1391
; %bb.1388:
	v_cmp_eq_u16_e32 vcc_lo, 44, v11
	s_cbranch_vccz .LBB19_1390
; %bb.1389:
	global_load_u8 v6, v[8:9], off
	s_mov_b32 s0, 0
	s_mov_b32 s10, -1
	s_waitcnt vmcnt(0)
	v_lshlrev_b32_e32 v10, 23, v6
	v_cmp_ne_u32_e32 vcc_lo, 0xff, v6
	s_delay_alu instid0(VALU_DEP_2) | instskip(SKIP_1) | instid1(VALU_DEP_2)
	v_cndmask_b32_e32 v10, 0x7f800001, v10, vcc_lo
	v_cmp_ne_u32_e32 vcc_lo, 0, v6
	v_cndmask_b32_e32 v10, 0x400000, v10, vcc_lo
	s_branch .LBB19_1391
.LBB19_1390:
	s_mov_b32 s0, -1
                                        ; implicit-def: $vgpr10
.LBB19_1391:
	s_mov_b32 s11, 0
.LBB19_1392:
	s_delay_alu instid0(SALU_CYCLE_1)
	s_and_b32 vcc_lo, exec_lo, s11
	s_cbranch_vccz .LBB19_1396
; %bb.1393:
	v_cmp_eq_u16_e32 vcc_lo, 29, v11
	s_cbranch_vccz .LBB19_1395
; %bb.1394:
	global_load_b64 v[12:13], v[8:9], off
	s_mov_b32 s0, 0
	s_mov_b32 s10, -1
	s_mov_b32 s11, 0
	s_waitcnt vmcnt(0)
	v_clz_i32_u32_e32 v6, v13
	s_delay_alu instid0(VALU_DEP_1) | instskip(NEXT) | instid1(VALU_DEP_1)
	v_min_u32_e32 v6, 32, v6
	v_lshlrev_b64 v[12:13], v6, v[12:13]
	v_sub_nc_u32_e32 v6, 32, v6
	s_delay_alu instid0(VALU_DEP_2) | instskip(NEXT) | instid1(VALU_DEP_1)
	v_min_u32_e32 v10, 1, v12
	v_or_b32_e32 v10, v13, v10
	s_delay_alu instid0(VALU_DEP_1) | instskip(NEXT) | instid1(VALU_DEP_1)
	v_cvt_f32_u32_e32 v10, v10
	v_ldexp_f32 v10, v10, v6
	s_branch .LBB19_1397
.LBB19_1395:
	s_mov_b32 s0, -1
                                        ; implicit-def: $vgpr10
.LBB19_1396:
	s_mov_b32 s11, 0
.LBB19_1397:
	s_delay_alu instid0(SALU_CYCLE_1)
	s_and_b32 vcc_lo, exec_lo, s11
	s_cbranch_vccz .LBB19_1415
; %bb.1398:
	v_cmp_gt_i16_e32 vcc_lo, 27, v11
	s_cbranch_vccnz .LBB19_1401
; %bb.1399:
	v_cmp_lt_i16_e32 vcc_lo, 27, v11
	s_cbranch_vccz .LBB19_1402
; %bb.1400:
	global_load_b32 v6, v[8:9], off
	s_mov_b32 s10, 0
	s_waitcnt vmcnt(0)
	v_cvt_f32_u32_e32 v10, v6
	s_branch .LBB19_1403
.LBB19_1401:
	s_mov_b32 s10, -1
                                        ; implicit-def: $vgpr10
	s_branch .LBB19_1406
.LBB19_1402:
	s_mov_b32 s10, -1
                                        ; implicit-def: $vgpr10
.LBB19_1403:
	s_delay_alu instid0(SALU_CYCLE_1)
	s_and_not1_b32 vcc_lo, exec_lo, s10
	s_cbranch_vccnz .LBB19_1405
; %bb.1404:
	global_load_u16 v6, v[8:9], off
	s_waitcnt vmcnt(0)
	v_cvt_f32_u32_e32 v10, v6
.LBB19_1405:
	s_mov_b32 s10, 0
.LBB19_1406:
	s_delay_alu instid0(SALU_CYCLE_1)
	s_and_not1_b32 vcc_lo, exec_lo, s10
	s_cbranch_vccnz .LBB19_1414
; %bb.1407:
	global_load_u8 v6, v[8:9], off
	s_mov_b32 s10, 0
	s_mov_b32 s12, exec_lo
                                        ; implicit-def: $sgpr11
	s_waitcnt vmcnt(0)
	v_cmpx_lt_i16_e32 0x7f, v6
	s_xor_b32 s12, exec_lo, s12
	s_cbranch_execz .LBB19_1427
; %bb.1408:
	s_mov_b32 s10, -1
	s_mov_b32 s13, exec_lo
                                        ; implicit-def: $sgpr11
	v_cmpx_eq_u16_e32 0x80, v6
; %bb.1409:
	s_mov_b32 s11, 0x7f800001
	s_xor_b32 s10, exec_lo, -1
; %bb.1410:
	s_or_b32 exec_lo, exec_lo, s13
	s_delay_alu instid0(SALU_CYCLE_1)
	s_and_b32 s10, s10, exec_lo
	s_or_saveexec_b32 s12, s12
	v_mov_b32_e32 v10, s11
	s_xor_b32 exec_lo, exec_lo, s12
	s_cbranch_execnz .LBB19_1428
.LBB19_1411:
	s_or_b32 exec_lo, exec_lo, s12
	s_and_saveexec_b32 s11, s10
	s_cbranch_execz .LBB19_1413
.LBB19_1412:
	v_and_b32_e32 v10, 0xffff, v6
	v_lshlrev_b32_e32 v6, 24, v6
	s_delay_alu instid0(VALU_DEP_2) | instskip(NEXT) | instid1(VALU_DEP_2)
	v_and_b32_e32 v12, 7, v10
	v_and_b32_e32 v6, 0x80000000, v6
	s_delay_alu instid0(VALU_DEP_2) | instskip(NEXT) | instid1(VALU_DEP_1)
	v_clz_i32_u32_e32 v13, v12
	v_min_u32_e32 v13, 32, v13
	s_delay_alu instid0(VALU_DEP_1) | instskip(SKIP_1) | instid1(VALU_DEP_2)
	v_subrev_nc_u32_e32 v14, 28, v13
	v_sub_nc_u32_e32 v13, 29, v13
	v_lshlrev_b32_e32 v14, v14, v10
	v_bfe_u32 v10, v10, 3, 4
	s_delay_alu instid0(VALU_DEP_2) | instskip(NEXT) | instid1(VALU_DEP_2)
	v_and_b32_e32 v14, 7, v14
	v_cmp_eq_u32_e32 vcc_lo, 0, v10
	v_cndmask_b32_e32 v10, v10, v13, vcc_lo
	s_delay_alu instid0(VALU_DEP_3) | instskip(NEXT) | instid1(VALU_DEP_2)
	v_cndmask_b32_e32 v12, v12, v14, vcc_lo
	v_lshl_add_u32 v10, v10, 23, 0x3b800000
	s_delay_alu instid0(VALU_DEP_2) | instskip(NEXT) | instid1(VALU_DEP_1)
	v_lshlrev_b32_e32 v12, 20, v12
	v_or3_b32 v10, v6, v10, v12
.LBB19_1413:
	s_or_b32 exec_lo, exec_lo, s11
.LBB19_1414:
	s_mov_b32 s10, -1
.LBB19_1415:
	s_branch .LBB19_1448
.LBB19_1416:
	v_cmp_lt_i16_e32 vcc_lo, 22, v11
	s_cbranch_vccz .LBB19_1426
; %bb.1417:
	v_cmp_gt_i16_e32 vcc_lo, 24, v11
	s_cbranch_vccnz .LBB19_1429
; %bb.1418:
	v_cmp_lt_i16_e32 vcc_lo, 24, v11
	s_cbranch_vccz .LBB19_1430
; %bb.1419:
	global_load_u8 v6, v[8:9], off
	s_mov_b32 s11, exec_lo
                                        ; implicit-def: $sgpr10
	s_waitcnt vmcnt(0)
	v_cmpx_lt_i16_e32 0x7f, v6
	s_xor_b32 s11, exec_lo, s11
	s_cbranch_execz .LBB19_1442
; %bb.1420:
	s_mov_b32 s3, -1
	s_mov_b32 s12, exec_lo
                                        ; implicit-def: $sgpr10
	v_cmpx_eq_u16_e32 0x80, v6
; %bb.1421:
	s_mov_b32 s10, 0x7f800001
	s_xor_b32 s3, exec_lo, -1
; %bb.1422:
	s_or_b32 exec_lo, exec_lo, s12
	s_delay_alu instid0(SALU_CYCLE_1)
	s_and_b32 s3, s3, exec_lo
	s_or_saveexec_b32 s11, s11
	v_mov_b32_e32 v10, s10
	s_xor_b32 exec_lo, exec_lo, s11
	s_cbranch_execnz .LBB19_1443
.LBB19_1423:
	s_or_b32 exec_lo, exec_lo, s11
	s_and_saveexec_b32 s10, s3
	s_cbranch_execz .LBB19_1425
.LBB19_1424:
	v_and_b32_e32 v10, 0xffff, v6
	v_lshlrev_b32_e32 v6, 24, v6
	s_delay_alu instid0(VALU_DEP_2) | instskip(NEXT) | instid1(VALU_DEP_2)
	v_and_b32_e32 v12, 3, v10
	v_and_b32_e32 v6, 0x80000000, v6
	s_delay_alu instid0(VALU_DEP_2) | instskip(NEXT) | instid1(VALU_DEP_1)
	v_clz_i32_u32_e32 v13, v12
	v_min_u32_e32 v13, 32, v13
	s_delay_alu instid0(VALU_DEP_1) | instskip(SKIP_1) | instid1(VALU_DEP_2)
	v_subrev_nc_u32_e32 v14, 29, v13
	v_sub_nc_u32_e32 v13, 30, v13
	v_lshlrev_b32_e32 v14, v14, v10
	v_bfe_u32 v10, v10, 2, 5
	s_delay_alu instid0(VALU_DEP_2) | instskip(NEXT) | instid1(VALU_DEP_2)
	v_and_b32_e32 v14, 3, v14
	v_cmp_eq_u32_e32 vcc_lo, 0, v10
	v_cndmask_b32_e32 v10, v10, v13, vcc_lo
	s_delay_alu instid0(VALU_DEP_3) | instskip(NEXT) | instid1(VALU_DEP_2)
	v_cndmask_b32_e32 v12, v12, v14, vcc_lo
	v_lshl_add_u32 v10, v10, 23, 0x37800000
	s_delay_alu instid0(VALU_DEP_2) | instskip(NEXT) | instid1(VALU_DEP_1)
	v_lshlrev_b32_e32 v12, 21, v12
	v_or3_b32 v10, v6, v10, v12
.LBB19_1425:
	s_or_b32 exec_lo, exec_lo, s10
	s_mov_b32 s3, 0
	s_branch .LBB19_1431
.LBB19_1426:
	s_mov_b32 s3, -1
                                        ; implicit-def: $vgpr10
	s_branch .LBB19_1437
.LBB19_1427:
	s_or_saveexec_b32 s12, s12
	v_mov_b32_e32 v10, s11
	s_xor_b32 exec_lo, exec_lo, s12
	s_cbranch_execz .LBB19_1411
.LBB19_1428:
	v_cmp_ne_u16_e32 vcc_lo, 0, v6
	v_mov_b32_e32 v10, 0
	s_and_not1_b32 s10, s10, exec_lo
	s_and_b32 s11, vcc_lo, exec_lo
	s_delay_alu instid0(SALU_CYCLE_1)
	s_or_b32 s10, s10, s11
	s_or_b32 exec_lo, exec_lo, s12
	s_and_saveexec_b32 s11, s10
	s_cbranch_execnz .LBB19_1412
	s_branch .LBB19_1413
.LBB19_1429:
	s_mov_b32 s3, -1
                                        ; implicit-def: $vgpr10
	s_branch .LBB19_1434
.LBB19_1430:
	s_mov_b32 s3, -1
                                        ; implicit-def: $vgpr10
.LBB19_1431:
	s_delay_alu instid0(SALU_CYCLE_1)
	s_and_b32 vcc_lo, exec_lo, s3
	s_cbranch_vccz .LBB19_1433
; %bb.1432:
	global_load_u8 v6, v[8:9], off
	s_waitcnt vmcnt(0)
	v_lshlrev_b32_e32 v6, 24, v6
	s_delay_alu instid0(VALU_DEP_1) | instskip(NEXT) | instid1(VALU_DEP_1)
	v_and_b32_e32 v10, 0x7f000000, v6
	v_clz_i32_u32_e32 v12, v10
	v_cmp_ne_u32_e32 vcc_lo, 0, v10
	v_add_nc_u32_e32 v14, 0x1000000, v10
	s_delay_alu instid0(VALU_DEP_3) | instskip(NEXT) | instid1(VALU_DEP_1)
	v_min_u32_e32 v12, 32, v12
	v_sub_nc_u32_e64 v12, v12, 4 clamp
	s_delay_alu instid0(VALU_DEP_1) | instskip(SKIP_1) | instid1(VALU_DEP_2)
	v_lshlrev_b32_e32 v13, v12, v10
	v_lshlrev_b32_e32 v12, 23, v12
	v_lshrrev_b32_e32 v13, 4, v13
	s_delay_alu instid0(VALU_DEP_1) | instskip(SKIP_1) | instid1(VALU_DEP_2)
	v_sub_nc_u32_e32 v12, v13, v12
	v_ashrrev_i32_e32 v13, 8, v14
	v_add_nc_u32_e32 v12, 0x3c000000, v12
	s_delay_alu instid0(VALU_DEP_1) | instskip(NEXT) | instid1(VALU_DEP_1)
	v_and_or_b32 v12, 0x7f800000, v13, v12
	v_cndmask_b32_e32 v10, 0, v12, vcc_lo
	s_delay_alu instid0(VALU_DEP_1)
	v_and_or_b32 v10, 0x80000000, v6, v10
.LBB19_1433:
	s_mov_b32 s3, 0
.LBB19_1434:
	s_delay_alu instid0(SALU_CYCLE_1)
	s_and_not1_b32 vcc_lo, exec_lo, s3
	s_cbranch_vccnz .LBB19_1436
; %bb.1435:
	global_load_u8 v6, v[8:9], off
	s_waitcnt vmcnt(0)
	v_lshlrev_b32_e32 v10, 25, v6
	v_lshlrev_b16 v6, 8, v6
	s_delay_alu instid0(VALU_DEP_1) | instskip(SKIP_1) | instid1(VALU_DEP_2)
	v_and_or_b32 v13, 0x7f00, v6, 0.5
	v_bfe_i32 v6, v6, 0, 16
	v_add_f32_e32 v13, -0.5, v13
	v_lshrrev_b32_e32 v12, 4, v10
	v_cmp_gt_u32_e32 vcc_lo, 0x8000000, v10
	s_delay_alu instid0(VALU_DEP_2) | instskip(NEXT) | instid1(VALU_DEP_1)
	v_or_b32_e32 v12, 0x70000000, v12
	v_mul_f32_e32 v12, 0x7800000, v12
	s_delay_alu instid0(VALU_DEP_1) | instskip(NEXT) | instid1(VALU_DEP_1)
	v_cndmask_b32_e32 v10, v12, v13, vcc_lo
	v_and_or_b32 v10, 0x80000000, v6, v10
.LBB19_1436:
	s_mov_b32 s3, 0
	s_mov_b32 s10, -1
.LBB19_1437:
	s_and_not1_b32 vcc_lo, exec_lo, s3
	s_mov_b32 s3, 0
	s_cbranch_vccnz .LBB19_1448
; %bb.1438:
	v_cmp_lt_i16_e32 vcc_lo, 14, v11
	s_cbranch_vccz .LBB19_1441
; %bb.1439:
	v_cmp_eq_u16_e32 vcc_lo, 15, v11
	s_cbranch_vccz .LBB19_1444
; %bb.1440:
	global_load_u16 v6, v[8:9], off
	s_mov_b32 s0, 0
	s_mov_b32 s10, -1
	s_waitcnt vmcnt(0)
	v_lshlrev_b32_e32 v10, 16, v6
	s_branch .LBB19_1446
.LBB19_1441:
	s_mov_b32 s3, -1
	s_branch .LBB19_1445
.LBB19_1442:
	s_or_saveexec_b32 s11, s11
	v_mov_b32_e32 v10, s10
	s_xor_b32 exec_lo, exec_lo, s11
	s_cbranch_execz .LBB19_1423
.LBB19_1443:
	v_cmp_ne_u16_e32 vcc_lo, 0, v6
	v_mov_b32_e32 v10, 0
	s_and_not1_b32 s3, s3, exec_lo
	s_and_b32 s10, vcc_lo, exec_lo
	s_delay_alu instid0(SALU_CYCLE_1)
	s_or_b32 s3, s3, s10
	s_or_b32 exec_lo, exec_lo, s11
	s_and_saveexec_b32 s10, s3
	s_cbranch_execnz .LBB19_1424
	s_branch .LBB19_1425
.LBB19_1444:
	s_mov_b32 s0, -1
.LBB19_1445:
                                        ; implicit-def: $vgpr10
.LBB19_1446:
	s_and_b32 vcc_lo, exec_lo, s3
	s_mov_b32 s3, 0
	s_cbranch_vccz .LBB19_1448
; %bb.1447:
	v_cmp_ne_u16_e64 s0, 11, v11
	s_mov_b32 s3, -1
                                        ; implicit-def: $vgpr10
.LBB19_1448:
	s_delay_alu instid0(VALU_DEP_1)
	s_and_b32 vcc_lo, exec_lo, s0
	s_cbranch_vccnz .LBB19_1484
; %bb.1449:
	s_and_not1_b32 vcc_lo, exec_lo, s3
	s_cbranch_vccnz .LBB19_1451
.LBB19_1450:
	global_load_u8 v6, v[8:9], off
	s_mov_b32 s10, -1
	s_waitcnt vmcnt(0)
	v_cmp_ne_u16_e32 vcc_lo, 0, v6
	v_cndmask_b32_e64 v10, 0, 1.0, vcc_lo
.LBB19_1451:
.LBB19_1452:
	s_and_not1_b32 vcc_lo, exec_lo, s10
	s_cbranch_vccnz .LBB19_2186
.LBB19_1453:
	s_waitcnt vmcnt(0)
	s_delay_alu instid0(VALU_DEP_1) | instskip(NEXT) | instid1(VALU_DEP_1)
	v_cmp_ge_f32_e64 s0, 0x41000000, |v10|
                                        ; implicit-def: $vgpr6
	s_and_saveexec_b32 s3, s0
	s_delay_alu instid0(SALU_CYCLE_1)
	s_xor_b32 s0, exec_lo, s3
	s_cbranch_execz .LBB19_1459
; %bb.1454:
	v_fma_f32 v6, |v10|, 0.5, -2.0
	s_mov_b32 s3, 0x224cf950
	s_delay_alu instid0(VALU_DEP_1) | instid1(SALU_CYCLE_1)
	v_fmaak_f32 v8, s3, v6, 0xa3c2be86
	s_mov_b32 s3, exec_lo
	s_delay_alu instid0(VALU_DEP_1) | instskip(NEXT) | instid1(VALU_DEP_1)
	v_fmaak_f32 v9, v6, v8, 0xa24cf950
	v_add_f32_e32 v9, 0x25331f1f, v9
	s_delay_alu instid0(VALU_DEP_1) | instskip(NEXT) | instid1(VALU_DEP_1)
	v_fma_f32 v8, v6, v9, -v8
	v_add_f32_e32 v8, 0xa69f5554, v8
	s_delay_alu instid0(VALU_DEP_1) | instskip(NEXT) | instid1(VALU_DEP_1)
	v_fma_f32 v9, v6, v8, -v9
	;; [unrolled: 3-line block ×26, first 2 shown]
	v_add_f32_e32 v6, 0x3e81531c, v6
	s_delay_alu instid0(VALU_DEP_1)
	v_sub_f32_e32 v8, v6, v9
                                        ; implicit-def: $vgpr6
	v_cmpx_ngt_f32_e32 0, v10
	s_xor_b32 s3, exec_lo, s3
	s_cbranch_execz .LBB19_1456
; %bb.1455:
	v_mul_f32_e64 v6, 0x3fb8aa3b, |v10|
	v_cmp_ngt_f32_e64 vcc_lo, 0xc2ce8ed0, |v10|
	v_mul_f32_e32 v8, 0.5, v8
	s_delay_alu instid0(VALU_DEP_3) | instskip(SKIP_1) | instid1(VALU_DEP_3)
	v_rndne_f32_e32 v9, v6
	v_fma_f32 v12, 0x3fb8aa3b, |v10|, -v6
	v_mul_f32_e64 v8, |v10|, v8
	s_delay_alu instid0(VALU_DEP_3) | instskip(NEXT) | instid1(VALU_DEP_3)
	v_sub_f32_e32 v6, v6, v9
	v_fma_f32 v12, 0x32a5705f, |v10|, v12
	v_cvt_i32_f32_e32 v9, v9
	s_delay_alu instid0(VALU_DEP_2) | instskip(NEXT) | instid1(VALU_DEP_1)
	v_add_f32_e32 v6, v6, v12
	v_exp_f32_e32 v6, v6
	s_waitcnt_depctr 0xfff
	v_ldexp_f32 v6, v6, v9
	s_delay_alu instid0(VALU_DEP_1) | instskip(SKIP_1) | instid1(VALU_DEP_2)
	v_cndmask_b32_e32 v6, 0, v6, vcc_lo
	v_cmp_nlt_f32_e64 vcc_lo, 0x42b17218, |v10|
                                        ; implicit-def: $vgpr10
	v_cndmask_b32_e32 v6, 0x7f800000, v6, vcc_lo
	s_delay_alu instid0(VALU_DEP_1)
	v_mul_f32_e32 v6, v6, v8
                                        ; implicit-def: $vgpr8
.LBB19_1456:
	s_and_not1_saveexec_b32 s3, s3
	s_cbranch_execz .LBB19_1458
; %bb.1457:
	v_mul_f32_e64 v6, 0x3fb8aa3b, |v10|
	v_cmp_ngt_f32_e64 vcc_lo, 0xc2ce8ed0, |v10|
	v_mul_f32_e32 v8, -0.5, v8
	s_delay_alu instid0(VALU_DEP_3) | instskip(SKIP_1) | instid1(VALU_DEP_3)
	v_rndne_f32_e32 v9, v6
	v_fma_f32 v12, 0x3fb8aa3b, |v10|, -v6
	v_mul_f32_e64 v8, |v10|, v8
	s_delay_alu instid0(VALU_DEP_3) | instskip(NEXT) | instid1(VALU_DEP_3)
	v_sub_f32_e32 v6, v6, v9
	v_fma_f32 v12, 0x32a5705f, |v10|, v12
	v_cvt_i32_f32_e32 v9, v9
	s_delay_alu instid0(VALU_DEP_2) | instskip(NEXT) | instid1(VALU_DEP_1)
	v_add_f32_e32 v6, v6, v12
	v_exp_f32_e32 v6, v6
	s_waitcnt_depctr 0xfff
	v_ldexp_f32 v6, v6, v9
	s_delay_alu instid0(VALU_DEP_1) | instskip(SKIP_1) | instid1(VALU_DEP_2)
	v_cndmask_b32_e32 v6, 0, v6, vcc_lo
	v_cmp_nlt_f32_e64 vcc_lo, 0x42b17218, |v10|
	v_cndmask_b32_e32 v6, 0x7f800000, v6, vcc_lo
	s_delay_alu instid0(VALU_DEP_1)
	v_mul_f32_e32 v6, v6, v8
.LBB19_1458:
	s_or_b32 exec_lo, exec_lo, s3
                                        ; implicit-def: $vgpr10
.LBB19_1459:
	s_and_not1_saveexec_b32 s3, s0
	s_cbranch_execz .LBB19_1465
; %bb.1460:
	v_and_b32_e32 v6, 0x7fffffff, v10
	s_mov_b32 s0, 0x230aab6e
	s_delay_alu instid0(VALU_DEP_1) | instskip(NEXT) | instid1(VALU_DEP_1)
	v_div_scale_f32 v8, null, v6, v6, 0x42000000
	v_rcp_f32_e32 v9, v8
	s_waitcnt_depctr 0xfff
	v_fma_f32 v12, -v8, v9, 1.0
	s_delay_alu instid0(VALU_DEP_1) | instskip(SKIP_1) | instid1(VALU_DEP_1)
	v_fmac_f32_e32 v9, v12, v9
	v_div_scale_f32 v6, vcc_lo, 0x42000000, v6, 0x42000000
	v_mul_f32_e32 v12, v6, v9
	s_delay_alu instid0(VALU_DEP_1) | instskip(NEXT) | instid1(VALU_DEP_1)
	v_fma_f32 v13, -v8, v12, v6
	v_fmac_f32_e32 v12, v13, v9
	s_delay_alu instid0(VALU_DEP_1) | instskip(NEXT) | instid1(VALU_DEP_1)
	v_fma_f32 v6, -v8, v12, v6
	v_div_fmas_f32 v6, v6, v9, v12
	v_mul_f32_e64 v12, 0x3fb8aa3b, |v10|
	v_cmp_ngt_f32_e64 vcc_lo, 0xc2ce8ed0, |v10|
	s_delay_alu instid0(VALU_DEP_3) | instskip(NEXT) | instid1(VALU_DEP_3)
	v_div_fixup_f32 v6, v6, |v10|, 0x42000000
	v_rndne_f32_e32 v13, v12
	v_fma_f32 v14, 0x3fb8aa3b, |v10|, -v12
	s_delay_alu instid0(VALU_DEP_3) | instskip(NEXT) | instid1(VALU_DEP_3)
	v_add_f32_e32 v6, -2.0, v6
	v_sub_f32_e32 v12, v12, v13
	s_delay_alu instid0(VALU_DEP_3) | instskip(SKIP_1) | instid1(VALU_DEP_4)
	v_fma_f32 v14, 0x32a5705f, |v10|, v14
	v_cvt_i32_f32_e32 v13, v13
	v_fmaak_f32 v8, s0, v6, 0x22a2dc57
	v_cmp_nlt_f32_e64 s0, 0x42b17218, |v10|
	s_delay_alu instid0(VALU_DEP_2) | instskip(NEXT) | instid1(VALU_DEP_1)
	v_dual_add_f32 v12, v12, v14 :: v_dual_fmaak_f32 v9, v6, v8, 0xa30aab6e
	v_exp_f32_e32 v12, v12
	s_delay_alu instid0(VALU_DEP_1) | instskip(NEXT) | instid1(VALU_DEP_1)
	v_add_f32_e32 v9, 0xa456751e, v9
	v_fma_f32 v8, v6, v9, -v8
	s_delay_alu instid0(VALU_DEP_1) | instskip(NEXT) | instid1(VALU_DEP_1)
	v_add_f32_e32 v8, 0xa4140365, v8
	v_fma_f32 v9, v6, v8, -v9
	;; [unrolled: 3-line block ×22, first 2 shown]
	v_ldexp_f32 v8, v12, v13
	v_mul_f32_e64 v12, 0x4f800000, |v10|
	s_delay_alu instid0(VALU_DEP_3) | instskip(NEXT) | instid1(VALU_DEP_3)
	v_add_f32_e32 v6, 0x3f4750c6, v6
	v_cndmask_b32_e32 v8, 0, v8, vcc_lo
	s_delay_alu instid0(VALU_DEP_2) | instskip(NEXT) | instid1(VALU_DEP_2)
	v_sub_f32_e32 v6, v6, v9
	v_cndmask_b32_e64 v8, 0x7f800000, v8, s0
	s_mov_b32 s0, exec_lo
	s_delay_alu instid0(VALU_DEP_2)
	v_mul_f32_e32 v9, 0.5, v6
                                        ; implicit-def: $vgpr6
	v_cmpx_ngt_f32_e32 0, v10
	s_xor_b32 s10, exec_lo, s0
	s_cbranch_execz .LBB19_1462
; %bb.1461:
	v_cmp_gt_f32_e64 vcc_lo, 0xf800000, |v10|
	v_mul_f32_e32 v8, v8, v9
	s_delay_alu instid0(VALU_DEP_2) | instskip(NEXT) | instid1(VALU_DEP_1)
	v_cndmask_b32_e64 v6, |v10|, v12, vcc_lo
	v_sqrt_f32_e32 v10, v6
	s_waitcnt_depctr 0xfff
	v_add_nc_u32_e32 v12, -1, v10
	v_add_nc_u32_e32 v13, 1, v10
	s_delay_alu instid0(VALU_DEP_2) | instskip(NEXT) | instid1(VALU_DEP_2)
	v_fma_f32 v14, -v12, v10, v6
	v_fma_f32 v15, -v13, v10, v6
	s_delay_alu instid0(VALU_DEP_2) | instskip(NEXT) | instid1(VALU_DEP_1)
	v_cmp_ge_f32_e64 s0, 0, v14
	v_cndmask_b32_e64 v10, v10, v12, s0
	s_delay_alu instid0(VALU_DEP_3) | instskip(NEXT) | instid1(VALU_DEP_1)
	v_cmp_lt_f32_e64 s0, 0, v15
	v_cndmask_b32_e64 v10, v10, v13, s0
	s_delay_alu instid0(VALU_DEP_1) | instskip(NEXT) | instid1(VALU_DEP_1)
	v_mul_f32_e32 v12, 0x37800000, v10
	v_cndmask_b32_e32 v10, v10, v12, vcc_lo
	v_cmp_class_f32_e64 vcc_lo, v6, 0x260
	s_delay_alu instid0(VALU_DEP_2) | instskip(NEXT) | instid1(VALU_DEP_1)
	v_cndmask_b32_e32 v6, v10, v6, vcc_lo
	v_div_scale_f32 v9, null, v6, v6, v8
	s_delay_alu instid0(VALU_DEP_1) | instskip(SKIP_2) | instid1(VALU_DEP_1)
	v_rcp_f32_e32 v10, v9
	s_waitcnt_depctr 0xfff
	v_fma_f32 v12, -v9, v10, 1.0
	v_fmac_f32_e32 v10, v12, v10
	v_div_scale_f32 v12, vcc_lo, v8, v6, v8
	s_delay_alu instid0(VALU_DEP_1) | instskip(NEXT) | instid1(VALU_DEP_1)
	v_mul_f32_e32 v13, v12, v10
	v_fma_f32 v14, -v9, v13, v12
	s_delay_alu instid0(VALU_DEP_1) | instskip(NEXT) | instid1(VALU_DEP_1)
	v_fmac_f32_e32 v13, v14, v10
	v_fma_f32 v9, -v9, v13, v12
                                        ; implicit-def: $vgpr12
	s_delay_alu instid0(VALU_DEP_1) | instskip(NEXT) | instid1(VALU_DEP_1)
	v_div_fmas_f32 v9, v9, v10, v13
                                        ; implicit-def: $vgpr10
	v_div_fixup_f32 v6, v9, v6, v8
                                        ; implicit-def: $vgpr8
                                        ; implicit-def: $vgpr9
.LBB19_1462:
	s_and_not1_saveexec_b32 s10, s10
	s_cbranch_execz .LBB19_1464
; %bb.1463:
	v_cmp_gt_f32_e64 vcc_lo, 0xf800000, |v10|
	v_mul_f32_e64 v8, v9, -v8
	s_delay_alu instid0(VALU_DEP_2) | instskip(NEXT) | instid1(VALU_DEP_1)
	v_cndmask_b32_e64 v6, |v10|, v12, vcc_lo
	v_sqrt_f32_e32 v10, v6
	s_waitcnt_depctr 0xfff
	v_add_nc_u32_e32 v12, -1, v10
	v_add_nc_u32_e32 v13, 1, v10
	s_delay_alu instid0(VALU_DEP_2) | instskip(NEXT) | instid1(VALU_DEP_2)
	v_fma_f32 v14, -v12, v10, v6
	v_fma_f32 v15, -v13, v10, v6
	s_delay_alu instid0(VALU_DEP_2) | instskip(NEXT) | instid1(VALU_DEP_1)
	v_cmp_ge_f32_e64 s0, 0, v14
	v_cndmask_b32_e64 v10, v10, v12, s0
	s_delay_alu instid0(VALU_DEP_3) | instskip(NEXT) | instid1(VALU_DEP_1)
	v_cmp_lt_f32_e64 s0, 0, v15
	v_cndmask_b32_e64 v10, v10, v13, s0
	s_delay_alu instid0(VALU_DEP_1) | instskip(NEXT) | instid1(VALU_DEP_1)
	v_mul_f32_e32 v12, 0x37800000, v10
	v_cndmask_b32_e32 v10, v10, v12, vcc_lo
	v_cmp_class_f32_e64 vcc_lo, v6, 0x260
	s_delay_alu instid0(VALU_DEP_2) | instskip(NEXT) | instid1(VALU_DEP_1)
	v_cndmask_b32_e32 v6, v10, v6, vcc_lo
	v_div_scale_f32 v9, null, v6, v6, v8
	s_delay_alu instid0(VALU_DEP_1) | instskip(SKIP_2) | instid1(VALU_DEP_1)
	v_rcp_f32_e32 v10, v9
	s_waitcnt_depctr 0xfff
	v_fma_f32 v12, -v9, v10, 1.0
	v_fmac_f32_e32 v10, v12, v10
	v_div_scale_f32 v12, vcc_lo, v8, v6, v8
	s_delay_alu instid0(VALU_DEP_1) | instskip(NEXT) | instid1(VALU_DEP_1)
	v_mul_f32_e32 v13, v12, v10
	v_fma_f32 v14, -v9, v13, v12
	s_delay_alu instid0(VALU_DEP_1) | instskip(NEXT) | instid1(VALU_DEP_1)
	v_fmac_f32_e32 v13, v14, v10
	v_fma_f32 v9, -v9, v13, v12
	s_delay_alu instid0(VALU_DEP_1) | instskip(NEXT) | instid1(VALU_DEP_1)
	v_div_fmas_f32 v9, v9, v10, v13
	v_div_fixup_f32 v6, v9, v6, v8
.LBB19_1464:
	s_or_b32 exec_lo, exec_lo, s10
.LBB19_1465:
	s_delay_alu instid0(SALU_CYCLE_1) | instskip(SKIP_2) | instid1(VALU_DEP_1)
	s_or_b32 exec_lo, exec_lo, s3
	v_cmp_gt_i16_e32 vcc_lo, 11, v11
	v_add_co_u32 v7, s0, s6, v7
	v_add_co_ci_u32_e64 v8, null, s7, 0, s0
	s_mov_b32 s10, 0
	s_cbranch_vccnz .LBB19_1472
; %bb.1466:
	v_cmp_lt_i16_e32 vcc_lo, 25, v11
	s_mov_b32 s3, 0
	s_cbranch_vccz .LBB19_1478
; %bb.1467:
	v_cmp_lt_i16_e32 vcc_lo, 28, v11
	s_cbranch_vccz .LBB19_1480
; %bb.1468:
	v_cmp_lt_i16_e32 vcc_lo, 43, v11
	;; [unrolled: 3-line block ×3, first 2 shown]
	s_cbranch_vccz .LBB19_1486
; %bb.1470:
	v_cmp_eq_u16_e32 vcc_lo, 46, v11
	s_mov_b32 s11, 0
	s_cbranch_vccz .LBB19_1529
; %bb.1471:
	global_load_b32 v9, v[7:8], off
	s_mov_b32 s0, 0
	s_mov_b32 s10, -1
	s_waitcnt vmcnt(0)
	v_lshlrev_b32_e32 v9, 16, v9
	s_branch .LBB19_1531
.LBB19_1472:
                                        ; implicit-def: $vgpr9
	s_cbranch_execz .LBB19_1597
; %bb.1473:
	v_cmp_gt_i16_e32 vcc_lo, 5, v11
	s_cbranch_vccnz .LBB19_1479
; %bb.1474:
	v_cmp_gt_i16_e32 vcc_lo, 8, v11
	s_cbranch_vccnz .LBB19_1481
; %bb.1475:
	v_cmp_gt_i16_e32 vcc_lo, 9, v11
	s_cbranch_vccnz .LBB19_1483
; %bb.1476:
	v_cmp_lt_i16_e32 vcc_lo, 9, v11
	s_cbranch_vccz .LBB19_1487
; %bb.1477:
	global_load_b64 v[9:10], v[7:8], off
	s_mov_b32 s0, 0
	s_waitcnt vmcnt(0)
	v_cvt_f32_f64_e32 v9, v[9:10]
	s_branch .LBB19_1488
.LBB19_1478:
	s_mov_b32 s11, -1
	s_mov_b32 s0, 0
                                        ; implicit-def: $vgpr9
	s_branch .LBB19_1560
.LBB19_1479:
	s_mov_b32 s0, -1
                                        ; implicit-def: $vgpr9
	s_branch .LBB19_1506
.LBB19_1480:
	s_mov_b32 s11, -1
	s_mov_b32 s0, 0
                                        ; implicit-def: $vgpr9
	s_branch .LBB19_1541
.LBB19_1481:
	s_mov_b32 s0, -1
                                        ; implicit-def: $vgpr9
	s_branch .LBB19_1494
.LBB19_1482:
	s_mov_b32 s11, -1
	s_mov_b32 s0, 0
                                        ; implicit-def: $vgpr9
	s_branch .LBB19_1536
.LBB19_1483:
	s_mov_b32 s0, -1
                                        ; implicit-def: $vgpr9
	s_branch .LBB19_1491
.LBB19_1484:
	s_cbranch_execnz .LBB19_1527
; %bb.1485:
	s_or_b32 s1, s1, exec_lo
                                        ; implicit-def: $vgpr10
	s_cbranch_execz .LBB19_1450
	s_branch .LBB19_1451
.LBB19_1486:
	s_mov_b32 s11, -1
	s_mov_b32 s0, 0
	s_branch .LBB19_1530
.LBB19_1487:
	s_mov_b32 s0, -1
                                        ; implicit-def: $vgpr9
.LBB19_1488:
	s_delay_alu instid0(SALU_CYCLE_1)
	s_and_not1_b32 vcc_lo, exec_lo, s0
	s_cbranch_vccnz .LBB19_1490
; %bb.1489:
	global_load_b32 v9, v[7:8], off
.LBB19_1490:
	s_mov_b32 s0, 0
.LBB19_1491:
	s_delay_alu instid0(SALU_CYCLE_1)
	s_and_not1_b32 vcc_lo, exec_lo, s0
	s_cbranch_vccnz .LBB19_1493
; %bb.1492:
	global_load_b32 v9, v[7:8], off
	s_waitcnt vmcnt(0)
	v_cvt_f32_f16_e32 v9, v9
.LBB19_1493:
	s_mov_b32 s0, 0
.LBB19_1494:
	s_delay_alu instid0(SALU_CYCLE_1)
	s_and_not1_b32 vcc_lo, exec_lo, s0
	s_cbranch_vccnz .LBB19_1505
; %bb.1495:
	v_cmp_gt_i16_e32 vcc_lo, 6, v11
	s_cbranch_vccnz .LBB19_1498
; %bb.1496:
	v_cmp_lt_i16_e32 vcc_lo, 6, v11
	s_cbranch_vccz .LBB19_1499
; %bb.1497:
	global_load_b64 v[9:10], v[7:8], off
	s_mov_b32 s0, 0
	s_waitcnt vmcnt(0)
	v_cvt_f32_f64_e32 v9, v[9:10]
	s_branch .LBB19_1500
.LBB19_1498:
	s_mov_b32 s0, -1
                                        ; implicit-def: $vgpr9
	s_branch .LBB19_1503
.LBB19_1499:
	s_mov_b32 s0, -1
                                        ; implicit-def: $vgpr9
.LBB19_1500:
	s_delay_alu instid0(SALU_CYCLE_1)
	s_and_not1_b32 vcc_lo, exec_lo, s0
	s_cbranch_vccnz .LBB19_1502
; %bb.1501:
	global_load_b32 v9, v[7:8], off
.LBB19_1502:
	s_mov_b32 s0, 0
.LBB19_1503:
	s_delay_alu instid0(SALU_CYCLE_1)
	s_and_not1_b32 vcc_lo, exec_lo, s0
	s_cbranch_vccnz .LBB19_1505
; %bb.1504:
	global_load_u16 v9, v[7:8], off
	s_waitcnt vmcnt(0)
	v_cvt_f32_f16_e32 v9, v9
.LBB19_1505:
	s_mov_b32 s0, 0
.LBB19_1506:
	s_delay_alu instid0(SALU_CYCLE_1)
	s_and_not1_b32 vcc_lo, exec_lo, s0
	s_cbranch_vccnz .LBB19_1526
; %bb.1507:
	v_cmp_gt_i16_e32 vcc_lo, 2, v11
	s_cbranch_vccnz .LBB19_1511
; %bb.1508:
	v_cmp_gt_i16_e32 vcc_lo, 3, v11
	s_cbranch_vccnz .LBB19_1512
; %bb.1509:
	v_cmp_lt_i16_e32 vcc_lo, 3, v11
	s_cbranch_vccz .LBB19_1513
; %bb.1510:
	global_load_b64 v[9:10], v[7:8], off
	s_mov_b32 s0, 0
	s_waitcnt vmcnt(0)
	v_xor_b32_e32 v12, v9, v10
	v_cls_i32_e32 v13, v10
	s_delay_alu instid0(VALU_DEP_2) | instskip(NEXT) | instid1(VALU_DEP_2)
	v_ashrrev_i32_e32 v12, 31, v12
	v_add_nc_u32_e32 v13, -1, v13
	s_delay_alu instid0(VALU_DEP_2) | instskip(NEXT) | instid1(VALU_DEP_1)
	v_add_nc_u32_e32 v12, 32, v12
	v_min_u32_e32 v12, v13, v12
	s_delay_alu instid0(VALU_DEP_1) | instskip(NEXT) | instid1(VALU_DEP_1)
	v_lshlrev_b64 v[9:10], v12, v[9:10]
	v_min_u32_e32 v9, 1, v9
	s_delay_alu instid0(VALU_DEP_1) | instskip(SKIP_1) | instid1(VALU_DEP_2)
	v_or_b32_e32 v9, v10, v9
	v_sub_nc_u32_e32 v10, 32, v12
	v_cvt_f32_i32_e32 v9, v9
	s_delay_alu instid0(VALU_DEP_1)
	v_ldexp_f32 v9, v9, v10
	s_branch .LBB19_1514
.LBB19_1511:
	s_mov_b32 s0, -1
                                        ; implicit-def: $vgpr9
	s_branch .LBB19_1520
.LBB19_1512:
	s_mov_b32 s0, -1
                                        ; implicit-def: $vgpr9
	s_branch .LBB19_1517
.LBB19_1513:
	s_mov_b32 s0, -1
                                        ; implicit-def: $vgpr9
.LBB19_1514:
	s_delay_alu instid0(SALU_CYCLE_1)
	s_and_not1_b32 vcc_lo, exec_lo, s0
	s_cbranch_vccnz .LBB19_1516
; %bb.1515:
	global_load_b32 v9, v[7:8], off
	s_waitcnt vmcnt(0)
	v_cvt_f32_i32_e32 v9, v9
.LBB19_1516:
	s_mov_b32 s0, 0
.LBB19_1517:
	s_delay_alu instid0(SALU_CYCLE_1)
	s_and_not1_b32 vcc_lo, exec_lo, s0
	s_cbranch_vccnz .LBB19_1519
; %bb.1518:
	global_load_i16 v9, v[7:8], off
	s_waitcnt vmcnt(0)
	v_cvt_f32_i32_e32 v9, v9
.LBB19_1519:
	s_mov_b32 s0, 0
.LBB19_1520:
	s_delay_alu instid0(SALU_CYCLE_1)
	s_and_not1_b32 vcc_lo, exec_lo, s0
	s_cbranch_vccnz .LBB19_1526
; %bb.1521:
	v_cmp_lt_i16_e32 vcc_lo, 0, v11
	s_mov_b32 s0, 0
	s_cbranch_vccz .LBB19_1523
; %bb.1522:
	global_load_i8 v9, v[7:8], off
	s_waitcnt vmcnt(0)
	v_cvt_f32_i32_e32 v9, v9
	s_branch .LBB19_1524
.LBB19_1523:
	s_mov_b32 s0, -1
                                        ; implicit-def: $vgpr9
.LBB19_1524:
	s_delay_alu instid0(SALU_CYCLE_1)
	s_and_not1_b32 vcc_lo, exec_lo, s0
	s_cbranch_vccnz .LBB19_1526
; %bb.1525:
	global_load_u8 v7, v[7:8], off
	s_waitcnt vmcnt(0)
	v_cvt_f32_ubyte0_e32 v9, v7
.LBB19_1526:
	s_branch .LBB19_1598
.LBB19_1527:
	s_trap 2
	s_sendmsg_rtn_b32 s0, sendmsg(MSG_RTN_GET_DOORBELL)
	s_mov_b32 ttmp2, m0
	s_waitcnt lgkmcnt(0)
	s_and_b32 s0, s0, 0x3ff
	s_delay_alu instid0(SALU_CYCLE_1) | instskip(NEXT) | instid1(SALU_CYCLE_1)
	s_bitset1_b32 s0, 10
	s_mov_b32 m0, s0
	s_sendmsg sendmsg(MSG_INTERRUPT)
	s_mov_b32 m0, ttmp2
.LBB19_1528:                            ; =>This Inner Loop Header: Depth=1
	s_sethalt 5
	s_branch .LBB19_1528
.LBB19_1529:
	s_mov_b32 s0, -1
.LBB19_1530:
                                        ; implicit-def: $vgpr9
.LBB19_1531:
	s_and_b32 vcc_lo, exec_lo, s11
	s_cbranch_vccz .LBB19_1535
; %bb.1532:
	v_cmp_eq_u16_e32 vcc_lo, 44, v11
	s_cbranch_vccz .LBB19_1534
; %bb.1533:
	global_load_u8 v9, v[7:8], off
	s_mov_b32 s0, 0
	s_mov_b32 s10, -1
	s_waitcnt vmcnt(0)
	v_lshlrev_b32_e32 v10, 23, v9
	v_cmp_ne_u32_e32 vcc_lo, 0xff, v9
	s_delay_alu instid0(VALU_DEP_2) | instskip(SKIP_1) | instid1(VALU_DEP_2)
	v_cndmask_b32_e32 v10, 0x7f800001, v10, vcc_lo
	v_cmp_ne_u32_e32 vcc_lo, 0, v9
	v_cndmask_b32_e32 v9, 0x400000, v10, vcc_lo
	s_branch .LBB19_1535
.LBB19_1534:
	s_mov_b32 s0, -1
                                        ; implicit-def: $vgpr9
.LBB19_1535:
	s_mov_b32 s11, 0
.LBB19_1536:
	s_delay_alu instid0(SALU_CYCLE_1)
	s_and_b32 vcc_lo, exec_lo, s11
	s_cbranch_vccz .LBB19_1540
; %bb.1537:
	v_cmp_eq_u16_e32 vcc_lo, 29, v11
	s_cbranch_vccz .LBB19_1539
; %bb.1538:
	global_load_b64 v[9:10], v[7:8], off
	s_mov_b32 s0, 0
	s_mov_b32 s10, -1
	s_mov_b32 s11, 0
	s_waitcnt vmcnt(0)
	v_clz_i32_u32_e32 v12, v10
	s_delay_alu instid0(VALU_DEP_1) | instskip(NEXT) | instid1(VALU_DEP_1)
	v_min_u32_e32 v12, 32, v12
	v_lshlrev_b64 v[9:10], v12, v[9:10]
	s_delay_alu instid0(VALU_DEP_1) | instskip(NEXT) | instid1(VALU_DEP_1)
	v_min_u32_e32 v9, 1, v9
	v_or_b32_e32 v9, v10, v9
	v_sub_nc_u32_e32 v10, 32, v12
	s_delay_alu instid0(VALU_DEP_2) | instskip(NEXT) | instid1(VALU_DEP_1)
	v_cvt_f32_u32_e32 v9, v9
	v_ldexp_f32 v9, v9, v10
	s_branch .LBB19_1541
.LBB19_1539:
	s_mov_b32 s0, -1
                                        ; implicit-def: $vgpr9
.LBB19_1540:
	s_mov_b32 s11, 0
.LBB19_1541:
	s_delay_alu instid0(SALU_CYCLE_1)
	s_and_b32 vcc_lo, exec_lo, s11
	s_cbranch_vccz .LBB19_1559
; %bb.1542:
	v_cmp_gt_i16_e32 vcc_lo, 27, v11
	s_cbranch_vccnz .LBB19_1545
; %bb.1543:
	v_cmp_lt_i16_e32 vcc_lo, 27, v11
	s_cbranch_vccz .LBB19_1546
; %bb.1544:
	global_load_b32 v9, v[7:8], off
	s_mov_b32 s10, 0
	s_waitcnt vmcnt(0)
	v_cvt_f32_u32_e32 v9, v9
	s_branch .LBB19_1547
.LBB19_1545:
	s_mov_b32 s10, -1
                                        ; implicit-def: $vgpr9
	s_branch .LBB19_1550
.LBB19_1546:
	s_mov_b32 s10, -1
                                        ; implicit-def: $vgpr9
.LBB19_1547:
	s_delay_alu instid0(SALU_CYCLE_1)
	s_and_not1_b32 vcc_lo, exec_lo, s10
	s_cbranch_vccnz .LBB19_1549
; %bb.1548:
	global_load_u16 v9, v[7:8], off
	s_waitcnt vmcnt(0)
	v_cvt_f32_u32_e32 v9, v9
.LBB19_1549:
	s_mov_b32 s10, 0
.LBB19_1550:
	s_delay_alu instid0(SALU_CYCLE_1)
	s_and_not1_b32 vcc_lo, exec_lo, s10
	s_cbranch_vccnz .LBB19_1558
; %bb.1551:
	global_load_u8 v10, v[7:8], off
	s_mov_b32 s10, 0
	s_mov_b32 s12, exec_lo
                                        ; implicit-def: $sgpr11
	s_waitcnt vmcnt(0)
	v_cmpx_lt_i16_e32 0x7f, v10
	s_xor_b32 s12, exec_lo, s12
	s_cbranch_execz .LBB19_1572
; %bb.1552:
	s_mov_b32 s10, -1
	s_mov_b32 s13, exec_lo
                                        ; implicit-def: $sgpr11
	v_cmpx_eq_u16_e32 0x80, v10
; %bb.1553:
	s_mov_b32 s11, 0x7f800001
	s_xor_b32 s10, exec_lo, -1
; %bb.1554:
	s_or_b32 exec_lo, exec_lo, s13
	s_delay_alu instid0(SALU_CYCLE_1)
	s_and_b32 s10, s10, exec_lo
	s_or_saveexec_b32 s12, s12
	v_mov_b32_e32 v9, s11
	s_xor_b32 exec_lo, exec_lo, s12
	s_cbranch_execnz .LBB19_1573
.LBB19_1555:
	s_or_b32 exec_lo, exec_lo, s12
	s_and_saveexec_b32 s11, s10
	s_cbranch_execz .LBB19_1557
.LBB19_1556:
	v_and_b32_e32 v9, 0xffff, v10
	v_lshlrev_b32_e32 v10, 24, v10
	s_delay_alu instid0(VALU_DEP_2) | instskip(NEXT) | instid1(VALU_DEP_2)
	v_and_b32_e32 v12, 7, v9
	v_and_b32_e32 v10, 0x80000000, v10
	s_delay_alu instid0(VALU_DEP_2) | instskip(NEXT) | instid1(VALU_DEP_1)
	v_clz_i32_u32_e32 v13, v12
	v_min_u32_e32 v13, 32, v13
	s_delay_alu instid0(VALU_DEP_1) | instskip(SKIP_1) | instid1(VALU_DEP_2)
	v_subrev_nc_u32_e32 v14, 28, v13
	v_sub_nc_u32_e32 v13, 29, v13
	v_lshlrev_b32_e32 v14, v14, v9
	v_bfe_u32 v9, v9, 3, 4
	s_delay_alu instid0(VALU_DEP_1) | instskip(NEXT) | instid1(VALU_DEP_3)
	v_cmp_eq_u32_e32 vcc_lo, 0, v9
	v_dual_cndmask_b32 v9, v9, v13 :: v_dual_and_b32 v14, 7, v14
	s_delay_alu instid0(VALU_DEP_1) | instskip(NEXT) | instid1(VALU_DEP_2)
	v_cndmask_b32_e32 v12, v12, v14, vcc_lo
	v_lshl_add_u32 v9, v9, 23, 0x3b800000
	s_delay_alu instid0(VALU_DEP_2) | instskip(NEXT) | instid1(VALU_DEP_1)
	v_lshlrev_b32_e32 v12, 20, v12
	v_or3_b32 v9, v10, v9, v12
.LBB19_1557:
	s_or_b32 exec_lo, exec_lo, s11
.LBB19_1558:
	s_mov_b32 s10, -1
.LBB19_1559:
	s_mov_b32 s11, 0
.LBB19_1560:
	s_delay_alu instid0(SALU_CYCLE_1)
	s_and_b32 vcc_lo, exec_lo, s11
	s_cbranch_vccz .LBB19_1593
; %bb.1561:
	v_cmp_lt_i16_e32 vcc_lo, 22, v11
	s_cbranch_vccz .LBB19_1571
; %bb.1562:
	v_cmp_gt_i16_e32 vcc_lo, 24, v11
	s_cbranch_vccnz .LBB19_1574
; %bb.1563:
	v_cmp_lt_i16_e32 vcc_lo, 24, v11
	s_cbranch_vccz .LBB19_1575
; %bb.1564:
	global_load_u8 v10, v[7:8], off
	s_mov_b32 s11, exec_lo
                                        ; implicit-def: $sgpr10
	s_waitcnt vmcnt(0)
	v_cmpx_lt_i16_e32 0x7f, v10
	s_xor_b32 s11, exec_lo, s11
	s_cbranch_execz .LBB19_1587
; %bb.1565:
	s_mov_b32 s3, -1
	s_mov_b32 s12, exec_lo
                                        ; implicit-def: $sgpr10
	v_cmpx_eq_u16_e32 0x80, v10
; %bb.1566:
	s_mov_b32 s10, 0x7f800001
	s_xor_b32 s3, exec_lo, -1
; %bb.1567:
	s_or_b32 exec_lo, exec_lo, s12
	s_delay_alu instid0(SALU_CYCLE_1)
	s_and_b32 s3, s3, exec_lo
	s_or_saveexec_b32 s11, s11
	v_mov_b32_e32 v9, s10
	s_xor_b32 exec_lo, exec_lo, s11
	s_cbranch_execnz .LBB19_1588
.LBB19_1568:
	s_or_b32 exec_lo, exec_lo, s11
	s_and_saveexec_b32 s10, s3
	s_cbranch_execz .LBB19_1570
.LBB19_1569:
	v_and_b32_e32 v9, 0xffff, v10
	v_lshlrev_b32_e32 v10, 24, v10
	s_delay_alu instid0(VALU_DEP_2) | instskip(NEXT) | instid1(VALU_DEP_2)
	v_and_b32_e32 v12, 3, v9
	v_and_b32_e32 v10, 0x80000000, v10
	s_delay_alu instid0(VALU_DEP_2) | instskip(NEXT) | instid1(VALU_DEP_1)
	v_clz_i32_u32_e32 v13, v12
	v_min_u32_e32 v13, 32, v13
	s_delay_alu instid0(VALU_DEP_1) | instskip(SKIP_1) | instid1(VALU_DEP_2)
	v_subrev_nc_u32_e32 v14, 29, v13
	v_sub_nc_u32_e32 v13, 30, v13
	v_lshlrev_b32_e32 v14, v14, v9
	v_bfe_u32 v9, v9, 2, 5
	s_delay_alu instid0(VALU_DEP_1) | instskip(NEXT) | instid1(VALU_DEP_3)
	v_cmp_eq_u32_e32 vcc_lo, 0, v9
	v_dual_cndmask_b32 v9, v9, v13 :: v_dual_and_b32 v14, 3, v14
	s_delay_alu instid0(VALU_DEP_1) | instskip(NEXT) | instid1(VALU_DEP_2)
	v_cndmask_b32_e32 v12, v12, v14, vcc_lo
	v_lshl_add_u32 v9, v9, 23, 0x37800000
	s_delay_alu instid0(VALU_DEP_2) | instskip(NEXT) | instid1(VALU_DEP_1)
	v_lshlrev_b32_e32 v12, 21, v12
	v_or3_b32 v9, v10, v9, v12
.LBB19_1570:
	s_or_b32 exec_lo, exec_lo, s10
	s_mov_b32 s3, 0
	s_branch .LBB19_1576
.LBB19_1571:
	s_mov_b32 s3, -1
                                        ; implicit-def: $vgpr9
	s_branch .LBB19_1582
.LBB19_1572:
	s_or_saveexec_b32 s12, s12
	v_mov_b32_e32 v9, s11
	s_xor_b32 exec_lo, exec_lo, s12
	s_cbranch_execz .LBB19_1555
.LBB19_1573:
	v_cmp_ne_u16_e32 vcc_lo, 0, v10
	v_mov_b32_e32 v9, 0
	s_and_not1_b32 s10, s10, exec_lo
	s_and_b32 s11, vcc_lo, exec_lo
	s_delay_alu instid0(SALU_CYCLE_1)
	s_or_b32 s10, s10, s11
	s_or_b32 exec_lo, exec_lo, s12
	s_and_saveexec_b32 s11, s10
	s_cbranch_execnz .LBB19_1556
	s_branch .LBB19_1557
.LBB19_1574:
	s_mov_b32 s3, -1
                                        ; implicit-def: $vgpr9
	s_branch .LBB19_1579
.LBB19_1575:
	s_mov_b32 s3, -1
                                        ; implicit-def: $vgpr9
.LBB19_1576:
	s_delay_alu instid0(SALU_CYCLE_1)
	s_and_b32 vcc_lo, exec_lo, s3
	s_cbranch_vccz .LBB19_1578
; %bb.1577:
	global_load_u8 v9, v[7:8], off
	s_waitcnt vmcnt(0)
	v_lshlrev_b32_e32 v9, 24, v9
	s_delay_alu instid0(VALU_DEP_1) | instskip(NEXT) | instid1(VALU_DEP_1)
	v_and_b32_e32 v10, 0x7f000000, v9
	v_clz_i32_u32_e32 v12, v10
	v_add_nc_u32_e32 v14, 0x1000000, v10
	v_cmp_ne_u32_e32 vcc_lo, 0, v10
	s_delay_alu instid0(VALU_DEP_3) | instskip(NEXT) | instid1(VALU_DEP_1)
	v_min_u32_e32 v12, 32, v12
	v_sub_nc_u32_e64 v12, v12, 4 clamp
	s_delay_alu instid0(VALU_DEP_1) | instskip(SKIP_1) | instid1(VALU_DEP_2)
	v_lshlrev_b32_e32 v13, v12, v10
	v_lshlrev_b32_e32 v12, 23, v12
	v_lshrrev_b32_e32 v13, 4, v13
	s_delay_alu instid0(VALU_DEP_1) | instskip(SKIP_1) | instid1(VALU_DEP_2)
	v_sub_nc_u32_e32 v12, v13, v12
	v_ashrrev_i32_e32 v13, 8, v14
	v_add_nc_u32_e32 v12, 0x3c000000, v12
	s_delay_alu instid0(VALU_DEP_1) | instskip(NEXT) | instid1(VALU_DEP_1)
	v_and_or_b32 v12, 0x7f800000, v13, v12
	v_cndmask_b32_e32 v10, 0, v12, vcc_lo
	s_delay_alu instid0(VALU_DEP_1)
	v_and_or_b32 v9, 0x80000000, v9, v10
.LBB19_1578:
	s_mov_b32 s3, 0
.LBB19_1579:
	s_delay_alu instid0(SALU_CYCLE_1)
	s_and_not1_b32 vcc_lo, exec_lo, s3
	s_cbranch_vccnz .LBB19_1581
; %bb.1580:
	global_load_u8 v9, v[7:8], off
	s_waitcnt vmcnt(0)
	v_lshlrev_b32_e32 v10, 25, v9
	v_lshlrev_b16 v9, 8, v9
	s_delay_alu instid0(VALU_DEP_2) | instskip(NEXT) | instid1(VALU_DEP_2)
	v_lshrrev_b32_e32 v12, 4, v10
	v_and_or_b32 v13, 0x7f00, v9, 0.5
	v_cmp_gt_u32_e32 vcc_lo, 0x8000000, v10
	v_bfe_i32 v9, v9, 0, 16
	s_delay_alu instid0(VALU_DEP_4) | instskip(NEXT) | instid1(VALU_DEP_1)
	v_or_b32_e32 v12, 0x70000000, v12
	v_dual_add_f32 v13, -0.5, v13 :: v_dual_mul_f32 v12, 0x7800000, v12
	s_delay_alu instid0(VALU_DEP_1) | instskip(NEXT) | instid1(VALU_DEP_1)
	v_cndmask_b32_e32 v10, v12, v13, vcc_lo
	v_and_or_b32 v9, 0x80000000, v9, v10
.LBB19_1581:
	s_mov_b32 s3, 0
	s_mov_b32 s10, -1
.LBB19_1582:
	s_and_not1_b32 vcc_lo, exec_lo, s3
	s_mov_b32 s3, 0
	s_cbranch_vccnz .LBB19_1593
; %bb.1583:
	v_cmp_lt_i16_e32 vcc_lo, 14, v11
	s_cbranch_vccz .LBB19_1586
; %bb.1584:
	v_cmp_eq_u16_e32 vcc_lo, 15, v11
	s_cbranch_vccz .LBB19_1589
; %bb.1585:
	global_load_u16 v9, v[7:8], off
	s_mov_b32 s0, 0
	s_mov_b32 s10, -1
	s_waitcnt vmcnt(0)
	v_lshlrev_b32_e32 v9, 16, v9
	s_branch .LBB19_1591
.LBB19_1586:
	s_mov_b32 s3, -1
	s_branch .LBB19_1590
.LBB19_1587:
	s_or_saveexec_b32 s11, s11
	v_mov_b32_e32 v9, s10
	s_xor_b32 exec_lo, exec_lo, s11
	s_cbranch_execz .LBB19_1568
.LBB19_1588:
	v_cmp_ne_u16_e32 vcc_lo, 0, v10
	v_mov_b32_e32 v9, 0
	s_and_not1_b32 s3, s3, exec_lo
	s_and_b32 s10, vcc_lo, exec_lo
	s_delay_alu instid0(SALU_CYCLE_1)
	s_or_b32 s3, s3, s10
	s_or_b32 exec_lo, exec_lo, s11
	s_and_saveexec_b32 s10, s3
	s_cbranch_execnz .LBB19_1569
	s_branch .LBB19_1570
.LBB19_1589:
	s_mov_b32 s0, -1
.LBB19_1590:
                                        ; implicit-def: $vgpr9
.LBB19_1591:
	s_and_b32 vcc_lo, exec_lo, s3
	s_mov_b32 s3, 0
	s_cbranch_vccz .LBB19_1593
; %bb.1592:
	v_cmp_ne_u16_e64 s0, 11, v11
	s_mov_b32 s3, -1
                                        ; implicit-def: $vgpr9
.LBB19_1593:
	s_delay_alu instid0(VALU_DEP_1)
	s_and_b32 vcc_lo, exec_lo, s0
	s_cbranch_vccnz .LBB19_1621
; %bb.1594:
	s_and_not1_b32 vcc_lo, exec_lo, s3
	s_cbranch_vccnz .LBB19_1596
.LBB19_1595:
	global_load_u8 v9, v[7:8], off
	s_mov_b32 s10, -1
	s_waitcnt vmcnt(0)
	v_cmp_ne_u16_e32 vcc_lo, 0, v9
	v_cndmask_b32_e64 v9, 0, 1.0, vcc_lo
.LBB19_1596:
.LBB19_1597:
	s_and_not1_b32 vcc_lo, exec_lo, s10
	s_cbranch_vccnz .LBB19_2186
.LBB19_1598:
	s_waitcnt vmcnt(0)
	s_delay_alu instid0(VALU_DEP_1) | instskip(NEXT) | instid1(VALU_DEP_1)
	v_cmp_ge_f32_e64 s0, 0x41000000, |v9|
                                        ; implicit-def: $vgpr8
	s_and_saveexec_b32 s3, s0
	s_delay_alu instid0(SALU_CYCLE_1)
	s_xor_b32 s0, exec_lo, s3
	s_cbranch_execz .LBB19_1604
; %bb.1599:
	v_fma_f32 v7, |v9|, 0.5, -2.0
	s_mov_b32 s3, 0x224cf950
	s_delay_alu instid0(VALU_DEP_1) | instid1(SALU_CYCLE_1)
	v_fmaak_f32 v8, s3, v7, 0xa3c2be86
	s_mov_b32 s3, exec_lo
	s_delay_alu instid0(VALU_DEP_1) | instskip(NEXT) | instid1(VALU_DEP_1)
	v_fmaak_f32 v10, v7, v8, 0xa24cf950
	v_add_f32_e32 v10, 0x25331f1f, v10
	s_delay_alu instid0(VALU_DEP_1) | instskip(NEXT) | instid1(VALU_DEP_1)
	v_fma_f32 v8, v7, v10, -v8
	v_add_f32_e32 v8, 0xa69f5554, v8
	s_delay_alu instid0(VALU_DEP_1) | instskip(NEXT) | instid1(VALU_DEP_1)
	v_fma_f32 v10, v7, v8, -v10
	;; [unrolled: 3-line block ×26, first 2 shown]
                                        ; implicit-def: $vgpr8
	v_add_f32_e32 v7, 0x3e81531c, v7
	s_delay_alu instid0(VALU_DEP_1)
	v_sub_f32_e32 v7, v7, v10
	v_cmpx_ngt_f32_e32 0, v9
	s_xor_b32 s3, exec_lo, s3
	s_cbranch_execz .LBB19_1601
; %bb.1600:
	v_mul_f32_e64 v8, 0x3fb8aa3b, |v9|
	v_cmp_ngt_f32_e64 vcc_lo, 0xc2ce8ed0, |v9|
	v_mul_f32_e32 v7, 0.5, v7
	s_delay_alu instid0(VALU_DEP_3) | instskip(SKIP_1) | instid1(VALU_DEP_3)
	v_rndne_f32_e32 v10, v8
	v_fma_f32 v12, 0x3fb8aa3b, |v9|, -v8
	v_mul_f32_e64 v7, |v9|, v7
	s_delay_alu instid0(VALU_DEP_3) | instskip(NEXT) | instid1(VALU_DEP_3)
	v_sub_f32_e32 v8, v8, v10
	v_fma_f32 v12, 0x32a5705f, |v9|, v12
	v_cvt_i32_f32_e32 v10, v10
	s_delay_alu instid0(VALU_DEP_2) | instskip(NEXT) | instid1(VALU_DEP_1)
	v_add_f32_e32 v8, v8, v12
	v_exp_f32_e32 v8, v8
	s_waitcnt_depctr 0xfff
	v_ldexp_f32 v8, v8, v10
	s_delay_alu instid0(VALU_DEP_1) | instskip(SKIP_1) | instid1(VALU_DEP_2)
	v_cndmask_b32_e32 v8, 0, v8, vcc_lo
	v_cmp_nlt_f32_e64 vcc_lo, 0x42b17218, |v9|
                                        ; implicit-def: $vgpr9
	v_cndmask_b32_e32 v8, 0x7f800000, v8, vcc_lo
	s_delay_alu instid0(VALU_DEP_1)
	v_mul_f32_e32 v8, v8, v7
                                        ; implicit-def: $vgpr7
.LBB19_1601:
	s_and_not1_saveexec_b32 s3, s3
	s_cbranch_execz .LBB19_1603
; %bb.1602:
	v_mul_f32_e64 v8, 0x3fb8aa3b, |v9|
	v_cmp_ngt_f32_e64 vcc_lo, 0xc2ce8ed0, |v9|
	v_mul_f32_e32 v7, -0.5, v7
	s_delay_alu instid0(VALU_DEP_3) | instskip(SKIP_1) | instid1(VALU_DEP_3)
	v_rndne_f32_e32 v10, v8
	v_fma_f32 v12, 0x3fb8aa3b, |v9|, -v8
	v_mul_f32_e64 v7, |v9|, v7
	s_delay_alu instid0(VALU_DEP_3) | instskip(NEXT) | instid1(VALU_DEP_3)
	v_sub_f32_e32 v8, v8, v10
	v_fma_f32 v12, 0x32a5705f, |v9|, v12
	v_cvt_i32_f32_e32 v10, v10
	s_delay_alu instid0(VALU_DEP_2) | instskip(NEXT) | instid1(VALU_DEP_1)
	v_add_f32_e32 v8, v8, v12
	v_exp_f32_e32 v8, v8
	s_waitcnt_depctr 0xfff
	v_ldexp_f32 v8, v8, v10
	s_delay_alu instid0(VALU_DEP_1) | instskip(SKIP_1) | instid1(VALU_DEP_2)
	v_cndmask_b32_e32 v8, 0, v8, vcc_lo
	v_cmp_nlt_f32_e64 vcc_lo, 0x42b17218, |v9|
	v_cndmask_b32_e32 v8, 0x7f800000, v8, vcc_lo
	s_delay_alu instid0(VALU_DEP_1)
	v_mul_f32_e32 v8, v8, v7
.LBB19_1603:
	s_or_b32 exec_lo, exec_lo, s3
                                        ; implicit-def: $vgpr9
.LBB19_1604:
	s_and_not1_saveexec_b32 s3, s0
	s_cbranch_execz .LBB19_1610
; %bb.1605:
	v_and_b32_e32 v7, 0x7fffffff, v9
	s_mov_b32 s0, 0x230aab6e
	s_delay_alu instid0(VALU_DEP_1) | instskip(NEXT) | instid1(VALU_DEP_1)
	v_div_scale_f32 v8, null, v7, v7, 0x42000000
	v_rcp_f32_e32 v10, v8
	s_waitcnt_depctr 0xfff
	v_fma_f32 v12, -v8, v10, 1.0
	s_delay_alu instid0(VALU_DEP_1) | instskip(SKIP_1) | instid1(VALU_DEP_1)
	v_fmac_f32_e32 v10, v12, v10
	v_div_scale_f32 v7, vcc_lo, 0x42000000, v7, 0x42000000
	v_mul_f32_e32 v12, v7, v10
	s_delay_alu instid0(VALU_DEP_1) | instskip(NEXT) | instid1(VALU_DEP_1)
	v_fma_f32 v13, -v8, v12, v7
	v_fmac_f32_e32 v12, v13, v10
	s_delay_alu instid0(VALU_DEP_1) | instskip(NEXT) | instid1(VALU_DEP_1)
	v_fma_f32 v7, -v8, v12, v7
	v_div_fmas_f32 v7, v7, v10, v12
	v_mul_f32_e64 v12, 0x3fb8aa3b, |v9|
	v_cmp_ngt_f32_e64 vcc_lo, 0xc2ce8ed0, |v9|
	s_delay_alu instid0(VALU_DEP_3) | instskip(NEXT) | instid1(VALU_DEP_3)
	v_div_fixup_f32 v7, v7, |v9|, 0x42000000
	v_rndne_f32_e32 v13, v12
	v_fma_f32 v14, 0x3fb8aa3b, |v9|, -v12
	s_delay_alu instid0(VALU_DEP_2) | instskip(NEXT) | instid1(VALU_DEP_2)
	v_dual_add_f32 v7, -2.0, v7 :: v_dual_sub_f32 v12, v12, v13
	v_fma_f32 v14, 0x32a5705f, |v9|, v14
	v_cvt_i32_f32_e32 v13, v13
	s_delay_alu instid0(VALU_DEP_3) | instskip(SKIP_1) | instid1(VALU_DEP_4)
	v_fmaak_f32 v8, s0, v7, 0x22a2dc57
	v_cmp_nlt_f32_e64 s0, 0x42b17218, |v9|
	v_add_f32_e32 v12, v12, v14
	s_delay_alu instid0(VALU_DEP_3) | instskip(NEXT) | instid1(VALU_DEP_2)
	v_fmaak_f32 v10, v7, v8, 0xa30aab6e
	v_exp_f32_e32 v12, v12
	s_delay_alu instid0(VALU_DEP_1) | instskip(NEXT) | instid1(VALU_DEP_1)
	v_add_f32_e32 v10, 0xa456751e, v10
	v_fma_f32 v8, v7, v10, -v8
	s_delay_alu instid0(VALU_DEP_1) | instskip(NEXT) | instid1(VALU_DEP_1)
	v_add_f32_e32 v8, 0xa4140365, v8
	v_fma_f32 v10, v7, v8, -v10
	;; [unrolled: 3-line block ×22, first 2 shown]
	v_ldexp_f32 v8, v12, v13
	v_mul_f32_e64 v12, 0x4f800000, |v9|
	s_delay_alu instid0(VALU_DEP_2) | instskip(NEXT) | instid1(VALU_DEP_1)
	v_dual_add_f32 v7, 0x3f4750c6, v7 :: v_dual_cndmask_b32 v8, 0, v8
	v_sub_f32_e32 v10, v7, v10
	s_delay_alu instid0(VALU_DEP_2) | instskip(SKIP_1) | instid1(VALU_DEP_2)
	v_cndmask_b32_e64 v7, 0x7f800000, v8, s0
                                        ; implicit-def: $vgpr8
	s_mov_b32 s0, exec_lo
	v_mul_f32_e32 v10, 0.5, v10
	v_cmpx_ngt_f32_e32 0, v9
	s_xor_b32 s10, exec_lo, s0
	s_cbranch_execz .LBB19_1607
; %bb.1606:
	v_cmp_gt_f32_e64 vcc_lo, 0xf800000, |v9|
	v_mul_f32_e32 v7, v7, v10
	s_delay_alu instid0(VALU_DEP_2) | instskip(NEXT) | instid1(VALU_DEP_1)
	v_cndmask_b32_e64 v8, |v9|, v12, vcc_lo
	v_sqrt_f32_e32 v9, v8
	s_waitcnt_depctr 0xfff
	v_add_nc_u32_e32 v12, -1, v9
	v_add_nc_u32_e32 v13, 1, v9
	s_delay_alu instid0(VALU_DEP_2) | instskip(NEXT) | instid1(VALU_DEP_2)
	v_fma_f32 v14, -v12, v9, v8
	v_fma_f32 v15, -v13, v9, v8
	s_delay_alu instid0(VALU_DEP_2) | instskip(NEXT) | instid1(VALU_DEP_1)
	v_cmp_ge_f32_e64 s0, 0, v14
	v_cndmask_b32_e64 v9, v9, v12, s0
	s_delay_alu instid0(VALU_DEP_3) | instskip(NEXT) | instid1(VALU_DEP_1)
	v_cmp_lt_f32_e64 s0, 0, v15
	v_cndmask_b32_e64 v9, v9, v13, s0
	s_delay_alu instid0(VALU_DEP_1) | instskip(NEXT) | instid1(VALU_DEP_1)
	v_mul_f32_e32 v12, 0x37800000, v9
	v_cndmask_b32_e32 v9, v9, v12, vcc_lo
	v_cmp_class_f32_e64 vcc_lo, v8, 0x260
	s_delay_alu instid0(VALU_DEP_2) | instskip(NEXT) | instid1(VALU_DEP_1)
	v_cndmask_b32_e32 v8, v9, v8, vcc_lo
	v_div_scale_f32 v9, null, v8, v8, v7
	s_delay_alu instid0(VALU_DEP_1) | instskip(SKIP_2) | instid1(VALU_DEP_1)
	v_rcp_f32_e32 v10, v9
	s_waitcnt_depctr 0xfff
	v_fma_f32 v12, -v9, v10, 1.0
	v_fmac_f32_e32 v10, v12, v10
	v_div_scale_f32 v12, vcc_lo, v7, v8, v7
	s_delay_alu instid0(VALU_DEP_1) | instskip(NEXT) | instid1(VALU_DEP_1)
	v_mul_f32_e32 v13, v12, v10
	v_fma_f32 v14, -v9, v13, v12
	s_delay_alu instid0(VALU_DEP_1) | instskip(NEXT) | instid1(VALU_DEP_1)
	v_fmac_f32_e32 v13, v14, v10
	v_fma_f32 v9, -v9, v13, v12
                                        ; implicit-def: $vgpr12
	s_delay_alu instid0(VALU_DEP_1) | instskip(NEXT) | instid1(VALU_DEP_1)
	v_div_fmas_f32 v9, v9, v10, v13
                                        ; implicit-def: $vgpr10
	v_div_fixup_f32 v8, v9, v8, v7
                                        ; implicit-def: $vgpr9
                                        ; implicit-def: $vgpr7
.LBB19_1607:
	s_and_not1_saveexec_b32 s10, s10
	s_cbranch_execz .LBB19_1609
; %bb.1608:
	v_cmp_gt_f32_e64 vcc_lo, 0xf800000, |v9|
	v_mul_f32_e64 v7, v10, -v7
	s_delay_alu instid0(VALU_DEP_2) | instskip(NEXT) | instid1(VALU_DEP_1)
	v_cndmask_b32_e64 v8, |v9|, v12, vcc_lo
	v_sqrt_f32_e32 v9, v8
	s_waitcnt_depctr 0xfff
	v_add_nc_u32_e32 v12, -1, v9
	v_add_nc_u32_e32 v13, 1, v9
	s_delay_alu instid0(VALU_DEP_2) | instskip(NEXT) | instid1(VALU_DEP_2)
	v_fma_f32 v14, -v12, v9, v8
	v_fma_f32 v15, -v13, v9, v8
	s_delay_alu instid0(VALU_DEP_2) | instskip(NEXT) | instid1(VALU_DEP_1)
	v_cmp_ge_f32_e64 s0, 0, v14
	v_cndmask_b32_e64 v9, v9, v12, s0
	s_delay_alu instid0(VALU_DEP_3) | instskip(NEXT) | instid1(VALU_DEP_1)
	v_cmp_lt_f32_e64 s0, 0, v15
	v_cndmask_b32_e64 v9, v9, v13, s0
	s_delay_alu instid0(VALU_DEP_1) | instskip(NEXT) | instid1(VALU_DEP_1)
	v_mul_f32_e32 v12, 0x37800000, v9
	v_cndmask_b32_e32 v9, v9, v12, vcc_lo
	v_cmp_class_f32_e64 vcc_lo, v8, 0x260
	s_delay_alu instid0(VALU_DEP_2) | instskip(NEXT) | instid1(VALU_DEP_1)
	v_cndmask_b32_e32 v8, v9, v8, vcc_lo
	v_div_scale_f32 v9, null, v8, v8, v7
	s_delay_alu instid0(VALU_DEP_1) | instskip(SKIP_2) | instid1(VALU_DEP_1)
	v_rcp_f32_e32 v10, v9
	s_waitcnt_depctr 0xfff
	v_fma_f32 v12, -v9, v10, 1.0
	v_fmac_f32_e32 v10, v12, v10
	v_div_scale_f32 v12, vcc_lo, v7, v8, v7
	s_delay_alu instid0(VALU_DEP_1) | instskip(NEXT) | instid1(VALU_DEP_1)
	v_mul_f32_e32 v13, v12, v10
	v_fma_f32 v14, -v9, v13, v12
	s_delay_alu instid0(VALU_DEP_1) | instskip(NEXT) | instid1(VALU_DEP_1)
	v_fmac_f32_e32 v13, v14, v10
	v_fma_f32 v9, -v9, v13, v12
	s_delay_alu instid0(VALU_DEP_1) | instskip(NEXT) | instid1(VALU_DEP_1)
	v_div_fmas_f32 v9, v9, v10, v13
	v_div_fixup_f32 v8, v9, v8, v7
.LBB19_1609:
	s_or_b32 exec_lo, exec_lo, s10
.LBB19_1610:
	s_delay_alu instid0(SALU_CYCLE_1) | instskip(SKIP_2) | instid1(VALU_DEP_1)
	s_or_b32 exec_lo, exec_lo, s3
	v_cmp_gt_i16_e32 vcc_lo, 11, v11
	v_add_co_u32 v9, s0, s6, v5
	v_add_co_ci_u32_e64 v10, null, s7, 0, s0
	s_mov_b32 s6, 0
	s_cbranch_vccnz .LBB19_1617
; %bb.1611:
	v_cmp_lt_i16_e32 vcc_lo, 25, v11
	s_mov_b32 s3, 0
	s_cbranch_vccz .LBB19_1618
; %bb.1612:
	v_cmp_lt_i16_e32 vcc_lo, 28, v11
	s_cbranch_vccz .LBB19_1619
; %bb.1613:
	v_cmp_lt_i16_e32 vcc_lo, 43, v11
	;; [unrolled: 3-line block ×3, first 2 shown]
	s_cbranch_vccz .LBB19_1623
; %bb.1615:
	v_cmp_eq_u16_e32 vcc_lo, 46, v11
	s_mov_b32 s7, 0
	s_cbranch_vccz .LBB19_1626
; %bb.1616:
	global_load_b32 v5, v[9:10], off
	s_mov_b32 s0, 0
	s_mov_b32 s6, -1
	s_waitcnt vmcnt(0)
	v_lshlrev_b32_e32 v5, 16, v5
	s_branch .LBB19_1628
.LBB19_1617:
	s_mov_b32 s0, -1
                                        ; implicit-def: $vgpr5
	s_branch .LBB19_1694
.LBB19_1618:
	s_mov_b32 s7, -1
	s_mov_b32 s0, 0
                                        ; implicit-def: $vgpr5
	s_branch .LBB19_1657
.LBB19_1619:
	s_mov_b32 s7, -1
	s_mov_b32 s0, 0
                                        ; implicit-def: $vgpr5
	s_branch .LBB19_1638
.LBB19_1620:
	s_mov_b32 s7, -1
	s_mov_b32 s0, 0
                                        ; implicit-def: $vgpr5
	s_branch .LBB19_1633
.LBB19_1621:
	s_cbranch_execnz .LBB19_1624
; %bb.1622:
	s_or_b32 s1, s1, exec_lo
                                        ; implicit-def: $vgpr9
	s_cbranch_execz .LBB19_1595
	s_branch .LBB19_1596
.LBB19_1623:
	s_mov_b32 s7, -1
	s_mov_b32 s0, 0
	s_branch .LBB19_1627
.LBB19_1624:
	s_trap 2
	s_sendmsg_rtn_b32 s0, sendmsg(MSG_RTN_GET_DOORBELL)
	s_mov_b32 ttmp2, m0
	s_waitcnt lgkmcnt(0)
	s_and_b32 s0, s0, 0x3ff
	s_delay_alu instid0(SALU_CYCLE_1) | instskip(NEXT) | instid1(SALU_CYCLE_1)
	s_bitset1_b32 s0, 10
	s_mov_b32 m0, s0
	s_sendmsg sendmsg(MSG_INTERRUPT)
	s_mov_b32 m0, ttmp2
.LBB19_1625:                            ; =>This Inner Loop Header: Depth=1
	s_sethalt 5
	s_branch .LBB19_1625
.LBB19_1626:
	s_mov_b32 s0, -1
.LBB19_1627:
                                        ; implicit-def: $vgpr5
.LBB19_1628:
	s_and_b32 vcc_lo, exec_lo, s7
	s_cbranch_vccz .LBB19_1632
; %bb.1629:
	v_cmp_eq_u16_e32 vcc_lo, 44, v11
	s_cbranch_vccz .LBB19_1631
; %bb.1630:
	global_load_u8 v5, v[9:10], off
	s_mov_b32 s0, 0
	s_mov_b32 s6, -1
	s_waitcnt vmcnt(0)
	v_lshlrev_b32_e32 v7, 23, v5
	v_cmp_ne_u32_e32 vcc_lo, 0xff, v5
	s_delay_alu instid0(VALU_DEP_2) | instskip(SKIP_1) | instid1(VALU_DEP_2)
	v_cndmask_b32_e32 v7, 0x7f800001, v7, vcc_lo
	v_cmp_ne_u32_e32 vcc_lo, 0, v5
	v_cndmask_b32_e32 v5, 0x400000, v7, vcc_lo
	s_branch .LBB19_1632
.LBB19_1631:
	s_mov_b32 s0, -1
                                        ; implicit-def: $vgpr5
.LBB19_1632:
	s_mov_b32 s7, 0
.LBB19_1633:
	s_delay_alu instid0(SALU_CYCLE_1)
	s_and_b32 vcc_lo, exec_lo, s7
	s_cbranch_vccz .LBB19_1637
; %bb.1634:
	v_cmp_eq_u16_e32 vcc_lo, 29, v11
	s_cbranch_vccz .LBB19_1636
; %bb.1635:
	global_load_b64 v[12:13], v[9:10], off
	s_mov_b32 s0, 0
	s_mov_b32 s6, -1
	s_mov_b32 s7, 0
	s_waitcnt vmcnt(0)
	v_clz_i32_u32_e32 v5, v13
	s_delay_alu instid0(VALU_DEP_1) | instskip(NEXT) | instid1(VALU_DEP_1)
	v_min_u32_e32 v5, 32, v5
	v_lshlrev_b64 v[12:13], v5, v[12:13]
	v_sub_nc_u32_e32 v5, 32, v5
	s_delay_alu instid0(VALU_DEP_2) | instskip(NEXT) | instid1(VALU_DEP_1)
	v_min_u32_e32 v7, 1, v12
	v_or_b32_e32 v7, v13, v7
	s_delay_alu instid0(VALU_DEP_1) | instskip(NEXT) | instid1(VALU_DEP_1)
	v_cvt_f32_u32_e32 v7, v7
	v_ldexp_f32 v5, v7, v5
	s_branch .LBB19_1638
.LBB19_1636:
	s_mov_b32 s0, -1
                                        ; implicit-def: $vgpr5
.LBB19_1637:
	s_mov_b32 s7, 0
.LBB19_1638:
	s_delay_alu instid0(SALU_CYCLE_1)
	s_and_b32 vcc_lo, exec_lo, s7
	s_cbranch_vccz .LBB19_1656
; %bb.1639:
	v_cmp_gt_i16_e32 vcc_lo, 27, v11
	s_cbranch_vccnz .LBB19_1642
; %bb.1640:
	v_cmp_lt_i16_e32 vcc_lo, 27, v11
	s_cbranch_vccz .LBB19_1643
; %bb.1641:
	global_load_b32 v5, v[9:10], off
	s_mov_b32 s6, 0
	s_waitcnt vmcnt(0)
	v_cvt_f32_u32_e32 v5, v5
	s_branch .LBB19_1644
.LBB19_1642:
	s_mov_b32 s6, -1
                                        ; implicit-def: $vgpr5
	s_branch .LBB19_1647
.LBB19_1643:
	s_mov_b32 s6, -1
                                        ; implicit-def: $vgpr5
.LBB19_1644:
	s_delay_alu instid0(SALU_CYCLE_1)
	s_and_not1_b32 vcc_lo, exec_lo, s6
	s_cbranch_vccnz .LBB19_1646
; %bb.1645:
	global_load_u16 v5, v[9:10], off
	s_waitcnt vmcnt(0)
	v_cvt_f32_u32_e32 v5, v5
.LBB19_1646:
	s_mov_b32 s6, 0
.LBB19_1647:
	s_delay_alu instid0(SALU_CYCLE_1)
	s_and_not1_b32 vcc_lo, exec_lo, s6
	s_cbranch_vccnz .LBB19_1655
; %bb.1648:
	global_load_u8 v7, v[9:10], off
	s_mov_b32 s6, 0
	s_mov_b32 s10, exec_lo
                                        ; implicit-def: $sgpr7
	s_waitcnt vmcnt(0)
	v_cmpx_lt_i16_e32 0x7f, v7
	s_xor_b32 s10, exec_lo, s10
	s_cbranch_execz .LBB19_1669
; %bb.1649:
	s_mov_b32 s6, -1
	s_mov_b32 s11, exec_lo
                                        ; implicit-def: $sgpr7
	v_cmpx_eq_u16_e32 0x80, v7
; %bb.1650:
	s_mov_b32 s7, 0x7f800001
	s_xor_b32 s6, exec_lo, -1
; %bb.1651:
	s_or_b32 exec_lo, exec_lo, s11
	s_delay_alu instid0(SALU_CYCLE_1)
	s_and_b32 s6, s6, exec_lo
	s_or_saveexec_b32 s10, s10
	v_mov_b32_e32 v5, s7
	s_xor_b32 exec_lo, exec_lo, s10
	s_cbranch_execnz .LBB19_1670
.LBB19_1652:
	s_or_b32 exec_lo, exec_lo, s10
	s_and_saveexec_b32 s7, s6
	s_cbranch_execz .LBB19_1654
.LBB19_1653:
	v_and_b32_e32 v5, 0xffff, v7
	v_lshlrev_b32_e32 v7, 24, v7
	s_delay_alu instid0(VALU_DEP_2) | instskip(NEXT) | instid1(VALU_DEP_2)
	v_and_b32_e32 v12, 7, v5
	v_and_b32_e32 v7, 0x80000000, v7
	s_delay_alu instid0(VALU_DEP_2) | instskip(NEXT) | instid1(VALU_DEP_1)
	v_clz_i32_u32_e32 v13, v12
	v_min_u32_e32 v13, 32, v13
	s_delay_alu instid0(VALU_DEP_1) | instskip(SKIP_1) | instid1(VALU_DEP_2)
	v_subrev_nc_u32_e32 v14, 28, v13
	v_sub_nc_u32_e32 v13, 29, v13
	v_lshlrev_b32_e32 v14, v14, v5
	v_bfe_u32 v5, v5, 3, 4
	s_delay_alu instid0(VALU_DEP_1) | instskip(NEXT) | instid1(VALU_DEP_3)
	v_cmp_eq_u32_e32 vcc_lo, 0, v5
	v_dual_cndmask_b32 v5, v5, v13 :: v_dual_and_b32 v14, 7, v14
	s_delay_alu instid0(VALU_DEP_1) | instskip(NEXT) | instid1(VALU_DEP_2)
	v_cndmask_b32_e32 v12, v12, v14, vcc_lo
	v_lshl_add_u32 v5, v5, 23, 0x3b800000
	s_delay_alu instid0(VALU_DEP_2) | instskip(NEXT) | instid1(VALU_DEP_1)
	v_lshlrev_b32_e32 v12, 20, v12
	v_or3_b32 v5, v7, v5, v12
.LBB19_1654:
	s_or_b32 exec_lo, exec_lo, s7
.LBB19_1655:
	s_mov_b32 s6, -1
.LBB19_1656:
	s_mov_b32 s7, 0
.LBB19_1657:
	s_delay_alu instid0(SALU_CYCLE_1)
	s_and_b32 vcc_lo, exec_lo, s7
	s_cbranch_vccz .LBB19_1690
; %bb.1658:
	v_cmp_lt_i16_e32 vcc_lo, 22, v11
	s_cbranch_vccz .LBB19_1668
; %bb.1659:
	v_cmp_gt_i16_e32 vcc_lo, 24, v11
	s_cbranch_vccnz .LBB19_1671
; %bb.1660:
	v_cmp_lt_i16_e32 vcc_lo, 24, v11
	s_cbranch_vccz .LBB19_1672
; %bb.1661:
	global_load_u8 v7, v[9:10], off
	s_mov_b32 s7, exec_lo
                                        ; implicit-def: $sgpr6
	s_waitcnt vmcnt(0)
	v_cmpx_lt_i16_e32 0x7f, v7
	s_xor_b32 s7, exec_lo, s7
	s_cbranch_execz .LBB19_1684
; %bb.1662:
	s_mov_b32 s3, -1
	s_mov_b32 s10, exec_lo
                                        ; implicit-def: $sgpr6
	v_cmpx_eq_u16_e32 0x80, v7
; %bb.1663:
	s_mov_b32 s6, 0x7f800001
	s_xor_b32 s3, exec_lo, -1
; %bb.1664:
	s_or_b32 exec_lo, exec_lo, s10
	s_delay_alu instid0(SALU_CYCLE_1)
	s_and_b32 s3, s3, exec_lo
	s_or_saveexec_b32 s7, s7
	v_mov_b32_e32 v5, s6
	s_xor_b32 exec_lo, exec_lo, s7
	s_cbranch_execnz .LBB19_1685
.LBB19_1665:
	s_or_b32 exec_lo, exec_lo, s7
	s_and_saveexec_b32 s6, s3
	s_cbranch_execz .LBB19_1667
.LBB19_1666:
	v_and_b32_e32 v5, 0xffff, v7
	v_lshlrev_b32_e32 v7, 24, v7
	s_delay_alu instid0(VALU_DEP_2) | instskip(NEXT) | instid1(VALU_DEP_2)
	v_and_b32_e32 v12, 3, v5
	v_and_b32_e32 v7, 0x80000000, v7
	s_delay_alu instid0(VALU_DEP_2) | instskip(NEXT) | instid1(VALU_DEP_1)
	v_clz_i32_u32_e32 v13, v12
	v_min_u32_e32 v13, 32, v13
	s_delay_alu instid0(VALU_DEP_1) | instskip(SKIP_1) | instid1(VALU_DEP_2)
	v_subrev_nc_u32_e32 v14, 29, v13
	v_sub_nc_u32_e32 v13, 30, v13
	v_lshlrev_b32_e32 v14, v14, v5
	v_bfe_u32 v5, v5, 2, 5
	s_delay_alu instid0(VALU_DEP_1) | instskip(NEXT) | instid1(VALU_DEP_3)
	v_cmp_eq_u32_e32 vcc_lo, 0, v5
	v_dual_cndmask_b32 v5, v5, v13 :: v_dual_and_b32 v14, 3, v14
	s_delay_alu instid0(VALU_DEP_1) | instskip(NEXT) | instid1(VALU_DEP_2)
	v_cndmask_b32_e32 v12, v12, v14, vcc_lo
	v_lshl_add_u32 v5, v5, 23, 0x37800000
	s_delay_alu instid0(VALU_DEP_2) | instskip(NEXT) | instid1(VALU_DEP_1)
	v_lshlrev_b32_e32 v12, 21, v12
	v_or3_b32 v5, v7, v5, v12
.LBB19_1667:
	s_or_b32 exec_lo, exec_lo, s6
	s_mov_b32 s3, 0
	s_branch .LBB19_1673
.LBB19_1668:
	s_mov_b32 s3, -1
                                        ; implicit-def: $vgpr5
	s_branch .LBB19_1679
.LBB19_1669:
	s_or_saveexec_b32 s10, s10
	v_mov_b32_e32 v5, s7
	s_xor_b32 exec_lo, exec_lo, s10
	s_cbranch_execz .LBB19_1652
.LBB19_1670:
	v_cmp_ne_u16_e32 vcc_lo, 0, v7
	v_mov_b32_e32 v5, 0
	s_and_not1_b32 s6, s6, exec_lo
	s_and_b32 s7, vcc_lo, exec_lo
	s_delay_alu instid0(SALU_CYCLE_1)
	s_or_b32 s6, s6, s7
	s_or_b32 exec_lo, exec_lo, s10
	s_and_saveexec_b32 s7, s6
	s_cbranch_execnz .LBB19_1653
	s_branch .LBB19_1654
.LBB19_1671:
	s_mov_b32 s3, -1
                                        ; implicit-def: $vgpr5
	s_branch .LBB19_1676
.LBB19_1672:
	s_mov_b32 s3, -1
                                        ; implicit-def: $vgpr5
.LBB19_1673:
	s_delay_alu instid0(SALU_CYCLE_1)
	s_and_b32 vcc_lo, exec_lo, s3
	s_cbranch_vccz .LBB19_1675
; %bb.1674:
	global_load_u8 v5, v[9:10], off
	s_waitcnt vmcnt(0)
	v_lshlrev_b32_e32 v5, 24, v5
	s_delay_alu instid0(VALU_DEP_1) | instskip(NEXT) | instid1(VALU_DEP_1)
	v_and_b32_e32 v7, 0x7f000000, v5
	v_clz_i32_u32_e32 v12, v7
	v_cmp_ne_u32_e32 vcc_lo, 0, v7
	v_add_nc_u32_e32 v14, 0x1000000, v7
	s_delay_alu instid0(VALU_DEP_3) | instskip(NEXT) | instid1(VALU_DEP_1)
	v_min_u32_e32 v12, 32, v12
	v_sub_nc_u32_e64 v12, v12, 4 clamp
	s_delay_alu instid0(VALU_DEP_1) | instskip(SKIP_1) | instid1(VALU_DEP_2)
	v_lshlrev_b32_e32 v13, v12, v7
	v_lshlrev_b32_e32 v12, 23, v12
	v_lshrrev_b32_e32 v13, 4, v13
	s_delay_alu instid0(VALU_DEP_1) | instskip(SKIP_1) | instid1(VALU_DEP_2)
	v_sub_nc_u32_e32 v12, v13, v12
	v_ashrrev_i32_e32 v13, 8, v14
	v_add_nc_u32_e32 v12, 0x3c000000, v12
	s_delay_alu instid0(VALU_DEP_1) | instskip(NEXT) | instid1(VALU_DEP_1)
	v_and_or_b32 v12, 0x7f800000, v13, v12
	v_cndmask_b32_e32 v7, 0, v12, vcc_lo
	s_delay_alu instid0(VALU_DEP_1)
	v_and_or_b32 v5, 0x80000000, v5, v7
.LBB19_1675:
	s_mov_b32 s3, 0
.LBB19_1676:
	s_delay_alu instid0(SALU_CYCLE_1)
	s_and_not1_b32 vcc_lo, exec_lo, s3
	s_cbranch_vccnz .LBB19_1678
; %bb.1677:
	global_load_u8 v5, v[9:10], off
	s_waitcnt vmcnt(0)
	v_lshlrev_b32_e32 v7, 25, v5
	v_lshlrev_b16 v5, 8, v5
	s_delay_alu instid0(VALU_DEP_2) | instskip(NEXT) | instid1(VALU_DEP_2)
	v_lshrrev_b32_e32 v12, 4, v7
	v_and_or_b32 v13, 0x7f00, v5, 0.5
	v_bfe_i32 v5, v5, 0, 16
	s_delay_alu instid0(VALU_DEP_3) | instskip(NEXT) | instid1(VALU_DEP_1)
	v_or_b32_e32 v12, 0x70000000, v12
	v_dual_add_f32 v13, -0.5, v13 :: v_dual_mul_f32 v12, 0x7800000, v12
	v_cmp_gt_u32_e32 vcc_lo, 0x8000000, v7
	s_delay_alu instid0(VALU_DEP_2) | instskip(NEXT) | instid1(VALU_DEP_1)
	v_cndmask_b32_e32 v7, v12, v13, vcc_lo
	v_and_or_b32 v5, 0x80000000, v5, v7
.LBB19_1678:
	s_mov_b32 s3, 0
	s_mov_b32 s6, -1
.LBB19_1679:
	s_and_not1_b32 vcc_lo, exec_lo, s3
	s_mov_b32 s3, 0
	s_cbranch_vccnz .LBB19_1690
; %bb.1680:
	v_cmp_lt_i16_e32 vcc_lo, 14, v11
	s_cbranch_vccz .LBB19_1683
; %bb.1681:
	v_cmp_eq_u16_e32 vcc_lo, 15, v11
	s_cbranch_vccz .LBB19_1686
; %bb.1682:
	global_load_u16 v5, v[9:10], off
	s_mov_b32 s0, 0
	s_mov_b32 s6, -1
	s_waitcnt vmcnt(0)
	v_lshlrev_b32_e32 v5, 16, v5
	s_branch .LBB19_1688
.LBB19_1683:
	s_mov_b32 s3, -1
	s_branch .LBB19_1687
.LBB19_1684:
	s_or_saveexec_b32 s7, s7
	v_mov_b32_e32 v5, s6
	s_xor_b32 exec_lo, exec_lo, s7
	s_cbranch_execz .LBB19_1665
.LBB19_1685:
	v_cmp_ne_u16_e32 vcc_lo, 0, v7
	v_mov_b32_e32 v5, 0
	s_and_not1_b32 s3, s3, exec_lo
	s_and_b32 s6, vcc_lo, exec_lo
	s_delay_alu instid0(SALU_CYCLE_1)
	s_or_b32 s3, s3, s6
	s_or_b32 exec_lo, exec_lo, s7
	s_and_saveexec_b32 s6, s3
	s_cbranch_execnz .LBB19_1666
	s_branch .LBB19_1667
.LBB19_1686:
	s_mov_b32 s0, -1
.LBB19_1687:
                                        ; implicit-def: $vgpr5
.LBB19_1688:
	s_and_b32 vcc_lo, exec_lo, s3
	s_mov_b32 s3, 0
	s_cbranch_vccz .LBB19_1690
; %bb.1689:
	v_cmp_ne_u16_e64 s0, 11, v11
	s_mov_b32 s3, -1
                                        ; implicit-def: $vgpr5
.LBB19_1690:
	s_delay_alu instid0(VALU_DEP_1)
	s_and_b32 vcc_lo, exec_lo, s0
	s_cbranch_vccnz .LBB19_2232
; %bb.1691:
	s_and_not1_b32 vcc_lo, exec_lo, s3
	s_cbranch_vccnz .LBB19_1693
.LBB19_1692:
	global_load_u8 v5, v[9:10], off
	s_mov_b32 s6, -1
	s_waitcnt vmcnt(0)
	v_cmp_ne_u16_e32 vcc_lo, 0, v5
	v_cndmask_b32_e64 v5, 0, 1.0, vcc_lo
.LBB19_1693:
	s_mov_b32 s0, 0
.LBB19_1694:
	s_delay_alu instid0(SALU_CYCLE_1)
	s_and_b32 vcc_lo, exec_lo, s0
	s_cbranch_vccz .LBB19_1743
; %bb.1695:
	v_cmp_gt_i16_e32 vcc_lo, 5, v11
	s_cbranch_vccnz .LBB19_1700
; %bb.1696:
	v_cmp_gt_i16_e32 vcc_lo, 8, v11
	s_cbranch_vccnz .LBB19_1701
; %bb.1697:
	v_cmp_gt_i16_e32 vcc_lo, 9, v11
	s_cbranch_vccnz .LBB19_1702
; %bb.1698:
	v_cmp_lt_i16_e32 vcc_lo, 9, v11
	s_cbranch_vccz .LBB19_1703
; %bb.1699:
	global_load_b64 v[12:13], v[9:10], off
	s_mov_b32 s0, 0
	s_waitcnt vmcnt(0)
	v_cvt_f32_f64_e32 v5, v[12:13]
	s_branch .LBB19_1704
.LBB19_1700:
	s_mov_b32 s0, -1
                                        ; implicit-def: $vgpr5
	s_branch .LBB19_1722
.LBB19_1701:
	s_mov_b32 s0, -1
                                        ; implicit-def: $vgpr5
	s_branch .LBB19_1710
.LBB19_1702:
	s_mov_b32 s0, -1
                                        ; implicit-def: $vgpr5
	s_branch .LBB19_1707
.LBB19_1703:
	s_mov_b32 s0, -1
                                        ; implicit-def: $vgpr5
.LBB19_1704:
	s_delay_alu instid0(SALU_CYCLE_1)
	s_and_not1_b32 vcc_lo, exec_lo, s0
	s_cbranch_vccnz .LBB19_1706
; %bb.1705:
	global_load_b32 v5, v[9:10], off
.LBB19_1706:
	s_mov_b32 s0, 0
.LBB19_1707:
	s_delay_alu instid0(SALU_CYCLE_1)
	s_and_not1_b32 vcc_lo, exec_lo, s0
	s_cbranch_vccnz .LBB19_1709
; %bb.1708:
	global_load_b32 v5, v[9:10], off
	s_waitcnt vmcnt(0)
	v_cvt_f32_f16_e32 v5, v5
.LBB19_1709:
	s_mov_b32 s0, 0
.LBB19_1710:
	s_delay_alu instid0(SALU_CYCLE_1)
	s_and_not1_b32 vcc_lo, exec_lo, s0
	s_cbranch_vccnz .LBB19_1721
; %bb.1711:
	v_cmp_gt_i16_e32 vcc_lo, 6, v11
	s_cbranch_vccnz .LBB19_1714
; %bb.1712:
	v_cmp_lt_i16_e32 vcc_lo, 6, v11
	s_cbranch_vccz .LBB19_1715
; %bb.1713:
	global_load_b64 v[12:13], v[9:10], off
	s_mov_b32 s0, 0
	s_waitcnt vmcnt(0)
	v_cvt_f32_f64_e32 v5, v[12:13]
	s_branch .LBB19_1716
.LBB19_1714:
	s_mov_b32 s0, -1
                                        ; implicit-def: $vgpr5
	s_branch .LBB19_1719
.LBB19_1715:
	s_mov_b32 s0, -1
                                        ; implicit-def: $vgpr5
.LBB19_1716:
	s_delay_alu instid0(SALU_CYCLE_1)
	s_and_not1_b32 vcc_lo, exec_lo, s0
	s_cbranch_vccnz .LBB19_1718
; %bb.1717:
	global_load_b32 v5, v[9:10], off
.LBB19_1718:
	s_mov_b32 s0, 0
.LBB19_1719:
	s_delay_alu instid0(SALU_CYCLE_1)
	s_and_not1_b32 vcc_lo, exec_lo, s0
	s_cbranch_vccnz .LBB19_1721
; %bb.1720:
	global_load_u16 v5, v[9:10], off
	s_waitcnt vmcnt(0)
	v_cvt_f32_f16_e32 v5, v5
.LBB19_1721:
	s_mov_b32 s0, 0
.LBB19_1722:
	s_delay_alu instid0(SALU_CYCLE_1)
	s_and_not1_b32 vcc_lo, exec_lo, s0
	s_cbranch_vccnz .LBB19_1742
; %bb.1723:
	v_cmp_gt_i16_e32 vcc_lo, 2, v11
	s_cbranch_vccnz .LBB19_1727
; %bb.1724:
	v_cmp_gt_i16_e32 vcc_lo, 3, v11
	s_cbranch_vccnz .LBB19_1728
; %bb.1725:
	v_cmp_lt_i16_e32 vcc_lo, 3, v11
	s_cbranch_vccz .LBB19_1729
; %bb.1726:
	global_load_b64 v[12:13], v[9:10], off
	s_mov_b32 s0, 0
	s_waitcnt vmcnt(0)
	v_xor_b32_e32 v5, v12, v13
	v_cls_i32_e32 v7, v13
	s_delay_alu instid0(VALU_DEP_2) | instskip(NEXT) | instid1(VALU_DEP_2)
	v_ashrrev_i32_e32 v5, 31, v5
	v_add_nc_u32_e32 v7, -1, v7
	s_delay_alu instid0(VALU_DEP_2) | instskip(NEXT) | instid1(VALU_DEP_1)
	v_add_nc_u32_e32 v5, 32, v5
	v_min_u32_e32 v5, v7, v5
	s_delay_alu instid0(VALU_DEP_1) | instskip(SKIP_1) | instid1(VALU_DEP_2)
	v_lshlrev_b64 v[12:13], v5, v[12:13]
	v_sub_nc_u32_e32 v5, 32, v5
	v_min_u32_e32 v7, 1, v12
	s_delay_alu instid0(VALU_DEP_1) | instskip(NEXT) | instid1(VALU_DEP_1)
	v_or_b32_e32 v7, v13, v7
	v_cvt_f32_i32_e32 v7, v7
	s_delay_alu instid0(VALU_DEP_1)
	v_ldexp_f32 v5, v7, v5
	s_branch .LBB19_1730
.LBB19_1727:
	s_mov_b32 s0, -1
                                        ; implicit-def: $vgpr5
	s_branch .LBB19_1736
.LBB19_1728:
	s_mov_b32 s0, -1
                                        ; implicit-def: $vgpr5
	s_branch .LBB19_1733
.LBB19_1729:
	s_mov_b32 s0, -1
                                        ; implicit-def: $vgpr5
.LBB19_1730:
	s_delay_alu instid0(SALU_CYCLE_1)
	s_and_not1_b32 vcc_lo, exec_lo, s0
	s_cbranch_vccnz .LBB19_1732
; %bb.1731:
	global_load_b32 v5, v[9:10], off
	s_waitcnt vmcnt(0)
	v_cvt_f32_i32_e32 v5, v5
.LBB19_1732:
	s_mov_b32 s0, 0
.LBB19_1733:
	s_delay_alu instid0(SALU_CYCLE_1)
	s_and_not1_b32 vcc_lo, exec_lo, s0
	s_cbranch_vccnz .LBB19_1735
; %bb.1734:
	global_load_i16 v5, v[9:10], off
	s_waitcnt vmcnt(0)
	v_cvt_f32_i32_e32 v5, v5
.LBB19_1735:
	s_mov_b32 s0, 0
.LBB19_1736:
	s_delay_alu instid0(SALU_CYCLE_1)
	s_and_not1_b32 vcc_lo, exec_lo, s0
	s_cbranch_vccnz .LBB19_1742
; %bb.1737:
	v_cmp_lt_i16_e32 vcc_lo, 0, v11
	s_mov_b32 s0, 0
	s_cbranch_vccz .LBB19_1739
; %bb.1738:
	global_load_i8 v5, v[9:10], off
	s_waitcnt vmcnt(0)
	v_cvt_f32_i32_e32 v5, v5
	s_branch .LBB19_1740
.LBB19_1739:
	s_mov_b32 s0, -1
                                        ; implicit-def: $vgpr5
.LBB19_1740:
	s_delay_alu instid0(SALU_CYCLE_1)
	s_and_not1_b32 vcc_lo, exec_lo, s0
	s_cbranch_vccnz .LBB19_1742
; %bb.1741:
	global_load_u8 v5, v[9:10], off
	s_waitcnt vmcnt(0)
	v_cvt_f32_ubyte0_e32 v5, v5
.LBB19_1742:
	s_mov_b32 s6, -1
.LBB19_1743:
	s_delay_alu instid0(SALU_CYCLE_1)
	s_and_not1_b32 vcc_lo, exec_lo, s6
	s_cbranch_vccnz .LBB19_2186
; %bb.1744:
	s_waitcnt vmcnt(0)
	s_delay_alu instid0(VALU_DEP_1) | instskip(NEXT) | instid1(VALU_DEP_1)
	v_cmp_ge_f32_e64 s0, 0x41000000, |v5|
                                        ; implicit-def: $vgpr10
	s_and_saveexec_b32 s3, s0
	s_delay_alu instid0(SALU_CYCLE_1)
	s_xor_b32 s0, exec_lo, s3
	s_cbranch_execz .LBB19_1750
; %bb.1745:
	v_fma_f32 v7, |v5|, 0.5, -2.0
	s_mov_b32 s3, 0x224cf950
	s_delay_alu instid0(VALU_DEP_1) | instid1(SALU_CYCLE_1)
	v_fmaak_f32 v9, s3, v7, 0xa3c2be86
	s_mov_b32 s3, exec_lo
	s_delay_alu instid0(VALU_DEP_1) | instskip(NEXT) | instid1(VALU_DEP_1)
	v_fmaak_f32 v10, v7, v9, 0xa24cf950
	v_add_f32_e32 v10, 0x25331f1f, v10
	s_delay_alu instid0(VALU_DEP_1) | instskip(NEXT) | instid1(VALU_DEP_1)
	v_fma_f32 v9, v7, v10, -v9
	v_add_f32_e32 v9, 0xa69f5554, v9
	s_delay_alu instid0(VALU_DEP_1) | instskip(NEXT) | instid1(VALU_DEP_1)
	v_fma_f32 v10, v7, v9, -v10
	;; [unrolled: 3-line block ×26, first 2 shown]
	v_add_f32_e32 v7, 0x3e81531c, v7
	s_delay_alu instid0(VALU_DEP_1)
	v_sub_f32_e32 v7, v7, v10
                                        ; implicit-def: $vgpr10
	v_cmpx_ngt_f32_e32 0, v5
	s_xor_b32 s3, exec_lo, s3
	s_cbranch_execz .LBB19_1747
; %bb.1746:
	v_mul_f32_e64 v9, 0x3fb8aa3b, |v5|
	v_mul_f32_e32 v7, 0.5, v7
	v_cmp_ngt_f32_e64 vcc_lo, 0xc2ce8ed0, |v5|
	s_delay_alu instid0(VALU_DEP_3) | instskip(SKIP_1) | instid1(VALU_DEP_4)
	v_rndne_f32_e32 v10, v9
	v_fma_f32 v11, 0x3fb8aa3b, |v5|, -v9
	v_mul_f32_e64 v7, |v5|, v7
	s_delay_alu instid0(VALU_DEP_3) | instskip(NEXT) | instid1(VALU_DEP_3)
	v_sub_f32_e32 v9, v9, v10
	v_fma_f32 v11, 0x32a5705f, |v5|, v11
	v_cvt_i32_f32_e32 v10, v10
	s_delay_alu instid0(VALU_DEP_2) | instskip(NEXT) | instid1(VALU_DEP_1)
	v_add_f32_e32 v9, v9, v11
	v_exp_f32_e32 v9, v9
	s_waitcnt_depctr 0xfff
	v_ldexp_f32 v9, v9, v10
	s_delay_alu instid0(VALU_DEP_1) | instskip(SKIP_1) | instid1(VALU_DEP_2)
	v_cndmask_b32_e32 v9, 0, v9, vcc_lo
	v_cmp_nlt_f32_e64 vcc_lo, 0x42b17218, |v5|
	v_cndmask_b32_e32 v5, 0x7f800000, v9, vcc_lo
	s_delay_alu instid0(VALU_DEP_1)
	v_mul_f32_e32 v10, v5, v7
                                        ; implicit-def: $vgpr5
                                        ; implicit-def: $vgpr7
.LBB19_1747:
	s_and_not1_saveexec_b32 s3, s3
	s_cbranch_execz .LBB19_1749
; %bb.1748:
	v_mul_f32_e64 v9, 0x3fb8aa3b, |v5|
	v_cmp_ngt_f32_e64 vcc_lo, 0xc2ce8ed0, |v5|
	s_delay_alu instid0(VALU_DEP_2) | instskip(SKIP_1) | instid1(VALU_DEP_2)
	v_rndne_f32_e32 v10, v9
	v_fma_f32 v11, 0x3fb8aa3b, |v5|, -v9
	v_sub_f32_e32 v9, v9, v10
	s_delay_alu instid0(VALU_DEP_2) | instskip(SKIP_1) | instid1(VALU_DEP_2)
	v_fma_f32 v11, 0x32a5705f, |v5|, v11
	v_cvt_i32_f32_e32 v10, v10
	v_add_f32_e32 v9, v9, v11
	s_delay_alu instid0(VALU_DEP_1) | instskip(SKIP_2) | instid1(VALU_DEP_1)
	v_exp_f32_e32 v9, v9
	s_waitcnt_depctr 0xfff
	v_ldexp_f32 v9, v9, v10
	v_cndmask_b32_e32 v9, 0, v9, vcc_lo
	v_cmp_nlt_f32_e64 vcc_lo, 0x42b17218, |v5|
	s_delay_alu instid0(VALU_DEP_2) | instskip(SKIP_1) | instid1(VALU_DEP_1)
	v_cndmask_b32_e32 v9, 0x7f800000, v9, vcc_lo
	v_mul_f32_e32 v7, -0.5, v7
	v_mul_f32_e64 v5, |v5|, v7
	s_delay_alu instid0(VALU_DEP_1)
	v_mul_f32_e32 v10, v9, v5
.LBB19_1749:
	s_or_b32 exec_lo, exec_lo, s3
                                        ; implicit-def: $vgpr5
.LBB19_1750:
	s_and_not1_saveexec_b32 s3, s0
	s_cbranch_execz .LBB19_1756
; %bb.1751:
	v_and_b32_e32 v7, 0x7fffffff, v5
	s_mov_b32 s0, 0x230aab6e
	s_delay_alu instid0(VALU_DEP_1) | instskip(NEXT) | instid1(VALU_DEP_1)
	v_div_scale_f32 v9, null, v7, v7, 0x42000000
	v_rcp_f32_e32 v10, v9
	s_waitcnt_depctr 0xfff
	v_fma_f32 v11, -v9, v10, 1.0
	s_delay_alu instid0(VALU_DEP_1) | instskip(SKIP_1) | instid1(VALU_DEP_1)
	v_fmac_f32_e32 v10, v11, v10
	v_div_scale_f32 v7, vcc_lo, 0x42000000, v7, 0x42000000
	v_mul_f32_e32 v11, v7, v10
	s_delay_alu instid0(VALU_DEP_1) | instskip(NEXT) | instid1(VALU_DEP_1)
	v_fma_f32 v12, -v9, v11, v7
	v_fmac_f32_e32 v11, v12, v10
	s_delay_alu instid0(VALU_DEP_1) | instskip(NEXT) | instid1(VALU_DEP_1)
	v_fma_f32 v7, -v9, v11, v7
	v_div_fmas_f32 v7, v7, v10, v11
	v_mul_f32_e64 v11, 0x3fb8aa3b, |v5|
	v_cmp_ngt_f32_e64 vcc_lo, 0xc2ce8ed0, |v5|
	s_delay_alu instid0(VALU_DEP_3) | instskip(NEXT) | instid1(VALU_DEP_3)
	v_div_fixup_f32 v7, v7, |v5|, 0x42000000
	v_rndne_f32_e32 v12, v11
	v_fma_f32 v13, 0x3fb8aa3b, |v5|, -v11
	s_delay_alu instid0(VALU_DEP_3) | instskip(NEXT) | instid1(VALU_DEP_3)
	v_add_f32_e32 v7, -2.0, v7
	v_sub_f32_e32 v11, v11, v12
	s_delay_alu instid0(VALU_DEP_3) | instskip(SKIP_1) | instid1(VALU_DEP_4)
	v_fma_f32 v13, 0x32a5705f, |v5|, v13
	v_cvt_i32_f32_e32 v12, v12
	v_fmaak_f32 v9, s0, v7, 0x22a2dc57
	v_cmp_nlt_f32_e64 s0, 0x42b17218, |v5|
	s_delay_alu instid0(VALU_DEP_4) | instskip(NEXT) | instid1(VALU_DEP_3)
	v_add_f32_e32 v11, v11, v13
	v_fmaak_f32 v10, v7, v9, 0xa30aab6e
	s_delay_alu instid0(VALU_DEP_2) | instskip(NEXT) | instid1(VALU_DEP_1)
	v_exp_f32_e32 v11, v11
	v_add_f32_e32 v10, 0xa456751e, v10
	s_delay_alu instid0(VALU_DEP_1) | instskip(NEXT) | instid1(VALU_DEP_1)
	v_fma_f32 v9, v7, v10, -v9
	v_add_f32_e32 v9, 0xa4140365, v9
	s_delay_alu instid0(VALU_DEP_1) | instskip(NEXT) | instid1(VALU_DEP_1)
	v_fma_f32 v10, v7, v9, -v10
	;; [unrolled: 3-line block ×21, first 2 shown]
	v_add_f32_e32 v9, 0xbc1fed03, v9
	s_delay_alu instid0(VALU_DEP_1) | instskip(SKIP_2) | instid1(VALU_DEP_3)
	v_fma_f32 v7, v7, v9, -v10
	v_ldexp_f32 v9, v11, v12
	v_mul_f32_e64 v11, 0x4f800000, |v5|
	v_add_f32_e32 v7, 0x3f4750c6, v7
	s_delay_alu instid0(VALU_DEP_1) | instskip(NEXT) | instid1(VALU_DEP_1)
	v_dual_cndmask_b32 v9, 0, v9 :: v_dual_sub_f32 v10, v7, v10
	v_cndmask_b32_e64 v7, 0x7f800000, v9, s0
	s_mov_b32 s0, exec_lo
	s_delay_alu instid0(VALU_DEP_2)
	v_mul_f32_e32 v9, 0.5, v10
                                        ; implicit-def: $vgpr10
	v_cmpx_ngt_f32_e32 0, v5
	s_xor_b32 s6, exec_lo, s0
	s_cbranch_execz .LBB19_1753
; %bb.1752:
	v_cmp_gt_f32_e64 vcc_lo, 0xf800000, |v5|
	v_mul_f32_e32 v7, v7, v9
	s_delay_alu instid0(VALU_DEP_2) | instskip(NEXT) | instid1(VALU_DEP_1)
	v_cndmask_b32_e64 v5, |v5|, v11, vcc_lo
	v_sqrt_f32_e32 v10, v5
	s_waitcnt_depctr 0xfff
	v_add_nc_u32_e32 v11, -1, v10
	v_add_nc_u32_e32 v12, 1, v10
	s_delay_alu instid0(VALU_DEP_2) | instskip(NEXT) | instid1(VALU_DEP_2)
	v_fma_f32 v13, -v11, v10, v5
	v_fma_f32 v14, -v12, v10, v5
	s_delay_alu instid0(VALU_DEP_2) | instskip(NEXT) | instid1(VALU_DEP_1)
	v_cmp_ge_f32_e64 s0, 0, v13
	v_cndmask_b32_e64 v10, v10, v11, s0
	s_delay_alu instid0(VALU_DEP_3) | instskip(NEXT) | instid1(VALU_DEP_1)
	v_cmp_lt_f32_e64 s0, 0, v14
	v_cndmask_b32_e64 v10, v10, v12, s0
	s_delay_alu instid0(VALU_DEP_1) | instskip(NEXT) | instid1(VALU_DEP_1)
	v_mul_f32_e32 v11, 0x37800000, v10
	v_cndmask_b32_e32 v10, v10, v11, vcc_lo
	v_cmp_class_f32_e64 vcc_lo, v5, 0x260
	s_delay_alu instid0(VALU_DEP_2) | instskip(NEXT) | instid1(VALU_DEP_1)
	v_cndmask_b32_e32 v5, v10, v5, vcc_lo
	v_div_scale_f32 v9, null, v5, v5, v7
	s_delay_alu instid0(VALU_DEP_1) | instskip(SKIP_2) | instid1(VALU_DEP_1)
	v_rcp_f32_e32 v10, v9
	s_waitcnt_depctr 0xfff
	v_fma_f32 v11, -v9, v10, 1.0
	v_fmac_f32_e32 v10, v11, v10
	v_div_scale_f32 v11, vcc_lo, v7, v5, v7
	s_delay_alu instid0(VALU_DEP_1) | instskip(NEXT) | instid1(VALU_DEP_1)
	v_mul_f32_e32 v12, v11, v10
	v_fma_f32 v13, -v9, v12, v11
	s_delay_alu instid0(VALU_DEP_1) | instskip(NEXT) | instid1(VALU_DEP_1)
	v_fmac_f32_e32 v12, v13, v10
	v_fma_f32 v9, -v9, v12, v11
                                        ; implicit-def: $vgpr11
	s_delay_alu instid0(VALU_DEP_1) | instskip(NEXT) | instid1(VALU_DEP_1)
	v_div_fmas_f32 v9, v9, v10, v12
	v_div_fixup_f32 v10, v9, v5, v7
                                        ; implicit-def: $vgpr5
                                        ; implicit-def: $vgpr7
                                        ; implicit-def: $vgpr9
.LBB19_1753:
	s_and_not1_saveexec_b32 s6, s6
	s_cbranch_execz .LBB19_1755
; %bb.1754:
	v_cmp_gt_f32_e64 vcc_lo, 0xf800000, |v5|
	v_mul_f32_e64 v7, v9, -v7
	s_delay_alu instid0(VALU_DEP_2) | instskip(NEXT) | instid1(VALU_DEP_1)
	v_cndmask_b32_e64 v5, |v5|, v11, vcc_lo
	v_sqrt_f32_e32 v10, v5
	s_waitcnt_depctr 0xfff
	v_add_nc_u32_e32 v11, -1, v10
	v_add_nc_u32_e32 v12, 1, v10
	s_delay_alu instid0(VALU_DEP_2) | instskip(NEXT) | instid1(VALU_DEP_2)
	v_fma_f32 v13, -v11, v10, v5
	v_fma_f32 v14, -v12, v10, v5
	s_delay_alu instid0(VALU_DEP_2) | instskip(NEXT) | instid1(VALU_DEP_1)
	v_cmp_ge_f32_e64 s0, 0, v13
	v_cndmask_b32_e64 v10, v10, v11, s0
	s_delay_alu instid0(VALU_DEP_3) | instskip(NEXT) | instid1(VALU_DEP_1)
	v_cmp_lt_f32_e64 s0, 0, v14
	v_cndmask_b32_e64 v10, v10, v12, s0
	s_delay_alu instid0(VALU_DEP_1) | instskip(NEXT) | instid1(VALU_DEP_1)
	v_mul_f32_e32 v11, 0x37800000, v10
	v_cndmask_b32_e32 v10, v10, v11, vcc_lo
	v_cmp_class_f32_e64 vcc_lo, v5, 0x260
	s_delay_alu instid0(VALU_DEP_2) | instskip(NEXT) | instid1(VALU_DEP_1)
	v_cndmask_b32_e32 v5, v10, v5, vcc_lo
	v_div_scale_f32 v9, null, v5, v5, v7
	s_delay_alu instid0(VALU_DEP_1) | instskip(SKIP_2) | instid1(VALU_DEP_1)
	v_rcp_f32_e32 v10, v9
	s_waitcnt_depctr 0xfff
	v_fma_f32 v11, -v9, v10, 1.0
	v_fmac_f32_e32 v10, v11, v10
	v_div_scale_f32 v11, vcc_lo, v7, v5, v7
	s_delay_alu instid0(VALU_DEP_1) | instskip(NEXT) | instid1(VALU_DEP_1)
	v_mul_f32_e32 v12, v11, v10
	v_fma_f32 v13, -v9, v12, v11
	s_delay_alu instid0(VALU_DEP_1) | instskip(NEXT) | instid1(VALU_DEP_1)
	v_fmac_f32_e32 v12, v13, v10
	v_fma_f32 v9, -v9, v12, v11
	s_delay_alu instid0(VALU_DEP_1) | instskip(NEXT) | instid1(VALU_DEP_1)
	v_div_fmas_f32 v9, v9, v10, v12
	v_div_fixup_f32 v10, v9, v5, v7
.LBB19_1755:
	s_or_b32 exec_lo, exec_lo, s6
.LBB19_1756:
	s_delay_alu instid0(SALU_CYCLE_1) | instskip(SKIP_4) | instid1(VALU_DEP_1)
	s_or_b32 exec_lo, exec_lo, s3
	s_lshr_b32 s0, s2, 8
	s_mov_b32 s3, 0
	v_and_b32_e64 v13, 0xff, s0
	v_add_co_u32 v11, s0, s4, v3
	v_add_co_ci_u32_e64 v12, null, s5, 0, s0
	s_delay_alu instid0(VALU_DEP_3)
	v_cmp_gt_i16_e32 vcc_lo, 11, v13
	s_mov_b32 s0, -1
	s_cbranch_vccnz .LBB19_1834
; %bb.1757:
	v_cmp_lt_i16_e32 vcc_lo, 25, v13
	s_mov_b32 s6, -1
	s_mov_b32 s2, 0
	s_mov_b32 s0, 0
	s_cbranch_vccz .LBB19_1790
; %bb.1758:
	v_cmp_lt_i16_e32 vcc_lo, 28, v13
	s_cbranch_vccz .LBB19_1773
; %bb.1759:
	v_cmp_lt_i16_e32 vcc_lo, 43, v13
	;; [unrolled: 3-line block ×3, first 2 shown]
	s_cbranch_vccz .LBB19_1763
; %bb.1761:
	v_cmp_eq_u16_e32 vcc_lo, 46, v13
	s_mov_b32 s0, -1
	s_mov_b32 s6, 0
	s_cbranch_vccz .LBB19_1763
; %bb.1762:
	v_bfe_u32 v3, v4, 16, 1
	v_cmp_o_f32_e32 vcc_lo, v4, v4
	s_mov_b32 s0, 0
	s_mov_b32 s3, -1
	s_delay_alu instid0(VALU_DEP_2) | instskip(NEXT) | instid1(VALU_DEP_1)
	v_add3_u32 v3, v4, v3, 0x7fff
	v_lshrrev_b32_e32 v3, 16, v3
	s_delay_alu instid0(VALU_DEP_1)
	v_cndmask_b32_e32 v3, 0x7fc0, v3, vcc_lo
	global_store_b32 v[11:12], v3, off
.LBB19_1763:
	s_and_b32 vcc_lo, exec_lo, s6
	s_cbranch_vccz .LBB19_1768
; %bb.1764:
	v_cmp_eq_u16_e32 vcc_lo, 44, v13
	s_mov_b32 s0, -1
	s_cbranch_vccz .LBB19_1768
; %bb.1765:
	v_bfe_u32 v5, v4, 23, 8
	v_mov_b32_e32 v3, 0xff
	s_mov_b32 s3, exec_lo
	s_delay_alu instid0(VALU_DEP_2)
	v_cmpx_ne_u32_e32 0xff, v5
; %bb.1766:
	v_and_b32_e32 v3, 0x400000, v4
	v_and_or_b32 v5, 0x3fffff, v4, v5
	s_delay_alu instid0(VALU_DEP_2) | instskip(NEXT) | instid1(VALU_DEP_2)
	v_cmp_ne_u32_e32 vcc_lo, 0, v3
	v_cmp_ne_u32_e64 s0, 0, v5
	v_lshrrev_b32_e32 v3, 23, v4
	s_delay_alu instid0(VALU_DEP_2) | instskip(NEXT) | instid1(SALU_CYCLE_1)
	s_and_b32 s0, vcc_lo, s0
	v_cndmask_b32_e64 v5, 0, 1, s0
	s_delay_alu instid0(VALU_DEP_1)
	v_add_nc_u32_e32 v3, v3, v5
; %bb.1767:
	s_or_b32 exec_lo, exec_lo, s3
	s_mov_b32 s0, 0
	s_mov_b32 s3, -1
	global_store_b8 v[11:12], v3, off
.LBB19_1768:
	s_mov_b32 s6, 0
.LBB19_1769:
	s_delay_alu instid0(SALU_CYCLE_1)
	s_and_b32 vcc_lo, exec_lo, s6
	s_cbranch_vccz .LBB19_1772
; %bb.1770:
	v_cmp_eq_u16_e32 vcc_lo, 29, v13
	s_mov_b32 s0, -1
	s_cbranch_vccz .LBB19_1772
; %bb.1771:
	v_trunc_f32_e32 v3, v4
	s_mov_b32 s0, 0
	s_mov_b32 s3, -1
	s_delay_alu instid0(VALU_DEP_1) | instskip(NEXT) | instid1(VALU_DEP_1)
	v_mul_f32_e32 v5, 0x2f800000, v3
	v_floor_f32_e32 v5, v5
	s_delay_alu instid0(VALU_DEP_1) | instskip(SKIP_1) | instid1(VALU_DEP_2)
	v_fmamk_f32 v3, v5, 0xcf800000, v3
	v_cvt_u32_f32_e32 v15, v5
	v_cvt_u32_f32_e32 v14, v3
	global_store_b64 v[11:12], v[14:15], off
.LBB19_1772:
	s_mov_b32 s6, 0
.LBB19_1773:
	s_delay_alu instid0(SALU_CYCLE_1)
	s_and_b32 vcc_lo, exec_lo, s6
	s_cbranch_vccz .LBB19_1789
; %bb.1774:
	v_cmp_gt_i16_e32 vcc_lo, 27, v13
	s_mov_b32 s3, -1
	s_cbranch_vccnz .LBB19_1780
; %bb.1775:
	v_cmp_lt_i16_e32 vcc_lo, 27, v13
	v_cvt_u32_f32_e32 v3, v4
	s_cbranch_vccz .LBB19_1777
; %bb.1776:
	s_mov_b32 s3, 0
	global_store_b32 v[11:12], v3, off
.LBB19_1777:
	s_and_not1_b32 vcc_lo, exec_lo, s3
	s_cbranch_vccnz .LBB19_1779
; %bb.1778:
	global_store_b16 v[11:12], v3, off
.LBB19_1779:
	s_mov_b32 s3, 0
.LBB19_1780:
	s_delay_alu instid0(SALU_CYCLE_1)
	s_and_not1_b32 vcc_lo, exec_lo, s3
	s_cbranch_vccnz .LBB19_1788
; %bb.1781:
	v_and_b32_e32 v3, 0x7fffffff, v4
	v_mov_b32_e32 v5, 0x80
	s_mov_b32 s3, exec_lo
	s_delay_alu instid0(VALU_DEP_2)
	v_cmpx_gt_u32_e32 0x43800000, v3
	s_cbranch_execz .LBB19_1787
; %bb.1782:
	v_cmp_lt_u32_e32 vcc_lo, 0x3bffffff, v3
	s_mov_b32 s6, 0
                                        ; implicit-def: $vgpr3
	s_and_saveexec_b32 s7, vcc_lo
	s_delay_alu instid0(SALU_CYCLE_1)
	s_xor_b32 s7, exec_lo, s7
	s_cbranch_execz .LBB19_2234
; %bb.1783:
	v_bfe_u32 v3, v4, 20, 1
	s_mov_b32 s6, exec_lo
	s_delay_alu instid0(VALU_DEP_1) | instskip(NEXT) | instid1(VALU_DEP_1)
	v_add3_u32 v3, v4, v3, 0x487ffff
	v_lshrrev_b32_e32 v3, 20, v3
	s_or_saveexec_b32 s7, s7
                                        ; implicit-def: $sgpr10
	s_delay_alu instid0(SALU_CYCLE_1)
	s_xor_b32 exec_lo, exec_lo, s7
	s_cbranch_execnz .LBB19_2235
.LBB19_1784:
	s_or_b32 exec_lo, exec_lo, s7
	v_mov_b32_e32 v5, s10
	s_and_saveexec_b32 s7, s6
.LBB19_1785:
	v_lshrrev_b32_e32 v5, 24, v4
	s_delay_alu instid0(VALU_DEP_1)
	v_and_or_b32 v5, 0x80, v5, v3
.LBB19_1786:
	s_or_b32 exec_lo, exec_lo, s7
.LBB19_1787:
	s_delay_alu instid0(SALU_CYCLE_1)
	s_or_b32 exec_lo, exec_lo, s3
	global_store_b8 v[11:12], v5, off
.LBB19_1788:
	s_mov_b32 s3, -1
.LBB19_1789:
	s_mov_b32 s6, 0
.LBB19_1790:
	s_delay_alu instid0(SALU_CYCLE_1)
	s_and_b32 vcc_lo, exec_lo, s6
	s_cbranch_vccz .LBB19_1830
; %bb.1791:
	v_cmp_lt_i16_e32 vcc_lo, 22, v13
	s_mov_b32 s2, -1
	s_cbranch_vccz .LBB19_1823
; %bb.1792:
	v_cmp_gt_i16_e32 vcc_lo, 24, v13
	s_cbranch_vccnz .LBB19_1812
; %bb.1793:
	v_cmp_lt_i16_e32 vcc_lo, 24, v13
	s_cbranch_vccz .LBB19_1801
; %bb.1794:
	v_and_b32_e32 v3, 0x7fffffff, v4
	v_mov_b32_e32 v5, 0x80
	s_mov_b32 s2, exec_lo
	s_delay_alu instid0(VALU_DEP_2)
	v_cmpx_gt_u32_e32 0x47800000, v3
	s_cbranch_execz .LBB19_1800
; %bb.1795:
	v_cmp_lt_u32_e32 vcc_lo, 0x37ffffff, v3
	s_mov_b32 s3, 0
                                        ; implicit-def: $vgpr3
	s_and_saveexec_b32 s6, vcc_lo
	s_delay_alu instid0(SALU_CYCLE_1)
	s_xor_b32 s6, exec_lo, s6
	s_cbranch_execz .LBB19_2240
; %bb.1796:
	v_bfe_u32 v3, v4, 21, 1
	s_mov_b32 s3, exec_lo
	s_delay_alu instid0(VALU_DEP_1) | instskip(NEXT) | instid1(VALU_DEP_1)
	v_add3_u32 v3, v4, v3, 0x88fffff
	v_lshrrev_b32_e32 v3, 21, v3
	s_or_saveexec_b32 s6, s6
                                        ; implicit-def: $sgpr7
	s_delay_alu instid0(SALU_CYCLE_1)
	s_xor_b32 exec_lo, exec_lo, s6
	s_cbranch_execnz .LBB19_2241
.LBB19_1797:
	s_or_b32 exec_lo, exec_lo, s6
	v_mov_b32_e32 v5, s7
	s_and_saveexec_b32 s6, s3
.LBB19_1798:
	v_lshrrev_b32_e32 v5, 24, v4
	s_delay_alu instid0(VALU_DEP_1)
	v_and_or_b32 v5, 0x80, v5, v3
.LBB19_1799:
	s_or_b32 exec_lo, exec_lo, s6
.LBB19_1800:
	s_delay_alu instid0(SALU_CYCLE_1)
	s_or_b32 exec_lo, exec_lo, s2
	s_mov_b32 s2, 0
	global_store_b8 v[11:12], v5, off
.LBB19_1801:
	s_and_b32 vcc_lo, exec_lo, s2
	s_cbranch_vccz .LBB19_1811
; %bb.1802:
	v_and_b32_e32 v5, 0x7fffffff, v4
	s_mov_b32 s2, exec_lo
                                        ; implicit-def: $vgpr3
	s_delay_alu instid0(VALU_DEP_1)
	v_cmpx_gt_u32_e32 0x43f00000, v5
	s_xor_b32 s2, exec_lo, s2
	s_cbranch_execz .LBB19_1808
; %bb.1803:
	s_mov_b32 s3, exec_lo
                                        ; implicit-def: $vgpr3
	v_cmpx_lt_u32_e32 0x3c7fffff, v5
	s_xor_b32 s3, exec_lo, s3
; %bb.1804:
	v_bfe_u32 v3, v4, 20, 1
	s_delay_alu instid0(VALU_DEP_1) | instskip(NEXT) | instid1(VALU_DEP_1)
	v_add3_u32 v3, v4, v3, 0x407ffff
	v_and_b32_e32 v5, 0xff00000, v3
	v_lshrrev_b32_e32 v3, 20, v3
	s_delay_alu instid0(VALU_DEP_2) | instskip(NEXT) | instid1(VALU_DEP_2)
	v_cmp_ne_u32_e32 vcc_lo, 0x7f00000, v5
	v_cndmask_b32_e32 v3, 0x7e, v3, vcc_lo
; %bb.1805:
	s_and_not1_saveexec_b32 s3, s3
; %bb.1806:
	v_add_f32_e64 v3, 0x46800000, |v4|
; %bb.1807:
	s_or_b32 exec_lo, exec_lo, s3
                                        ; implicit-def: $vgpr5
.LBB19_1808:
	s_and_not1_saveexec_b32 s2, s2
; %bb.1809:
	v_mov_b32_e32 v3, 0x7f
	v_cmp_lt_u32_e32 vcc_lo, 0x7f800000, v5
	s_delay_alu instid0(VALU_DEP_2)
	v_cndmask_b32_e32 v3, 0x7e, v3, vcc_lo
; %bb.1810:
	s_or_b32 exec_lo, exec_lo, s2
	v_lshrrev_b32_e32 v5, 24, v4
	s_delay_alu instid0(VALU_DEP_1)
	v_and_or_b32 v3, 0x80, v5, v3
	global_store_b8 v[11:12], v3, off
.LBB19_1811:
	s_mov_b32 s2, 0
.LBB19_1812:
	s_delay_alu instid0(SALU_CYCLE_1)
	s_and_not1_b32 vcc_lo, exec_lo, s2
	s_cbranch_vccnz .LBB19_1822
; %bb.1813:
	v_and_b32_e32 v5, 0x7fffffff, v4
	s_mov_b32 s2, exec_lo
                                        ; implicit-def: $vgpr3
	s_delay_alu instid0(VALU_DEP_1)
	v_cmpx_gt_u32_e32 0x47800000, v5
	s_xor_b32 s2, exec_lo, s2
	s_cbranch_execz .LBB19_1819
; %bb.1814:
	s_mov_b32 s3, exec_lo
                                        ; implicit-def: $vgpr3
	v_cmpx_lt_u32_e32 0x387fffff, v5
	s_xor_b32 s3, exec_lo, s3
; %bb.1815:
	v_bfe_u32 v3, v4, 21, 1
	s_delay_alu instid0(VALU_DEP_1) | instskip(NEXT) | instid1(VALU_DEP_1)
	v_add3_u32 v3, v4, v3, 0x80fffff
	v_lshrrev_b32_e32 v3, 21, v3
; %bb.1816:
	s_and_not1_saveexec_b32 s3, s3
; %bb.1817:
	v_add_f32_e64 v3, 0x43000000, |v4|
; %bb.1818:
	s_or_b32 exec_lo, exec_lo, s3
                                        ; implicit-def: $vgpr5
.LBB19_1819:
	s_and_not1_saveexec_b32 s2, s2
; %bb.1820:
	v_mov_b32_e32 v3, 0x7f
	v_cmp_lt_u32_e32 vcc_lo, 0x7f800000, v5
	s_delay_alu instid0(VALU_DEP_2)
	v_cndmask_b32_e32 v3, 0x7c, v3, vcc_lo
; %bb.1821:
	s_or_b32 exec_lo, exec_lo, s2
	v_lshrrev_b32_e32 v5, 24, v4
	s_delay_alu instid0(VALU_DEP_1)
	v_and_or_b32 v3, 0x80, v5, v3
	global_store_b8 v[11:12], v3, off
.LBB19_1822:
	s_mov_b32 s2, 0
	s_mov_b32 s3, -1
.LBB19_1823:
	s_and_not1_b32 vcc_lo, exec_lo, s2
	s_mov_b32 s2, 0
	s_cbranch_vccnz .LBB19_1830
; %bb.1824:
	v_cmp_lt_i16_e32 vcc_lo, 14, v13
	s_mov_b32 s2, -1
	s_cbranch_vccz .LBB19_1828
; %bb.1825:
	v_cmp_eq_u16_e32 vcc_lo, 15, v13
	s_mov_b32 s0, -1
	s_cbranch_vccz .LBB19_1827
; %bb.1826:
	v_bfe_u32 v3, v4, 16, 1
	v_cmp_o_f32_e32 vcc_lo, v4, v4
	s_mov_b32 s0, 0
	s_mov_b32 s3, -1
	s_delay_alu instid0(VALU_DEP_2) | instskip(NEXT) | instid1(VALU_DEP_1)
	v_add3_u32 v3, v4, v3, 0x7fff
	v_lshrrev_b32_e32 v3, 16, v3
	s_delay_alu instid0(VALU_DEP_1)
	v_cndmask_b32_e32 v3, 0x7fc0, v3, vcc_lo
	global_store_b16 v[11:12], v3, off
.LBB19_1827:
	s_mov_b32 s2, 0
.LBB19_1828:
	s_delay_alu instid0(SALU_CYCLE_1)
	s_and_b32 vcc_lo, exec_lo, s2
	s_mov_b32 s2, 0
	s_cbranch_vccz .LBB19_1830
; %bb.1829:
	v_cmp_ne_u16_e64 s0, 11, v13
	s_mov_b32 s2, -1
.LBB19_1830:
	s_delay_alu instid0(VALU_DEP_1)
	s_and_b32 vcc_lo, exec_lo, s0
	s_cbranch_vccnz .LBB19_2238
; %bb.1831:
	s_and_not1_b32 vcc_lo, exec_lo, s2
	s_cbranch_vccnz .LBB19_1833
.LBB19_1832:
	v_cmp_neq_f32_e32 vcc_lo, 0, v4
	s_mov_b32 s3, -1
	v_cndmask_b32_e64 v3, 0, 1, vcc_lo
	global_store_b8 v[11:12], v3, off
.LBB19_1833:
	s_mov_b32 s0, 0
.LBB19_1834:
	s_delay_alu instid0(SALU_CYCLE_1)
	s_and_b32 vcc_lo, exec_lo, s0
	s_cbranch_vccz .LBB19_1873
; %bb.1835:
	v_cmp_gt_i16_e32 vcc_lo, 5, v13
	s_mov_b32 s0, -1
	s_cbranch_vccnz .LBB19_1856
; %bb.1836:
	v_cmp_gt_i16_e32 vcc_lo, 8, v13
	s_cbranch_vccnz .LBB19_1846
; %bb.1837:
	v_cmp_gt_i16_e32 vcc_lo, 9, v13
	s_cbranch_vccnz .LBB19_1843
; %bb.1838:
	v_cmp_lt_i16_e32 vcc_lo, 9, v13
	s_cbranch_vccz .LBB19_1840
; %bb.1839:
	v_cvt_f64_f32_e32 v[14:15], v4
	v_mov_b32_e32 v16, 0
	s_mov_b32 s0, 0
	s_delay_alu instid0(VALU_DEP_1)
	v_mov_b32_e32 v17, v16
	global_store_b128 v[11:12], v[14:17], off
.LBB19_1840:
	s_and_not1_b32 vcc_lo, exec_lo, s0
	s_cbranch_vccnz .LBB19_1842
; %bb.1841:
	v_mov_b32_e32 v5, 0
	global_store_b64 v[11:12], v[4:5], off
.LBB19_1842:
	s_mov_b32 s0, 0
.LBB19_1843:
	s_delay_alu instid0(SALU_CYCLE_1)
	s_and_not1_b32 vcc_lo, exec_lo, s0
	s_cbranch_vccnz .LBB19_1845
; %bb.1844:
	v_cvt_f16_f32_e32 v3, v4
	s_delay_alu instid0(VALU_DEP_1)
	v_and_b32_e32 v3, 0xffff, v3
	global_store_b32 v[11:12], v3, off
.LBB19_1845:
	s_mov_b32 s0, 0
.LBB19_1846:
	s_delay_alu instid0(SALU_CYCLE_1)
	s_and_not1_b32 vcc_lo, exec_lo, s0
	s_cbranch_vccnz .LBB19_1855
; %bb.1847:
	v_cmp_gt_i16_e32 vcc_lo, 6, v13
	s_mov_b32 s0, -1
	s_cbranch_vccnz .LBB19_1853
; %bb.1848:
	v_cmp_lt_i16_e32 vcc_lo, 6, v13
	s_cbranch_vccz .LBB19_1850
; %bb.1849:
	v_cvt_f64_f32_e32 v[14:15], v4
	s_mov_b32 s0, 0
	global_store_b64 v[11:12], v[14:15], off
.LBB19_1850:
	s_and_not1_b32 vcc_lo, exec_lo, s0
	s_cbranch_vccnz .LBB19_1852
; %bb.1851:
	global_store_b32 v[11:12], v4, off
.LBB19_1852:
	s_mov_b32 s0, 0
.LBB19_1853:
	s_delay_alu instid0(SALU_CYCLE_1)
	s_and_not1_b32 vcc_lo, exec_lo, s0
	s_cbranch_vccnz .LBB19_1855
; %bb.1854:
	v_cvt_f16_f32_e32 v3, v4
	global_store_b16 v[11:12], v3, off
.LBB19_1855:
	s_mov_b32 s0, 0
.LBB19_1856:
	s_delay_alu instid0(SALU_CYCLE_1)
	s_and_not1_b32 vcc_lo, exec_lo, s0
	s_cbranch_vccnz .LBB19_1872
; %bb.1857:
	v_cmp_gt_i16_e32 vcc_lo, 2, v13
	s_mov_b32 s0, -1
	s_cbranch_vccnz .LBB19_1867
; %bb.1858:
	v_cmp_gt_i16_e32 vcc_lo, 3, v13
	s_cbranch_vccnz .LBB19_1864
; %bb.1859:
	v_cmp_lt_i16_e32 vcc_lo, 3, v13
	s_cbranch_vccz .LBB19_1861
; %bb.1860:
	v_trunc_f32_e32 v3, v4
	s_mov_b32 s0, 0
	s_delay_alu instid0(VALU_DEP_1) | instskip(NEXT) | instid1(VALU_DEP_1)
	v_mul_f32_e64 v5, 0x2f800000, |v3|
	v_floor_f32_e32 v5, v5
	s_delay_alu instid0(VALU_DEP_1) | instskip(SKIP_2) | instid1(VALU_DEP_3)
	v_fma_f32 v7, 0xcf800000, v5, |v3|
	v_ashrrev_i32_e32 v3, 31, v3
	v_cvt_u32_f32_e32 v5, v5
	v_cvt_u32_f32_e32 v7, v7
	s_delay_alu instid0(VALU_DEP_2) | instskip(NEXT) | instid1(VALU_DEP_2)
	v_xor_b32_e32 v5, v5, v3
	v_xor_b32_e32 v7, v7, v3
	s_delay_alu instid0(VALU_DEP_1) | instskip(NEXT) | instid1(VALU_DEP_3)
	v_sub_co_u32 v14, vcc_lo, v7, v3
	v_sub_co_ci_u32_e32 v15, vcc_lo, v5, v3, vcc_lo
	global_store_b64 v[11:12], v[14:15], off
.LBB19_1861:
	s_and_not1_b32 vcc_lo, exec_lo, s0
	s_cbranch_vccnz .LBB19_1863
; %bb.1862:
	v_cvt_i32_f32_e32 v3, v4
	global_store_b32 v[11:12], v3, off
.LBB19_1863:
	s_mov_b32 s0, 0
.LBB19_1864:
	s_delay_alu instid0(SALU_CYCLE_1)
	s_and_not1_b32 vcc_lo, exec_lo, s0
	s_cbranch_vccnz .LBB19_1866
; %bb.1865:
	v_cvt_i32_f32_e32 v3, v4
	global_store_b16 v[11:12], v3, off
.LBB19_1866:
	s_mov_b32 s0, 0
.LBB19_1867:
	s_delay_alu instid0(SALU_CYCLE_1)
	s_and_not1_b32 vcc_lo, exec_lo, s0
	s_cbranch_vccnz .LBB19_1872
; %bb.1868:
	v_cmp_lt_i16_e32 vcc_lo, 0, v13
	s_mov_b32 s0, -1
	s_cbranch_vccz .LBB19_1870
; %bb.1869:
	v_cvt_i32_f32_e32 v3, v4
	s_mov_b32 s0, 0
	global_store_b8 v[11:12], v3, off
.LBB19_1870:
	s_and_not1_b32 vcc_lo, exec_lo, s0
	s_cbranch_vccnz .LBB19_1872
; %bb.1871:
	v_trunc_f32_e32 v3, v4
	s_delay_alu instid0(VALU_DEP_1) | instskip(NEXT) | instid1(VALU_DEP_1)
	v_mul_f32_e64 v4, 0x2f800000, |v3|
	v_floor_f32_e32 v4, v4
	s_delay_alu instid0(VALU_DEP_1) | instskip(SKIP_1) | instid1(VALU_DEP_2)
	v_fma_f32 v4, 0xcf800000, v4, |v3|
	v_ashrrev_i32_e32 v3, 31, v3
	v_cvt_u32_f32_e32 v4, v4
	s_delay_alu instid0(VALU_DEP_1) | instskip(NEXT) | instid1(VALU_DEP_1)
	v_xor_b32_e32 v4, v4, v3
	v_sub_nc_u32_e32 v3, v4, v3
	global_store_b8 v[11:12], v3, off
.LBB19_1872:
	s_mov_b32 s3, -1
.LBB19_1873:
	s_delay_alu instid0(SALU_CYCLE_1)
	s_and_not1_b32 vcc_lo, exec_lo, s3
	s_cbranch_vccnz .LBB19_2231
; %bb.1874:
	v_cmp_gt_i16_e32 vcc_lo, 11, v13
	v_add_co_u32 v2, s0, s4, v2
	s_delay_alu instid0(VALU_DEP_1)
	v_add_co_ci_u32_e64 v3, null, s5, 0, s0
	s_mov_b32 s3, 0
	s_mov_b32 s0, -1
	s_cbranch_vccnz .LBB19_1952
; %bb.1875:
	v_cmp_lt_i16_e32 vcc_lo, 25, v13
	s_mov_b32 s6, -1
	s_mov_b32 s2, 0
	s_mov_b32 s0, 0
	s_cbranch_vccz .LBB19_1908
; %bb.1876:
	v_cmp_lt_i16_e32 vcc_lo, 28, v13
	s_cbranch_vccz .LBB19_1891
; %bb.1877:
	v_cmp_lt_i16_e32 vcc_lo, 43, v13
	;; [unrolled: 3-line block ×3, first 2 shown]
	s_cbranch_vccz .LBB19_1881
; %bb.1879:
	v_cmp_eq_u16_e32 vcc_lo, 46, v13
	s_mov_b32 s0, -1
	s_mov_b32 s6, 0
	s_cbranch_vccz .LBB19_1881
; %bb.1880:
	v_bfe_u32 v4, v6, 16, 1
	v_cmp_o_f32_e32 vcc_lo, v6, v6
	s_mov_b32 s0, 0
	s_mov_b32 s3, -1
	s_delay_alu instid0(VALU_DEP_2) | instskip(NEXT) | instid1(VALU_DEP_1)
	v_add3_u32 v4, v6, v4, 0x7fff
	v_lshrrev_b32_e32 v4, 16, v4
	s_delay_alu instid0(VALU_DEP_1)
	v_cndmask_b32_e32 v4, 0x7fc0, v4, vcc_lo
	global_store_b32 v[2:3], v4, off
.LBB19_1881:
	s_and_b32 vcc_lo, exec_lo, s6
	s_cbranch_vccz .LBB19_1886
; %bb.1882:
	v_cmp_eq_u16_e32 vcc_lo, 44, v13
	s_mov_b32 s0, -1
	s_cbranch_vccz .LBB19_1886
; %bb.1883:
	v_bfe_u32 v5, v6, 23, 8
	v_mov_b32_e32 v4, 0xff
	s_mov_b32 s3, exec_lo
	s_delay_alu instid0(VALU_DEP_2)
	v_cmpx_ne_u32_e32 0xff, v5
; %bb.1884:
	v_and_b32_e32 v4, 0x400000, v6
	v_and_or_b32 v5, 0x3fffff, v6, v5
	s_delay_alu instid0(VALU_DEP_2) | instskip(NEXT) | instid1(VALU_DEP_2)
	v_cmp_ne_u32_e32 vcc_lo, 0, v4
	v_cmp_ne_u32_e64 s0, 0, v5
	v_lshrrev_b32_e32 v4, 23, v6
	s_delay_alu instid0(VALU_DEP_2) | instskip(NEXT) | instid1(SALU_CYCLE_1)
	s_and_b32 s0, vcc_lo, s0
	v_cndmask_b32_e64 v5, 0, 1, s0
	s_delay_alu instid0(VALU_DEP_1)
	v_add_nc_u32_e32 v4, v4, v5
; %bb.1885:
	s_or_b32 exec_lo, exec_lo, s3
	s_mov_b32 s0, 0
	s_mov_b32 s3, -1
	global_store_b8 v[2:3], v4, off
.LBB19_1886:
	s_mov_b32 s6, 0
.LBB19_1887:
	s_delay_alu instid0(SALU_CYCLE_1)
	s_and_b32 vcc_lo, exec_lo, s6
	s_cbranch_vccz .LBB19_1890
; %bb.1888:
	v_cmp_eq_u16_e32 vcc_lo, 29, v13
	s_mov_b32 s0, -1
	s_cbranch_vccz .LBB19_1890
; %bb.1889:
	v_trunc_f32_e32 v4, v6
	s_mov_b32 s0, 0
	s_mov_b32 s3, -1
	s_delay_alu instid0(VALU_DEP_1) | instskip(NEXT) | instid1(VALU_DEP_1)
	v_mul_f32_e32 v5, 0x2f800000, v4
	v_floor_f32_e32 v5, v5
	s_delay_alu instid0(VALU_DEP_1) | instskip(SKIP_1) | instid1(VALU_DEP_2)
	v_fmamk_f32 v4, v5, 0xcf800000, v4
	v_cvt_u32_f32_e32 v5, v5
	v_cvt_u32_f32_e32 v4, v4
	global_store_b64 v[2:3], v[4:5], off
.LBB19_1890:
	s_mov_b32 s6, 0
.LBB19_1891:
	s_delay_alu instid0(SALU_CYCLE_1)
	s_and_b32 vcc_lo, exec_lo, s6
	s_cbranch_vccz .LBB19_1907
; %bb.1892:
	v_cmp_gt_i16_e32 vcc_lo, 27, v13
	s_mov_b32 s3, -1
	s_cbranch_vccnz .LBB19_1898
; %bb.1893:
	v_cmp_lt_i16_e32 vcc_lo, 27, v13
	v_cvt_u32_f32_e32 v4, v6
	s_cbranch_vccz .LBB19_1895
; %bb.1894:
	s_mov_b32 s3, 0
	global_store_b32 v[2:3], v4, off
.LBB19_1895:
	s_and_not1_b32 vcc_lo, exec_lo, s3
	s_cbranch_vccnz .LBB19_1897
; %bb.1896:
	global_store_b16 v[2:3], v4, off
.LBB19_1897:
	s_mov_b32 s3, 0
.LBB19_1898:
	s_delay_alu instid0(SALU_CYCLE_1)
	s_and_not1_b32 vcc_lo, exec_lo, s3
	s_cbranch_vccnz .LBB19_1906
; %bb.1899:
	v_and_b32_e32 v4, 0x7fffffff, v6
	v_mov_b32_e32 v5, 0x80
	s_mov_b32 s3, exec_lo
	s_delay_alu instid0(VALU_DEP_2)
	v_cmpx_gt_u32_e32 0x43800000, v4
	s_cbranch_execz .LBB19_1905
; %bb.1900:
	v_cmp_lt_u32_e32 vcc_lo, 0x3bffffff, v4
	s_mov_b32 s6, 0
                                        ; implicit-def: $vgpr4
	s_and_saveexec_b32 s7, vcc_lo
	s_delay_alu instid0(SALU_CYCLE_1)
	s_xor_b32 s7, exec_lo, s7
	s_cbranch_execz .LBB19_2242
; %bb.1901:
	v_bfe_u32 v4, v6, 20, 1
	s_mov_b32 s6, exec_lo
	s_delay_alu instid0(VALU_DEP_1) | instskip(NEXT) | instid1(VALU_DEP_1)
	v_add3_u32 v4, v6, v4, 0x487ffff
	v_lshrrev_b32_e32 v4, 20, v4
	s_or_saveexec_b32 s7, s7
                                        ; implicit-def: $sgpr10
	s_delay_alu instid0(SALU_CYCLE_1)
	s_xor_b32 exec_lo, exec_lo, s7
	s_cbranch_execnz .LBB19_2243
.LBB19_1902:
	s_or_b32 exec_lo, exec_lo, s7
	v_mov_b32_e32 v5, s10
	s_and_saveexec_b32 s7, s6
.LBB19_1903:
	v_lshrrev_b32_e32 v5, 24, v6
	s_delay_alu instid0(VALU_DEP_1)
	v_and_or_b32 v5, 0x80, v5, v4
.LBB19_1904:
	s_or_b32 exec_lo, exec_lo, s7
.LBB19_1905:
	s_delay_alu instid0(SALU_CYCLE_1)
	s_or_b32 exec_lo, exec_lo, s3
	global_store_b8 v[2:3], v5, off
.LBB19_1906:
	s_mov_b32 s3, -1
.LBB19_1907:
	s_mov_b32 s6, 0
.LBB19_1908:
	s_delay_alu instid0(SALU_CYCLE_1)
	s_and_b32 vcc_lo, exec_lo, s6
	s_cbranch_vccz .LBB19_1948
; %bb.1909:
	v_cmp_lt_i16_e32 vcc_lo, 22, v13
	s_mov_b32 s2, -1
	s_cbranch_vccz .LBB19_1941
; %bb.1910:
	v_cmp_gt_i16_e32 vcc_lo, 24, v13
	s_cbranch_vccnz .LBB19_1930
; %bb.1911:
	v_cmp_lt_i16_e32 vcc_lo, 24, v13
	s_cbranch_vccz .LBB19_1919
; %bb.1912:
	v_and_b32_e32 v4, 0x7fffffff, v6
	v_mov_b32_e32 v5, 0x80
	s_mov_b32 s2, exec_lo
	s_delay_alu instid0(VALU_DEP_2)
	v_cmpx_gt_u32_e32 0x47800000, v4
	s_cbranch_execz .LBB19_1918
; %bb.1913:
	v_cmp_lt_u32_e32 vcc_lo, 0x37ffffff, v4
	s_mov_b32 s3, 0
                                        ; implicit-def: $vgpr4
	s_and_saveexec_b32 s6, vcc_lo
	s_delay_alu instid0(SALU_CYCLE_1)
	s_xor_b32 s6, exec_lo, s6
	s_cbranch_execz .LBB19_2248
; %bb.1914:
	v_bfe_u32 v4, v6, 21, 1
	s_mov_b32 s3, exec_lo
	s_delay_alu instid0(VALU_DEP_1) | instskip(NEXT) | instid1(VALU_DEP_1)
	v_add3_u32 v4, v6, v4, 0x88fffff
	v_lshrrev_b32_e32 v4, 21, v4
	s_or_saveexec_b32 s6, s6
                                        ; implicit-def: $sgpr7
	s_delay_alu instid0(SALU_CYCLE_1)
	s_xor_b32 exec_lo, exec_lo, s6
	s_cbranch_execnz .LBB19_2249
.LBB19_1915:
	s_or_b32 exec_lo, exec_lo, s6
	v_mov_b32_e32 v5, s7
	s_and_saveexec_b32 s6, s3
.LBB19_1916:
	v_lshrrev_b32_e32 v5, 24, v6
	s_delay_alu instid0(VALU_DEP_1)
	v_and_or_b32 v5, 0x80, v5, v4
.LBB19_1917:
	s_or_b32 exec_lo, exec_lo, s6
.LBB19_1918:
	s_delay_alu instid0(SALU_CYCLE_1)
	s_or_b32 exec_lo, exec_lo, s2
	s_mov_b32 s2, 0
	global_store_b8 v[2:3], v5, off
.LBB19_1919:
	s_and_b32 vcc_lo, exec_lo, s2
	s_cbranch_vccz .LBB19_1929
; %bb.1920:
	v_and_b32_e32 v5, 0x7fffffff, v6
	s_mov_b32 s2, exec_lo
                                        ; implicit-def: $vgpr4
	s_delay_alu instid0(VALU_DEP_1)
	v_cmpx_gt_u32_e32 0x43f00000, v5
	s_xor_b32 s2, exec_lo, s2
	s_cbranch_execz .LBB19_1926
; %bb.1921:
	s_mov_b32 s3, exec_lo
                                        ; implicit-def: $vgpr4
	v_cmpx_lt_u32_e32 0x3c7fffff, v5
	s_xor_b32 s3, exec_lo, s3
; %bb.1922:
	v_bfe_u32 v4, v6, 20, 1
	s_delay_alu instid0(VALU_DEP_1) | instskip(NEXT) | instid1(VALU_DEP_1)
	v_add3_u32 v4, v6, v4, 0x407ffff
	v_and_b32_e32 v5, 0xff00000, v4
	v_lshrrev_b32_e32 v4, 20, v4
	s_delay_alu instid0(VALU_DEP_2) | instskip(NEXT) | instid1(VALU_DEP_2)
	v_cmp_ne_u32_e32 vcc_lo, 0x7f00000, v5
	v_cndmask_b32_e32 v4, 0x7e, v4, vcc_lo
; %bb.1923:
	s_and_not1_saveexec_b32 s3, s3
; %bb.1924:
	v_add_f32_e64 v4, 0x46800000, |v6|
; %bb.1925:
	s_or_b32 exec_lo, exec_lo, s3
                                        ; implicit-def: $vgpr5
.LBB19_1926:
	s_and_not1_saveexec_b32 s2, s2
; %bb.1927:
	v_mov_b32_e32 v4, 0x7f
	v_cmp_lt_u32_e32 vcc_lo, 0x7f800000, v5
	s_delay_alu instid0(VALU_DEP_2)
	v_cndmask_b32_e32 v4, 0x7e, v4, vcc_lo
; %bb.1928:
	s_or_b32 exec_lo, exec_lo, s2
	v_lshrrev_b32_e32 v5, 24, v6
	s_delay_alu instid0(VALU_DEP_1)
	v_and_or_b32 v4, 0x80, v5, v4
	global_store_b8 v[2:3], v4, off
.LBB19_1929:
	s_mov_b32 s2, 0
.LBB19_1930:
	s_delay_alu instid0(SALU_CYCLE_1)
	s_and_not1_b32 vcc_lo, exec_lo, s2
	s_cbranch_vccnz .LBB19_1940
; %bb.1931:
	v_and_b32_e32 v5, 0x7fffffff, v6
	s_mov_b32 s2, exec_lo
                                        ; implicit-def: $vgpr4
	s_delay_alu instid0(VALU_DEP_1)
	v_cmpx_gt_u32_e32 0x47800000, v5
	s_xor_b32 s2, exec_lo, s2
	s_cbranch_execz .LBB19_1937
; %bb.1932:
	s_mov_b32 s3, exec_lo
                                        ; implicit-def: $vgpr4
	v_cmpx_lt_u32_e32 0x387fffff, v5
	s_xor_b32 s3, exec_lo, s3
; %bb.1933:
	v_bfe_u32 v4, v6, 21, 1
	s_delay_alu instid0(VALU_DEP_1) | instskip(NEXT) | instid1(VALU_DEP_1)
	v_add3_u32 v4, v6, v4, 0x80fffff
	v_lshrrev_b32_e32 v4, 21, v4
; %bb.1934:
	s_and_not1_saveexec_b32 s3, s3
; %bb.1935:
	v_add_f32_e64 v4, 0x43000000, |v6|
; %bb.1936:
	s_or_b32 exec_lo, exec_lo, s3
                                        ; implicit-def: $vgpr5
.LBB19_1937:
	s_and_not1_saveexec_b32 s2, s2
; %bb.1938:
	v_mov_b32_e32 v4, 0x7f
	v_cmp_lt_u32_e32 vcc_lo, 0x7f800000, v5
	s_delay_alu instid0(VALU_DEP_2)
	v_cndmask_b32_e32 v4, 0x7c, v4, vcc_lo
; %bb.1939:
	s_or_b32 exec_lo, exec_lo, s2
	v_lshrrev_b32_e32 v5, 24, v6
	s_delay_alu instid0(VALU_DEP_1)
	v_and_or_b32 v4, 0x80, v5, v4
	global_store_b8 v[2:3], v4, off
.LBB19_1940:
	s_mov_b32 s2, 0
	s_mov_b32 s3, -1
.LBB19_1941:
	s_and_not1_b32 vcc_lo, exec_lo, s2
	s_mov_b32 s2, 0
	s_cbranch_vccnz .LBB19_1948
; %bb.1942:
	v_cmp_lt_i16_e32 vcc_lo, 14, v13
	s_mov_b32 s2, -1
	s_cbranch_vccz .LBB19_1946
; %bb.1943:
	v_cmp_eq_u16_e32 vcc_lo, 15, v13
	s_mov_b32 s0, -1
	s_cbranch_vccz .LBB19_1945
; %bb.1944:
	v_bfe_u32 v4, v6, 16, 1
	v_cmp_o_f32_e32 vcc_lo, v6, v6
	s_mov_b32 s0, 0
	s_mov_b32 s3, -1
	s_delay_alu instid0(VALU_DEP_2) | instskip(NEXT) | instid1(VALU_DEP_1)
	v_add3_u32 v4, v6, v4, 0x7fff
	v_lshrrev_b32_e32 v4, 16, v4
	s_delay_alu instid0(VALU_DEP_1)
	v_cndmask_b32_e32 v4, 0x7fc0, v4, vcc_lo
	global_store_b16 v[2:3], v4, off
.LBB19_1945:
	s_mov_b32 s2, 0
.LBB19_1946:
	s_delay_alu instid0(SALU_CYCLE_1)
	s_and_b32 vcc_lo, exec_lo, s2
	s_mov_b32 s2, 0
	s_cbranch_vccz .LBB19_1948
; %bb.1947:
	v_cmp_ne_u16_e64 s0, 11, v13
	s_mov_b32 s2, -1
.LBB19_1948:
	s_delay_alu instid0(VALU_DEP_1)
	s_and_b32 vcc_lo, exec_lo, s0
	s_cbranch_vccnz .LBB19_2246
; %bb.1949:
	s_and_not1_b32 vcc_lo, exec_lo, s2
	s_cbranch_vccnz .LBB19_1951
.LBB19_1950:
	v_cmp_neq_f32_e32 vcc_lo, 0, v6
	s_mov_b32 s3, -1
	v_cndmask_b32_e64 v4, 0, 1, vcc_lo
	global_store_b8 v[2:3], v4, off
.LBB19_1951:
	s_mov_b32 s0, 0
.LBB19_1952:
	s_delay_alu instid0(SALU_CYCLE_1)
	s_and_b32 vcc_lo, exec_lo, s0
	s_cbranch_vccz .LBB19_1991
; %bb.1953:
	v_cmp_gt_i16_e32 vcc_lo, 5, v13
	s_mov_b32 s0, -1
	s_cbranch_vccnz .LBB19_1974
; %bb.1954:
	v_cmp_gt_i16_e32 vcc_lo, 8, v13
	s_cbranch_vccnz .LBB19_1964
; %bb.1955:
	v_cmp_gt_i16_e32 vcc_lo, 9, v13
	s_cbranch_vccnz .LBB19_1961
; %bb.1956:
	v_cmp_lt_i16_e32 vcc_lo, 9, v13
	s_cbranch_vccz .LBB19_1958
; %bb.1957:
	v_cvt_f64_f32_e32 v[14:15], v6
	v_mov_b32_e32 v16, 0
	s_mov_b32 s0, 0
	s_delay_alu instid0(VALU_DEP_1)
	v_mov_b32_e32 v17, v16
	global_store_b128 v[2:3], v[14:17], off
.LBB19_1958:
	s_and_not1_b32 vcc_lo, exec_lo, s0
	s_cbranch_vccnz .LBB19_1960
; %bb.1959:
	v_mov_b32_e32 v7, 0
	global_store_b64 v[2:3], v[6:7], off
.LBB19_1960:
	s_mov_b32 s0, 0
.LBB19_1961:
	s_delay_alu instid0(SALU_CYCLE_1)
	s_and_not1_b32 vcc_lo, exec_lo, s0
	s_cbranch_vccnz .LBB19_1963
; %bb.1962:
	v_cvt_f16_f32_e32 v4, v6
	s_delay_alu instid0(VALU_DEP_1)
	v_and_b32_e32 v4, 0xffff, v4
	global_store_b32 v[2:3], v4, off
.LBB19_1963:
	s_mov_b32 s0, 0
.LBB19_1964:
	s_delay_alu instid0(SALU_CYCLE_1)
	s_and_not1_b32 vcc_lo, exec_lo, s0
	s_cbranch_vccnz .LBB19_1973
; %bb.1965:
	v_cmp_gt_i16_e32 vcc_lo, 6, v13
	s_mov_b32 s0, -1
	s_cbranch_vccnz .LBB19_1971
; %bb.1966:
	v_cmp_lt_i16_e32 vcc_lo, 6, v13
	s_cbranch_vccz .LBB19_1968
; %bb.1967:
	v_cvt_f64_f32_e32 v[4:5], v6
	s_mov_b32 s0, 0
	global_store_b64 v[2:3], v[4:5], off
.LBB19_1968:
	s_and_not1_b32 vcc_lo, exec_lo, s0
	s_cbranch_vccnz .LBB19_1970
; %bb.1969:
	global_store_b32 v[2:3], v6, off
.LBB19_1970:
	s_mov_b32 s0, 0
.LBB19_1971:
	s_delay_alu instid0(SALU_CYCLE_1)
	s_and_not1_b32 vcc_lo, exec_lo, s0
	s_cbranch_vccnz .LBB19_1973
; %bb.1972:
	v_cvt_f16_f32_e32 v4, v6
	global_store_b16 v[2:3], v4, off
.LBB19_1973:
	s_mov_b32 s0, 0
.LBB19_1974:
	s_delay_alu instid0(SALU_CYCLE_1)
	s_and_not1_b32 vcc_lo, exec_lo, s0
	s_cbranch_vccnz .LBB19_1990
; %bb.1975:
	v_cmp_gt_i16_e32 vcc_lo, 2, v13
	s_mov_b32 s0, -1
	s_cbranch_vccnz .LBB19_1985
; %bb.1976:
	v_cmp_gt_i16_e32 vcc_lo, 3, v13
	s_cbranch_vccnz .LBB19_1982
; %bb.1977:
	v_cmp_lt_i16_e32 vcc_lo, 3, v13
	s_cbranch_vccz .LBB19_1979
; %bb.1978:
	v_trunc_f32_e32 v4, v6
	s_mov_b32 s0, 0
	s_delay_alu instid0(VALU_DEP_1) | instskip(SKIP_1) | instid1(VALU_DEP_2)
	v_mul_f32_e64 v5, 0x2f800000, |v4|
	v_ashrrev_i32_e32 v9, 31, v4
	v_floor_f32_e32 v5, v5
	s_delay_alu instid0(VALU_DEP_1) | instskip(SKIP_1) | instid1(VALU_DEP_2)
	v_fma_f32 v7, 0xcf800000, v5, |v4|
	v_cvt_u32_f32_e32 v5, v5
	v_cvt_u32_f32_e32 v4, v7
	s_delay_alu instid0(VALU_DEP_2) | instskip(NEXT) | instid1(VALU_DEP_2)
	v_xor_b32_e32 v5, v5, v9
	v_xor_b32_e32 v4, v4, v9
	s_delay_alu instid0(VALU_DEP_1) | instskip(NEXT) | instid1(VALU_DEP_3)
	v_sub_co_u32 v4, vcc_lo, v4, v9
	v_sub_co_ci_u32_e32 v5, vcc_lo, v5, v9, vcc_lo
	global_store_b64 v[2:3], v[4:5], off
.LBB19_1979:
	s_and_not1_b32 vcc_lo, exec_lo, s0
	s_cbranch_vccnz .LBB19_1981
; %bb.1980:
	v_cvt_i32_f32_e32 v4, v6
	global_store_b32 v[2:3], v4, off
.LBB19_1981:
	s_mov_b32 s0, 0
.LBB19_1982:
	s_delay_alu instid0(SALU_CYCLE_1)
	s_and_not1_b32 vcc_lo, exec_lo, s0
	s_cbranch_vccnz .LBB19_1984
; %bb.1983:
	v_cvt_i32_f32_e32 v4, v6
	global_store_b16 v[2:3], v4, off
.LBB19_1984:
	s_mov_b32 s0, 0
.LBB19_1985:
	s_delay_alu instid0(SALU_CYCLE_1)
	s_and_not1_b32 vcc_lo, exec_lo, s0
	s_cbranch_vccnz .LBB19_1990
; %bb.1986:
	v_cmp_lt_i16_e32 vcc_lo, 0, v13
	s_mov_b32 s0, -1
	s_cbranch_vccz .LBB19_1988
; %bb.1987:
	v_cvt_i32_f32_e32 v4, v6
	s_mov_b32 s0, 0
	global_store_b8 v[2:3], v4, off
.LBB19_1988:
	s_and_not1_b32 vcc_lo, exec_lo, s0
	s_cbranch_vccnz .LBB19_1990
; %bb.1989:
	v_trunc_f32_e32 v4, v6
	s_delay_alu instid0(VALU_DEP_1) | instskip(NEXT) | instid1(VALU_DEP_1)
	v_mul_f32_e64 v5, 0x2f800000, |v4|
	v_floor_f32_e32 v5, v5
	s_delay_alu instid0(VALU_DEP_1) | instskip(SKIP_1) | instid1(VALU_DEP_2)
	v_fma_f32 v5, 0xcf800000, v5, |v4|
	v_ashrrev_i32_e32 v4, 31, v4
	v_cvt_u32_f32_e32 v5, v5
	s_delay_alu instid0(VALU_DEP_1) | instskip(NEXT) | instid1(VALU_DEP_1)
	v_xor_b32_e32 v5, v5, v4
	v_sub_nc_u32_e32 v4, v5, v4
	global_store_b8 v[2:3], v4, off
.LBB19_1990:
	s_mov_b32 s3, -1
.LBB19_1991:
	s_delay_alu instid0(SALU_CYCLE_1)
	s_and_not1_b32 vcc_lo, exec_lo, s3
	s_cbranch_vccnz .LBB19_2231
; %bb.1992:
	v_cmp_gt_i16_e32 vcc_lo, 11, v13
	v_add_co_u32 v1, s0, s4, v1
	s_delay_alu instid0(VALU_DEP_1)
	v_add_co_ci_u32_e64 v2, null, s5, 0, s0
	s_mov_b32 s3, 0
	s_mov_b32 s0, -1
	s_cbranch_vccnz .LBB19_2070
; %bb.1993:
	v_cmp_lt_i16_e32 vcc_lo, 25, v13
	s_mov_b32 s6, -1
	s_mov_b32 s2, 0
	s_mov_b32 s0, 0
	s_cbranch_vccz .LBB19_2026
; %bb.1994:
	v_cmp_lt_i16_e32 vcc_lo, 28, v13
	s_cbranch_vccz .LBB19_2009
; %bb.1995:
	v_cmp_lt_i16_e32 vcc_lo, 43, v13
	;; [unrolled: 3-line block ×3, first 2 shown]
	s_cbranch_vccz .LBB19_1999
; %bb.1997:
	v_cmp_eq_u16_e32 vcc_lo, 46, v13
	s_mov_b32 s0, -1
	s_mov_b32 s6, 0
	s_cbranch_vccz .LBB19_1999
; %bb.1998:
	v_bfe_u32 v3, v8, 16, 1
	v_cmp_o_f32_e32 vcc_lo, v8, v8
	s_mov_b32 s0, 0
	s_mov_b32 s3, -1
	s_delay_alu instid0(VALU_DEP_2) | instskip(NEXT) | instid1(VALU_DEP_1)
	v_add3_u32 v3, v8, v3, 0x7fff
	v_lshrrev_b32_e32 v3, 16, v3
	s_delay_alu instid0(VALU_DEP_1)
	v_cndmask_b32_e32 v3, 0x7fc0, v3, vcc_lo
	global_store_b32 v[1:2], v3, off
.LBB19_1999:
	s_and_b32 vcc_lo, exec_lo, s6
	s_cbranch_vccz .LBB19_2004
; %bb.2000:
	v_cmp_eq_u16_e32 vcc_lo, 44, v13
	s_mov_b32 s0, -1
	s_cbranch_vccz .LBB19_2004
; %bb.2001:
	v_bfe_u32 v4, v8, 23, 8
	v_mov_b32_e32 v3, 0xff
	s_mov_b32 s3, exec_lo
	s_delay_alu instid0(VALU_DEP_2)
	v_cmpx_ne_u32_e32 0xff, v4
; %bb.2002:
	v_and_b32_e32 v3, 0x400000, v8
	v_and_or_b32 v4, 0x3fffff, v8, v4
	s_delay_alu instid0(VALU_DEP_2) | instskip(NEXT) | instid1(VALU_DEP_2)
	v_cmp_ne_u32_e32 vcc_lo, 0, v3
	v_cmp_ne_u32_e64 s0, 0, v4
	v_lshrrev_b32_e32 v3, 23, v8
	s_delay_alu instid0(VALU_DEP_2) | instskip(NEXT) | instid1(SALU_CYCLE_1)
	s_and_b32 s0, vcc_lo, s0
	v_cndmask_b32_e64 v4, 0, 1, s0
	s_delay_alu instid0(VALU_DEP_1)
	v_add_nc_u32_e32 v3, v3, v4
; %bb.2003:
	s_or_b32 exec_lo, exec_lo, s3
	s_mov_b32 s0, 0
	s_mov_b32 s3, -1
	global_store_b8 v[1:2], v3, off
.LBB19_2004:
	s_mov_b32 s6, 0
.LBB19_2005:
	s_delay_alu instid0(SALU_CYCLE_1)
	s_and_b32 vcc_lo, exec_lo, s6
	s_cbranch_vccz .LBB19_2008
; %bb.2006:
	v_cmp_eq_u16_e32 vcc_lo, 29, v13
	s_mov_b32 s0, -1
	s_cbranch_vccz .LBB19_2008
; %bb.2007:
	v_trunc_f32_e32 v3, v8
	s_mov_b32 s0, 0
	s_mov_b32 s3, -1
	s_delay_alu instid0(VALU_DEP_1) | instskip(NEXT) | instid1(VALU_DEP_1)
	v_mul_f32_e32 v4, 0x2f800000, v3
	v_floor_f32_e32 v4, v4
	s_delay_alu instid0(VALU_DEP_1) | instskip(SKIP_1) | instid1(VALU_DEP_2)
	v_fmamk_f32 v3, v4, 0xcf800000, v3
	v_cvt_u32_f32_e32 v4, v4
	v_cvt_u32_f32_e32 v3, v3
	global_store_b64 v[1:2], v[3:4], off
.LBB19_2008:
	s_mov_b32 s6, 0
.LBB19_2009:
	s_delay_alu instid0(SALU_CYCLE_1)
	s_and_b32 vcc_lo, exec_lo, s6
	s_cbranch_vccz .LBB19_2025
; %bb.2010:
	v_cmp_gt_i16_e32 vcc_lo, 27, v13
	s_mov_b32 s3, -1
	s_cbranch_vccnz .LBB19_2016
; %bb.2011:
	v_cmp_lt_i16_e32 vcc_lo, 27, v13
	v_cvt_u32_f32_e32 v3, v8
	s_cbranch_vccz .LBB19_2013
; %bb.2012:
	s_mov_b32 s3, 0
	global_store_b32 v[1:2], v3, off
.LBB19_2013:
	s_and_not1_b32 vcc_lo, exec_lo, s3
	s_cbranch_vccnz .LBB19_2015
; %bb.2014:
	global_store_b16 v[1:2], v3, off
.LBB19_2015:
	s_mov_b32 s3, 0
.LBB19_2016:
	s_delay_alu instid0(SALU_CYCLE_1)
	s_and_not1_b32 vcc_lo, exec_lo, s3
	s_cbranch_vccnz .LBB19_2024
; %bb.2017:
	v_and_b32_e32 v3, 0x7fffffff, v8
	v_mov_b32_e32 v4, 0x80
	s_mov_b32 s3, exec_lo
	s_delay_alu instid0(VALU_DEP_2)
	v_cmpx_gt_u32_e32 0x43800000, v3
	s_cbranch_execz .LBB19_2023
; %bb.2018:
	v_cmp_lt_u32_e32 vcc_lo, 0x3bffffff, v3
	s_mov_b32 s6, 0
                                        ; implicit-def: $vgpr3
	s_and_saveexec_b32 s7, vcc_lo
	s_delay_alu instid0(SALU_CYCLE_1)
	s_xor_b32 s7, exec_lo, s7
	s_cbranch_execz .LBB19_2250
; %bb.2019:
	v_bfe_u32 v3, v8, 20, 1
	s_mov_b32 s6, exec_lo
	s_delay_alu instid0(VALU_DEP_1) | instskip(NEXT) | instid1(VALU_DEP_1)
	v_add3_u32 v3, v8, v3, 0x487ffff
	v_lshrrev_b32_e32 v3, 20, v3
	s_or_saveexec_b32 s7, s7
                                        ; implicit-def: $sgpr10
	s_delay_alu instid0(SALU_CYCLE_1)
	s_xor_b32 exec_lo, exec_lo, s7
	s_cbranch_execnz .LBB19_2251
.LBB19_2020:
	s_or_b32 exec_lo, exec_lo, s7
	v_mov_b32_e32 v4, s10
	s_and_saveexec_b32 s7, s6
.LBB19_2021:
	v_lshrrev_b32_e32 v4, 24, v8
	s_delay_alu instid0(VALU_DEP_1)
	v_and_or_b32 v4, 0x80, v4, v3
.LBB19_2022:
	s_or_b32 exec_lo, exec_lo, s7
.LBB19_2023:
	s_delay_alu instid0(SALU_CYCLE_1)
	s_or_b32 exec_lo, exec_lo, s3
	global_store_b8 v[1:2], v4, off
.LBB19_2024:
	s_mov_b32 s3, -1
.LBB19_2025:
	s_mov_b32 s6, 0
.LBB19_2026:
	s_delay_alu instid0(SALU_CYCLE_1)
	s_and_b32 vcc_lo, exec_lo, s6
	s_cbranch_vccz .LBB19_2066
; %bb.2027:
	v_cmp_lt_i16_e32 vcc_lo, 22, v13
	s_mov_b32 s2, -1
	s_cbranch_vccz .LBB19_2059
; %bb.2028:
	v_cmp_gt_i16_e32 vcc_lo, 24, v13
	s_cbranch_vccnz .LBB19_2048
; %bb.2029:
	v_cmp_lt_i16_e32 vcc_lo, 24, v13
	s_cbranch_vccz .LBB19_2037
; %bb.2030:
	v_and_b32_e32 v3, 0x7fffffff, v8
	v_mov_b32_e32 v4, 0x80
	s_mov_b32 s2, exec_lo
	s_delay_alu instid0(VALU_DEP_2)
	v_cmpx_gt_u32_e32 0x47800000, v3
	s_cbranch_execz .LBB19_2036
; %bb.2031:
	v_cmp_lt_u32_e32 vcc_lo, 0x37ffffff, v3
	s_mov_b32 s3, 0
                                        ; implicit-def: $vgpr3
	s_and_saveexec_b32 s6, vcc_lo
	s_delay_alu instid0(SALU_CYCLE_1)
	s_xor_b32 s6, exec_lo, s6
	s_cbranch_execz .LBB19_2256
; %bb.2032:
	v_bfe_u32 v3, v8, 21, 1
	s_mov_b32 s3, exec_lo
	s_delay_alu instid0(VALU_DEP_1) | instskip(NEXT) | instid1(VALU_DEP_1)
	v_add3_u32 v3, v8, v3, 0x88fffff
	v_lshrrev_b32_e32 v3, 21, v3
	s_or_saveexec_b32 s6, s6
                                        ; implicit-def: $sgpr7
	s_delay_alu instid0(SALU_CYCLE_1)
	s_xor_b32 exec_lo, exec_lo, s6
	s_cbranch_execnz .LBB19_2257
.LBB19_2033:
	s_or_b32 exec_lo, exec_lo, s6
	v_mov_b32_e32 v4, s7
	s_and_saveexec_b32 s6, s3
.LBB19_2034:
	v_lshrrev_b32_e32 v4, 24, v8
	s_delay_alu instid0(VALU_DEP_1)
	v_and_or_b32 v4, 0x80, v4, v3
.LBB19_2035:
	s_or_b32 exec_lo, exec_lo, s6
.LBB19_2036:
	s_delay_alu instid0(SALU_CYCLE_1)
	s_or_b32 exec_lo, exec_lo, s2
	s_mov_b32 s2, 0
	global_store_b8 v[1:2], v4, off
.LBB19_2037:
	s_and_b32 vcc_lo, exec_lo, s2
	s_cbranch_vccz .LBB19_2047
; %bb.2038:
	v_and_b32_e32 v4, 0x7fffffff, v8
	s_mov_b32 s2, exec_lo
                                        ; implicit-def: $vgpr3
	s_delay_alu instid0(VALU_DEP_1)
	v_cmpx_gt_u32_e32 0x43f00000, v4
	s_xor_b32 s2, exec_lo, s2
	s_cbranch_execz .LBB19_2044
; %bb.2039:
	s_mov_b32 s3, exec_lo
                                        ; implicit-def: $vgpr3
	v_cmpx_lt_u32_e32 0x3c7fffff, v4
	s_xor_b32 s3, exec_lo, s3
; %bb.2040:
	v_bfe_u32 v3, v8, 20, 1
	s_delay_alu instid0(VALU_DEP_1) | instskip(NEXT) | instid1(VALU_DEP_1)
	v_add3_u32 v3, v8, v3, 0x407ffff
	v_and_b32_e32 v4, 0xff00000, v3
	v_lshrrev_b32_e32 v3, 20, v3
	s_delay_alu instid0(VALU_DEP_2) | instskip(NEXT) | instid1(VALU_DEP_2)
	v_cmp_ne_u32_e32 vcc_lo, 0x7f00000, v4
	v_cndmask_b32_e32 v3, 0x7e, v3, vcc_lo
; %bb.2041:
	s_and_not1_saveexec_b32 s3, s3
; %bb.2042:
	v_add_f32_e64 v3, 0x46800000, |v8|
; %bb.2043:
	s_or_b32 exec_lo, exec_lo, s3
                                        ; implicit-def: $vgpr4
.LBB19_2044:
	s_and_not1_saveexec_b32 s2, s2
; %bb.2045:
	v_mov_b32_e32 v3, 0x7f
	v_cmp_lt_u32_e32 vcc_lo, 0x7f800000, v4
	s_delay_alu instid0(VALU_DEP_2)
	v_cndmask_b32_e32 v3, 0x7e, v3, vcc_lo
; %bb.2046:
	s_or_b32 exec_lo, exec_lo, s2
	v_lshrrev_b32_e32 v4, 24, v8
	s_delay_alu instid0(VALU_DEP_1)
	v_and_or_b32 v3, 0x80, v4, v3
	global_store_b8 v[1:2], v3, off
.LBB19_2047:
	s_mov_b32 s2, 0
.LBB19_2048:
	s_delay_alu instid0(SALU_CYCLE_1)
	s_and_not1_b32 vcc_lo, exec_lo, s2
	s_cbranch_vccnz .LBB19_2058
; %bb.2049:
	v_and_b32_e32 v4, 0x7fffffff, v8
	s_mov_b32 s2, exec_lo
                                        ; implicit-def: $vgpr3
	s_delay_alu instid0(VALU_DEP_1)
	v_cmpx_gt_u32_e32 0x47800000, v4
	s_xor_b32 s2, exec_lo, s2
	s_cbranch_execz .LBB19_2055
; %bb.2050:
	s_mov_b32 s3, exec_lo
                                        ; implicit-def: $vgpr3
	v_cmpx_lt_u32_e32 0x387fffff, v4
	s_xor_b32 s3, exec_lo, s3
; %bb.2051:
	v_bfe_u32 v3, v8, 21, 1
	s_delay_alu instid0(VALU_DEP_1) | instskip(NEXT) | instid1(VALU_DEP_1)
	v_add3_u32 v3, v8, v3, 0x80fffff
	v_lshrrev_b32_e32 v3, 21, v3
; %bb.2052:
	s_and_not1_saveexec_b32 s3, s3
; %bb.2053:
	v_add_f32_e64 v3, 0x43000000, |v8|
; %bb.2054:
	s_or_b32 exec_lo, exec_lo, s3
                                        ; implicit-def: $vgpr4
.LBB19_2055:
	s_and_not1_saveexec_b32 s2, s2
; %bb.2056:
	v_mov_b32_e32 v3, 0x7f
	v_cmp_lt_u32_e32 vcc_lo, 0x7f800000, v4
	s_delay_alu instid0(VALU_DEP_2)
	v_cndmask_b32_e32 v3, 0x7c, v3, vcc_lo
; %bb.2057:
	s_or_b32 exec_lo, exec_lo, s2
	v_lshrrev_b32_e32 v4, 24, v8
	s_delay_alu instid0(VALU_DEP_1)
	v_and_or_b32 v3, 0x80, v4, v3
	global_store_b8 v[1:2], v3, off
.LBB19_2058:
	s_mov_b32 s2, 0
	s_mov_b32 s3, -1
.LBB19_2059:
	s_and_not1_b32 vcc_lo, exec_lo, s2
	s_mov_b32 s2, 0
	s_cbranch_vccnz .LBB19_2066
; %bb.2060:
	v_cmp_lt_i16_e32 vcc_lo, 14, v13
	s_mov_b32 s2, -1
	s_cbranch_vccz .LBB19_2064
; %bb.2061:
	v_cmp_eq_u16_e32 vcc_lo, 15, v13
	s_mov_b32 s0, -1
	s_cbranch_vccz .LBB19_2063
; %bb.2062:
	v_bfe_u32 v3, v8, 16, 1
	v_cmp_o_f32_e32 vcc_lo, v8, v8
	s_mov_b32 s0, 0
	s_mov_b32 s3, -1
	s_delay_alu instid0(VALU_DEP_2) | instskip(NEXT) | instid1(VALU_DEP_1)
	v_add3_u32 v3, v8, v3, 0x7fff
	v_lshrrev_b32_e32 v3, 16, v3
	s_delay_alu instid0(VALU_DEP_1)
	v_cndmask_b32_e32 v3, 0x7fc0, v3, vcc_lo
	global_store_b16 v[1:2], v3, off
.LBB19_2063:
	s_mov_b32 s2, 0
.LBB19_2064:
	s_delay_alu instid0(SALU_CYCLE_1)
	s_and_b32 vcc_lo, exec_lo, s2
	s_mov_b32 s2, 0
	s_cbranch_vccz .LBB19_2066
; %bb.2065:
	v_cmp_ne_u16_e64 s0, 11, v13
	s_mov_b32 s2, -1
.LBB19_2066:
	s_delay_alu instid0(VALU_DEP_1)
	s_and_b32 vcc_lo, exec_lo, s0
	s_cbranch_vccnz .LBB19_2254
; %bb.2067:
	s_and_not1_b32 vcc_lo, exec_lo, s2
	s_cbranch_vccnz .LBB19_2069
.LBB19_2068:
	v_cmp_neq_f32_e32 vcc_lo, 0, v8
	s_mov_b32 s3, -1
	v_cndmask_b32_e64 v3, 0, 1, vcc_lo
	global_store_b8 v[1:2], v3, off
.LBB19_2069:
	s_mov_b32 s0, 0
.LBB19_2070:
	s_delay_alu instid0(SALU_CYCLE_1)
	s_and_b32 vcc_lo, exec_lo, s0
	s_cbranch_vccz .LBB19_2109
; %bb.2071:
	v_cmp_gt_i16_e32 vcc_lo, 5, v13
	s_mov_b32 s0, -1
	s_cbranch_vccnz .LBB19_2092
; %bb.2072:
	v_cmp_gt_i16_e32 vcc_lo, 8, v13
	s_cbranch_vccnz .LBB19_2082
; %bb.2073:
	v_cmp_gt_i16_e32 vcc_lo, 9, v13
	s_cbranch_vccnz .LBB19_2079
; %bb.2074:
	v_cmp_lt_i16_e32 vcc_lo, 9, v13
	s_cbranch_vccz .LBB19_2076
; %bb.2075:
	v_cvt_f64_f32_e32 v[3:4], v8
	v_mov_b32_e32 v5, 0
	s_mov_b32 s0, 0
	s_delay_alu instid0(VALU_DEP_1)
	v_mov_b32_e32 v6, v5
	global_store_b128 v[1:2], v[3:6], off
.LBB19_2076:
	s_and_not1_b32 vcc_lo, exec_lo, s0
	s_cbranch_vccnz .LBB19_2078
; %bb.2077:
	v_mov_b32_e32 v9, 0
	global_store_b64 v[1:2], v[8:9], off
.LBB19_2078:
	s_mov_b32 s0, 0
.LBB19_2079:
	s_delay_alu instid0(SALU_CYCLE_1)
	s_and_not1_b32 vcc_lo, exec_lo, s0
	s_cbranch_vccnz .LBB19_2081
; %bb.2080:
	v_cvt_f16_f32_e32 v3, v8
	s_delay_alu instid0(VALU_DEP_1)
	v_and_b32_e32 v3, 0xffff, v3
	global_store_b32 v[1:2], v3, off
.LBB19_2081:
	s_mov_b32 s0, 0
.LBB19_2082:
	s_delay_alu instid0(SALU_CYCLE_1)
	s_and_not1_b32 vcc_lo, exec_lo, s0
	s_cbranch_vccnz .LBB19_2091
; %bb.2083:
	v_cmp_gt_i16_e32 vcc_lo, 6, v13
	s_mov_b32 s0, -1
	s_cbranch_vccnz .LBB19_2089
; %bb.2084:
	v_cmp_lt_i16_e32 vcc_lo, 6, v13
	s_cbranch_vccz .LBB19_2086
; %bb.2085:
	v_cvt_f64_f32_e32 v[3:4], v8
	s_mov_b32 s0, 0
	global_store_b64 v[1:2], v[3:4], off
.LBB19_2086:
	s_and_not1_b32 vcc_lo, exec_lo, s0
	s_cbranch_vccnz .LBB19_2088
; %bb.2087:
	global_store_b32 v[1:2], v8, off
.LBB19_2088:
	s_mov_b32 s0, 0
.LBB19_2089:
	s_delay_alu instid0(SALU_CYCLE_1)
	s_and_not1_b32 vcc_lo, exec_lo, s0
	s_cbranch_vccnz .LBB19_2091
; %bb.2090:
	v_cvt_f16_f32_e32 v3, v8
	global_store_b16 v[1:2], v3, off
.LBB19_2091:
	s_mov_b32 s0, 0
.LBB19_2092:
	s_delay_alu instid0(SALU_CYCLE_1)
	s_and_not1_b32 vcc_lo, exec_lo, s0
	s_cbranch_vccnz .LBB19_2108
; %bb.2093:
	v_cmp_gt_i16_e32 vcc_lo, 2, v13
	s_mov_b32 s0, -1
	s_cbranch_vccnz .LBB19_2103
; %bb.2094:
	v_cmp_gt_i16_e32 vcc_lo, 3, v13
	s_cbranch_vccnz .LBB19_2100
; %bb.2095:
	v_cmp_lt_i16_e32 vcc_lo, 3, v13
	s_cbranch_vccz .LBB19_2097
; %bb.2096:
	v_trunc_f32_e32 v3, v8
	s_mov_b32 s0, 0
	s_delay_alu instid0(VALU_DEP_1) | instskip(SKIP_1) | instid1(VALU_DEP_2)
	v_mul_f32_e64 v4, 0x2f800000, |v3|
	v_ashrrev_i32_e32 v6, 31, v3
	v_floor_f32_e32 v4, v4
	s_delay_alu instid0(VALU_DEP_1) | instskip(SKIP_1) | instid1(VALU_DEP_2)
	v_fma_f32 v5, 0xcf800000, v4, |v3|
	v_cvt_u32_f32_e32 v4, v4
	v_cvt_u32_f32_e32 v3, v5
	s_delay_alu instid0(VALU_DEP_2) | instskip(NEXT) | instid1(VALU_DEP_2)
	v_xor_b32_e32 v4, v4, v6
	v_xor_b32_e32 v3, v3, v6
	s_delay_alu instid0(VALU_DEP_1) | instskip(NEXT) | instid1(VALU_DEP_3)
	v_sub_co_u32 v3, vcc_lo, v3, v6
	v_sub_co_ci_u32_e32 v4, vcc_lo, v4, v6, vcc_lo
	global_store_b64 v[1:2], v[3:4], off
.LBB19_2097:
	s_and_not1_b32 vcc_lo, exec_lo, s0
	s_cbranch_vccnz .LBB19_2099
; %bb.2098:
	v_cvt_i32_f32_e32 v3, v8
	global_store_b32 v[1:2], v3, off
.LBB19_2099:
	s_mov_b32 s0, 0
.LBB19_2100:
	s_delay_alu instid0(SALU_CYCLE_1)
	s_and_not1_b32 vcc_lo, exec_lo, s0
	s_cbranch_vccnz .LBB19_2102
; %bb.2101:
	v_cvt_i32_f32_e32 v3, v8
	global_store_b16 v[1:2], v3, off
.LBB19_2102:
	s_mov_b32 s0, 0
.LBB19_2103:
	s_delay_alu instid0(SALU_CYCLE_1)
	s_and_not1_b32 vcc_lo, exec_lo, s0
	s_cbranch_vccnz .LBB19_2108
; %bb.2104:
	v_cmp_lt_i16_e32 vcc_lo, 0, v13
	s_mov_b32 s0, -1
	s_cbranch_vccz .LBB19_2106
; %bb.2105:
	v_cvt_i32_f32_e32 v3, v8
	s_mov_b32 s0, 0
	global_store_b8 v[1:2], v3, off
.LBB19_2106:
	s_and_not1_b32 vcc_lo, exec_lo, s0
	s_cbranch_vccnz .LBB19_2108
; %bb.2107:
	v_trunc_f32_e32 v3, v8
	s_delay_alu instid0(VALU_DEP_1) | instskip(NEXT) | instid1(VALU_DEP_1)
	v_mul_f32_e64 v4, 0x2f800000, |v3|
	v_floor_f32_e32 v4, v4
	s_delay_alu instid0(VALU_DEP_1) | instskip(SKIP_1) | instid1(VALU_DEP_2)
	v_fma_f32 v4, 0xcf800000, v4, |v3|
	v_ashrrev_i32_e32 v3, 31, v3
	v_cvt_u32_f32_e32 v4, v4
	s_delay_alu instid0(VALU_DEP_1) | instskip(NEXT) | instid1(VALU_DEP_1)
	v_xor_b32_e32 v4, v4, v3
	v_sub_nc_u32_e32 v3, v4, v3
	global_store_b8 v[1:2], v3, off
.LBB19_2108:
	s_mov_b32 s3, -1
.LBB19_2109:
	s_delay_alu instid0(SALU_CYCLE_1)
	s_and_not1_b32 vcc_lo, exec_lo, s3
	s_cbranch_vccnz .LBB19_2231
; %bb.2110:
	v_cmp_gt_i16_e32 vcc_lo, 11, v13
	v_add_co_u32 v0, s0, s4, v0
	s_delay_alu instid0(VALU_DEP_1)
	v_add_co_ci_u32_e64 v1, null, s5, 0, s0
	s_mov_b32 s2, 0
	s_mov_b32 s0, -1
	s_cbranch_vccnz .LBB19_2187
; %bb.2111:
	v_cmp_lt_i16_e32 vcc_lo, 25, v13
	s_mov_b32 s3, -1
	s_mov_b32 s0, 0
	s_cbranch_vccz .LBB19_2144
; %bb.2112:
	v_cmp_lt_i16_e32 vcc_lo, 28, v13
	s_cbranch_vccz .LBB19_2128
; %bb.2113:
	v_cmp_lt_i16_e32 vcc_lo, 43, v13
	;; [unrolled: 3-line block ×3, first 2 shown]
	s_cbranch_vccz .LBB19_2118
; %bb.2115:
	v_cmp_eq_u16_e32 vcc_lo, 46, v13
	s_mov_b32 s0, -1
	s_cbranch_vccz .LBB19_2117
; %bb.2116:
	v_bfe_u32 v2, v10, 16, 1
	v_cmp_o_f32_e32 vcc_lo, v10, v10
	s_mov_b32 s0, 0
	s_delay_alu instid0(VALU_DEP_2) | instskip(NEXT) | instid1(VALU_DEP_1)
	v_add3_u32 v2, v10, v2, 0x7fff
	v_lshrrev_b32_e32 v2, 16, v2
	s_delay_alu instid0(VALU_DEP_1)
	v_cndmask_b32_e32 v2, 0x7fc0, v2, vcc_lo
	global_store_b32 v[0:1], v2, off
.LBB19_2117:
	s_mov_b32 s3, 0
.LBB19_2118:
	s_delay_alu instid0(SALU_CYCLE_1)
	s_and_b32 vcc_lo, exec_lo, s3
	s_cbranch_vccz .LBB19_2123
; %bb.2119:
	v_cmp_eq_u16_e32 vcc_lo, 44, v13
	s_mov_b32 s0, -1
	s_cbranch_vccz .LBB19_2123
; %bb.2120:
	v_bfe_u32 v3, v10, 23, 8
	v_mov_b32_e32 v2, 0xff
	s_mov_b32 s3, exec_lo
	s_delay_alu instid0(VALU_DEP_2)
	v_cmpx_ne_u32_e32 0xff, v3
; %bb.2121:
	v_and_b32_e32 v2, 0x400000, v10
	v_and_or_b32 v3, 0x3fffff, v10, v3
	s_delay_alu instid0(VALU_DEP_2) | instskip(NEXT) | instid1(VALU_DEP_2)
	v_cmp_ne_u32_e32 vcc_lo, 0, v2
	v_cmp_ne_u32_e64 s0, 0, v3
	v_lshrrev_b32_e32 v2, 23, v10
	s_delay_alu instid0(VALU_DEP_2) | instskip(NEXT) | instid1(SALU_CYCLE_1)
	s_and_b32 s0, vcc_lo, s0
	v_cndmask_b32_e64 v3, 0, 1, s0
	s_delay_alu instid0(VALU_DEP_1)
	v_add_nc_u32_e32 v2, v2, v3
; %bb.2122:
	s_or_b32 exec_lo, exec_lo, s3
	s_mov_b32 s0, 0
	global_store_b8 v[0:1], v2, off
.LBB19_2123:
	s_mov_b32 s3, 0
.LBB19_2124:
	s_delay_alu instid0(SALU_CYCLE_1)
	s_and_b32 vcc_lo, exec_lo, s3
	s_cbranch_vccz .LBB19_2127
; %bb.2125:
	v_cmp_eq_u16_e32 vcc_lo, 29, v13
	s_mov_b32 s0, -1
	s_cbranch_vccz .LBB19_2127
; %bb.2126:
	v_trunc_f32_e32 v2, v10
	s_mov_b32 s0, 0
	s_delay_alu instid0(VALU_DEP_1) | instskip(NEXT) | instid1(VALU_DEP_1)
	v_mul_f32_e32 v3, 0x2f800000, v2
	v_floor_f32_e32 v3, v3
	s_delay_alu instid0(VALU_DEP_1) | instskip(SKIP_1) | instid1(VALU_DEP_2)
	v_fmamk_f32 v2, v3, 0xcf800000, v2
	v_cvt_u32_f32_e32 v3, v3
	v_cvt_u32_f32_e32 v2, v2
	global_store_b64 v[0:1], v[2:3], off
.LBB19_2127:
	s_mov_b32 s3, 0
.LBB19_2128:
	s_delay_alu instid0(SALU_CYCLE_1)
	s_and_b32 vcc_lo, exec_lo, s3
	s_cbranch_vccz .LBB19_2143
; %bb.2129:
	v_cmp_gt_i16_e32 vcc_lo, 27, v13
	s_mov_b32 s3, -1
	s_cbranch_vccnz .LBB19_2135
; %bb.2130:
	v_cmp_lt_i16_e32 vcc_lo, 27, v13
	v_cvt_u32_f32_e32 v2, v10
	s_cbranch_vccz .LBB19_2132
; %bb.2131:
	s_mov_b32 s3, 0
	global_store_b32 v[0:1], v2, off
.LBB19_2132:
	s_and_not1_b32 vcc_lo, exec_lo, s3
	s_cbranch_vccnz .LBB19_2134
; %bb.2133:
	global_store_b16 v[0:1], v2, off
.LBB19_2134:
	s_mov_b32 s3, 0
.LBB19_2135:
	s_delay_alu instid0(SALU_CYCLE_1)
	s_and_not1_b32 vcc_lo, exec_lo, s3
	s_cbranch_vccnz .LBB19_2143
; %bb.2136:
	v_and_b32_e32 v2, 0x7fffffff, v10
	v_mov_b32_e32 v3, 0x80
	s_mov_b32 s3, exec_lo
	s_delay_alu instid0(VALU_DEP_2)
	v_cmpx_gt_u32_e32 0x43800000, v2
	s_cbranch_execz .LBB19_2142
; %bb.2137:
	v_cmp_lt_u32_e32 vcc_lo, 0x3bffffff, v2
	s_mov_b32 s4, 0
                                        ; implicit-def: $vgpr2
	s_and_saveexec_b32 s5, vcc_lo
	s_delay_alu instid0(SALU_CYCLE_1)
	s_xor_b32 s5, exec_lo, s5
	s_cbranch_execz .LBB19_2258
; %bb.2138:
	v_bfe_u32 v2, v10, 20, 1
	s_mov_b32 s4, exec_lo
	s_delay_alu instid0(VALU_DEP_1) | instskip(NEXT) | instid1(VALU_DEP_1)
	v_add3_u32 v2, v10, v2, 0x487ffff
	v_lshrrev_b32_e32 v2, 20, v2
	s_or_saveexec_b32 s5, s5
                                        ; implicit-def: $sgpr6
	s_delay_alu instid0(SALU_CYCLE_1)
	s_xor_b32 exec_lo, exec_lo, s5
	s_cbranch_execnz .LBB19_2259
.LBB19_2139:
	s_or_b32 exec_lo, exec_lo, s5
	v_mov_b32_e32 v3, s6
	s_and_saveexec_b32 s5, s4
.LBB19_2140:
	v_lshrrev_b32_e32 v3, 24, v10
	s_delay_alu instid0(VALU_DEP_1)
	v_and_or_b32 v3, 0x80, v3, v2
.LBB19_2141:
	s_or_b32 exec_lo, exec_lo, s5
.LBB19_2142:
	s_delay_alu instid0(SALU_CYCLE_1)
	s_or_b32 exec_lo, exec_lo, s3
	global_store_b8 v[0:1], v3, off
.LBB19_2143:
	s_mov_b32 s3, 0
.LBB19_2144:
	s_delay_alu instid0(SALU_CYCLE_1)
	s_and_b32 vcc_lo, exec_lo, s3
	s_cbranch_vccz .LBB19_2184
; %bb.2145:
	v_cmp_lt_i16_e32 vcc_lo, 22, v13
	s_mov_b32 s2, -1
	s_cbranch_vccz .LBB19_2177
; %bb.2146:
	v_cmp_gt_i16_e32 vcc_lo, 24, v13
	s_cbranch_vccnz .LBB19_2166
; %bb.2147:
	v_cmp_lt_i16_e32 vcc_lo, 24, v13
	s_cbranch_vccz .LBB19_2155
; %bb.2148:
	v_and_b32_e32 v2, 0x7fffffff, v10
	v_mov_b32_e32 v3, 0x80
	s_mov_b32 s2, exec_lo
	s_delay_alu instid0(VALU_DEP_2)
	v_cmpx_gt_u32_e32 0x47800000, v2
	s_cbranch_execz .LBB19_2154
; %bb.2149:
	v_cmp_lt_u32_e32 vcc_lo, 0x37ffffff, v2
	s_mov_b32 s3, 0
                                        ; implicit-def: $vgpr2
	s_and_saveexec_b32 s4, vcc_lo
	s_delay_alu instid0(SALU_CYCLE_1)
	s_xor_b32 s4, exec_lo, s4
	s_cbranch_execz .LBB19_2264
; %bb.2150:
	v_bfe_u32 v2, v10, 21, 1
	s_mov_b32 s3, exec_lo
	s_delay_alu instid0(VALU_DEP_1) | instskip(NEXT) | instid1(VALU_DEP_1)
	v_add3_u32 v2, v10, v2, 0x88fffff
	v_lshrrev_b32_e32 v2, 21, v2
	s_or_saveexec_b32 s4, s4
                                        ; implicit-def: $sgpr5
	s_delay_alu instid0(SALU_CYCLE_1)
	s_xor_b32 exec_lo, exec_lo, s4
	s_cbranch_execnz .LBB19_2265
.LBB19_2151:
	s_or_b32 exec_lo, exec_lo, s4
	v_mov_b32_e32 v3, s5
	s_and_saveexec_b32 s4, s3
.LBB19_2152:
	v_lshrrev_b32_e32 v3, 24, v10
	s_delay_alu instid0(VALU_DEP_1)
	v_and_or_b32 v3, 0x80, v3, v2
.LBB19_2153:
	s_or_b32 exec_lo, exec_lo, s4
.LBB19_2154:
	s_delay_alu instid0(SALU_CYCLE_1)
	s_or_b32 exec_lo, exec_lo, s2
	s_mov_b32 s2, 0
	global_store_b8 v[0:1], v3, off
.LBB19_2155:
	s_and_b32 vcc_lo, exec_lo, s2
	s_cbranch_vccz .LBB19_2165
; %bb.2156:
	v_and_b32_e32 v3, 0x7fffffff, v10
	s_mov_b32 s2, exec_lo
                                        ; implicit-def: $vgpr2
	s_delay_alu instid0(VALU_DEP_1)
	v_cmpx_gt_u32_e32 0x43f00000, v3
	s_xor_b32 s2, exec_lo, s2
	s_cbranch_execz .LBB19_2162
; %bb.2157:
	s_mov_b32 s3, exec_lo
                                        ; implicit-def: $vgpr2
	v_cmpx_lt_u32_e32 0x3c7fffff, v3
	s_xor_b32 s3, exec_lo, s3
; %bb.2158:
	v_bfe_u32 v2, v10, 20, 1
	s_delay_alu instid0(VALU_DEP_1) | instskip(NEXT) | instid1(VALU_DEP_1)
	v_add3_u32 v2, v10, v2, 0x407ffff
	v_and_b32_e32 v3, 0xff00000, v2
	v_lshrrev_b32_e32 v2, 20, v2
	s_delay_alu instid0(VALU_DEP_2) | instskip(NEXT) | instid1(VALU_DEP_2)
	v_cmp_ne_u32_e32 vcc_lo, 0x7f00000, v3
	v_cndmask_b32_e32 v2, 0x7e, v2, vcc_lo
; %bb.2159:
	s_and_not1_saveexec_b32 s3, s3
; %bb.2160:
	v_add_f32_e64 v2, 0x46800000, |v10|
; %bb.2161:
	s_or_b32 exec_lo, exec_lo, s3
                                        ; implicit-def: $vgpr3
.LBB19_2162:
	s_and_not1_saveexec_b32 s2, s2
; %bb.2163:
	v_mov_b32_e32 v2, 0x7f
	v_cmp_lt_u32_e32 vcc_lo, 0x7f800000, v3
	s_delay_alu instid0(VALU_DEP_2)
	v_cndmask_b32_e32 v2, 0x7e, v2, vcc_lo
; %bb.2164:
	s_or_b32 exec_lo, exec_lo, s2
	v_lshrrev_b32_e32 v3, 24, v10
	s_delay_alu instid0(VALU_DEP_1)
	v_and_or_b32 v2, 0x80, v3, v2
	global_store_b8 v[0:1], v2, off
.LBB19_2165:
	s_mov_b32 s2, 0
.LBB19_2166:
	s_delay_alu instid0(SALU_CYCLE_1)
	s_and_not1_b32 vcc_lo, exec_lo, s2
	s_cbranch_vccnz .LBB19_2176
; %bb.2167:
	v_and_b32_e32 v3, 0x7fffffff, v10
	s_mov_b32 s2, exec_lo
                                        ; implicit-def: $vgpr2
	s_delay_alu instid0(VALU_DEP_1)
	v_cmpx_gt_u32_e32 0x47800000, v3
	s_xor_b32 s2, exec_lo, s2
	s_cbranch_execz .LBB19_2173
; %bb.2168:
	s_mov_b32 s3, exec_lo
                                        ; implicit-def: $vgpr2
	v_cmpx_lt_u32_e32 0x387fffff, v3
	s_xor_b32 s3, exec_lo, s3
; %bb.2169:
	v_bfe_u32 v2, v10, 21, 1
	s_delay_alu instid0(VALU_DEP_1) | instskip(NEXT) | instid1(VALU_DEP_1)
	v_add3_u32 v2, v10, v2, 0x80fffff
	v_lshrrev_b32_e32 v2, 21, v2
; %bb.2170:
	s_and_not1_saveexec_b32 s3, s3
; %bb.2171:
	v_add_f32_e64 v2, 0x43000000, |v10|
; %bb.2172:
	s_or_b32 exec_lo, exec_lo, s3
                                        ; implicit-def: $vgpr3
.LBB19_2173:
	s_and_not1_saveexec_b32 s2, s2
; %bb.2174:
	v_mov_b32_e32 v2, 0x7f
	v_cmp_lt_u32_e32 vcc_lo, 0x7f800000, v3
	s_delay_alu instid0(VALU_DEP_2)
	v_cndmask_b32_e32 v2, 0x7c, v2, vcc_lo
; %bb.2175:
	s_or_b32 exec_lo, exec_lo, s2
	v_lshrrev_b32_e32 v3, 24, v10
	s_delay_alu instid0(VALU_DEP_1)
	v_and_or_b32 v2, 0x80, v3, v2
	global_store_b8 v[0:1], v2, off
.LBB19_2176:
	s_mov_b32 s2, 0
.LBB19_2177:
	s_delay_alu instid0(SALU_CYCLE_1)
	s_and_not1_b32 vcc_lo, exec_lo, s2
	s_mov_b32 s2, 0
	s_cbranch_vccnz .LBB19_2184
; %bb.2178:
	v_cmp_lt_i16_e32 vcc_lo, 14, v13
	s_mov_b32 s2, -1
	s_cbranch_vccz .LBB19_2182
; %bb.2179:
	v_cmp_eq_u16_e32 vcc_lo, 15, v13
	s_mov_b32 s0, -1
	s_cbranch_vccz .LBB19_2181
; %bb.2180:
	v_bfe_u32 v2, v10, 16, 1
	v_cmp_o_f32_e32 vcc_lo, v10, v10
	s_mov_b32 s0, 0
	s_delay_alu instid0(VALU_DEP_2) | instskip(NEXT) | instid1(VALU_DEP_1)
	v_add3_u32 v2, v10, v2, 0x7fff
	v_lshrrev_b32_e32 v2, 16, v2
	s_delay_alu instid0(VALU_DEP_1)
	v_cndmask_b32_e32 v2, 0x7fc0, v2, vcc_lo
	global_store_b16 v[0:1], v2, off
.LBB19_2181:
	s_mov_b32 s2, 0
.LBB19_2182:
	s_delay_alu instid0(SALU_CYCLE_1)
	s_and_b32 vcc_lo, exec_lo, s2
	s_mov_b32 s2, 0
	s_cbranch_vccz .LBB19_2184
; %bb.2183:
	v_cmp_ne_u16_e64 s0, 11, v13
	s_mov_b32 s2, -1
.LBB19_2184:
	s_delay_alu instid0(VALU_DEP_1)
	s_and_b32 vcc_lo, exec_lo, s0
	s_cbranch_vccnz .LBB19_2262
.LBB19_2185:
	s_mov_b32 s0, 0
	s_branch .LBB19_2187
.LBB19_2186:
	s_mov_b32 s0, 0
	s_mov_b32 s2, 0
                                        ; implicit-def: $vgpr0_vgpr1
                                        ; implicit-def: $vgpr13
                                        ; implicit-def: $vgpr10
.LBB19_2187:
	s_and_b32 s3, s0, exec_lo
	s_and_not1_b32 s0, s8, exec_lo
	s_and_b32 s1, s1, exec_lo
	s_and_b32 s26, s2, exec_lo
	s_or_b32 s8, s0, s1
.LBB19_2188:
	s_or_b32 exec_lo, exec_lo, s9
	s_and_saveexec_b32 s0, s8
	s_cbranch_execz .LBB19_2191
; %bb.2189:
	; divergent unreachable
	s_or_b32 exec_lo, exec_lo, s0
	s_and_saveexec_b32 s0, s26
	s_delay_alu instid0(SALU_CYCLE_1)
	s_xor_b32 s0, exec_lo, s0
	s_cbranch_execnz .LBB19_2192
.LBB19_2190:
	s_or_b32 exec_lo, exec_lo, s0
	s_and_saveexec_b32 s0, s3
	s_cbranch_execnz .LBB19_2193
	s_branch .LBB19_2230
.LBB19_2191:
	s_or_b32 exec_lo, exec_lo, s0
	s_and_saveexec_b32 s0, s26
	s_delay_alu instid0(SALU_CYCLE_1)
	s_xor_b32 s0, exec_lo, s0
	s_cbranch_execz .LBB19_2190
.LBB19_2192:
	s_waitcnt vmcnt(0)
	v_cmp_neq_f32_e32 vcc_lo, 0, v10
	v_cndmask_b32_e64 v2, 0, 1, vcc_lo
	global_store_b8 v[0:1], v2, off
	s_or_b32 exec_lo, exec_lo, s0
	s_and_saveexec_b32 s0, s3
	s_cbranch_execz .LBB19_2230
.LBB19_2193:
	v_cmp_gt_i16_e32 vcc_lo, 5, v13
	s_mov_b32 s0, -1
	s_cbranch_vccnz .LBB19_2214
; %bb.2194:
	v_cmp_gt_i16_e32 vcc_lo, 8, v13
	s_cbranch_vccnz .LBB19_2204
; %bb.2195:
	v_cmp_gt_i16_e32 vcc_lo, 9, v13
	s_cbranch_vccnz .LBB19_2201
; %bb.2196:
	v_cmp_lt_i16_e32 vcc_lo, 9, v13
	s_cbranch_vccz .LBB19_2198
; %bb.2197:
	s_waitcnt vmcnt(0)
	v_cvt_f64_f32_e32 v[2:3], v10
	v_mov_b32_e32 v4, 0
	s_mov_b32 s0, 0
	s_delay_alu instid0(VALU_DEP_1)
	v_mov_b32_e32 v5, v4
	global_store_b128 v[0:1], v[2:5], off
.LBB19_2198:
	s_and_not1_b32 vcc_lo, exec_lo, s0
	s_cbranch_vccnz .LBB19_2200
; %bb.2199:
	v_mov_b32_e32 v11, 0
	s_waitcnt vmcnt(0)
	global_store_b64 v[0:1], v[10:11], off
.LBB19_2200:
	s_mov_b32 s0, 0
.LBB19_2201:
	s_delay_alu instid0(SALU_CYCLE_1)
	s_and_not1_b32 vcc_lo, exec_lo, s0
	s_cbranch_vccnz .LBB19_2203
; %bb.2202:
	s_waitcnt vmcnt(0)
	v_cvt_f16_f32_e32 v2, v10
	s_delay_alu instid0(VALU_DEP_1)
	v_and_b32_e32 v2, 0xffff, v2
	global_store_b32 v[0:1], v2, off
.LBB19_2203:
	s_mov_b32 s0, 0
.LBB19_2204:
	s_delay_alu instid0(SALU_CYCLE_1)
	s_and_not1_b32 vcc_lo, exec_lo, s0
	s_cbranch_vccnz .LBB19_2213
; %bb.2205:
	v_cmp_gt_i16_e32 vcc_lo, 6, v13
	s_mov_b32 s0, -1
	s_cbranch_vccnz .LBB19_2211
; %bb.2206:
	v_cmp_lt_i16_e32 vcc_lo, 6, v13
	s_cbranch_vccz .LBB19_2208
; %bb.2207:
	s_waitcnt vmcnt(0)
	v_cvt_f64_f32_e32 v[2:3], v10
	s_mov_b32 s0, 0
	global_store_b64 v[0:1], v[2:3], off
.LBB19_2208:
	s_and_not1_b32 vcc_lo, exec_lo, s0
	s_cbranch_vccnz .LBB19_2210
; %bb.2209:
	s_waitcnt vmcnt(0)
	global_store_b32 v[0:1], v10, off
.LBB19_2210:
	s_mov_b32 s0, 0
.LBB19_2211:
	s_delay_alu instid0(SALU_CYCLE_1)
	s_and_not1_b32 vcc_lo, exec_lo, s0
	s_cbranch_vccnz .LBB19_2213
; %bb.2212:
	s_waitcnt vmcnt(0)
	v_cvt_f16_f32_e32 v2, v10
	global_store_b16 v[0:1], v2, off
.LBB19_2213:
	s_mov_b32 s0, 0
.LBB19_2214:
	s_delay_alu instid0(SALU_CYCLE_1)
	s_and_not1_b32 vcc_lo, exec_lo, s0
	s_cbranch_vccnz .LBB19_2230
; %bb.2215:
	v_cmp_gt_i16_e32 vcc_lo, 2, v13
	s_mov_b32 s0, -1
	s_cbranch_vccnz .LBB19_2225
; %bb.2216:
	v_cmp_gt_i16_e32 vcc_lo, 3, v13
	s_cbranch_vccnz .LBB19_2222
; %bb.2217:
	v_cmp_lt_i16_e32 vcc_lo, 3, v13
	s_cbranch_vccz .LBB19_2219
; %bb.2218:
	s_waitcnt vmcnt(0)
	v_trunc_f32_e32 v2, v10
	s_mov_b32 s0, 0
	s_delay_alu instid0(VALU_DEP_1) | instskip(SKIP_1) | instid1(VALU_DEP_2)
	v_mul_f32_e64 v3, 0x2f800000, |v2|
	v_ashrrev_i32_e32 v5, 31, v2
	v_floor_f32_e32 v3, v3
	s_delay_alu instid0(VALU_DEP_1) | instskip(SKIP_1) | instid1(VALU_DEP_2)
	v_fma_f32 v4, 0xcf800000, v3, |v2|
	v_cvt_u32_f32_e32 v3, v3
	v_cvt_u32_f32_e32 v2, v4
	s_delay_alu instid0(VALU_DEP_2) | instskip(NEXT) | instid1(VALU_DEP_2)
	v_xor_b32_e32 v3, v3, v5
	v_xor_b32_e32 v2, v2, v5
	s_delay_alu instid0(VALU_DEP_1) | instskip(NEXT) | instid1(VALU_DEP_3)
	v_sub_co_u32 v2, vcc_lo, v2, v5
	v_sub_co_ci_u32_e32 v3, vcc_lo, v3, v5, vcc_lo
	global_store_b64 v[0:1], v[2:3], off
.LBB19_2219:
	s_and_not1_b32 vcc_lo, exec_lo, s0
	s_cbranch_vccnz .LBB19_2221
; %bb.2220:
	s_waitcnt vmcnt(0)
	v_cvt_i32_f32_e32 v2, v10
	global_store_b32 v[0:1], v2, off
.LBB19_2221:
	s_mov_b32 s0, 0
.LBB19_2222:
	s_delay_alu instid0(SALU_CYCLE_1)
	s_and_not1_b32 vcc_lo, exec_lo, s0
	s_cbranch_vccnz .LBB19_2224
; %bb.2223:
	s_waitcnt vmcnt(0)
	v_cvt_i32_f32_e32 v2, v10
	global_store_b16 v[0:1], v2, off
.LBB19_2224:
	s_mov_b32 s0, 0
.LBB19_2225:
	s_delay_alu instid0(SALU_CYCLE_1)
	s_and_not1_b32 vcc_lo, exec_lo, s0
	s_cbranch_vccnz .LBB19_2230
; %bb.2226:
	v_cmp_lt_i16_e32 vcc_lo, 0, v13
	s_mov_b32 s0, -1
	s_cbranch_vccz .LBB19_2228
; %bb.2227:
	s_waitcnt vmcnt(0)
	v_cvt_i32_f32_e32 v2, v10
	s_mov_b32 s0, 0
	global_store_b8 v[0:1], v2, off
.LBB19_2228:
	s_and_not1_b32 vcc_lo, exec_lo, s0
	s_cbranch_vccnz .LBB19_2230
; %bb.2229:
	s_waitcnt vmcnt(0)
	v_trunc_f32_e32 v2, v10
	s_delay_alu instid0(VALU_DEP_1) | instskip(NEXT) | instid1(VALU_DEP_1)
	v_mul_f32_e64 v3, 0x2f800000, |v2|
	v_floor_f32_e32 v3, v3
	s_delay_alu instid0(VALU_DEP_1) | instskip(SKIP_1) | instid1(VALU_DEP_2)
	v_fma_f32 v3, 0xcf800000, v3, |v2|
	v_ashrrev_i32_e32 v2, 31, v2
	v_cvt_u32_f32_e32 v3, v3
	s_delay_alu instid0(VALU_DEP_1) | instskip(NEXT) | instid1(VALU_DEP_1)
	v_xor_b32_e32 v3, v3, v2
	v_sub_nc_u32_e32 v2, v3, v2
	global_store_b8 v[0:1], v2, off
	s_nop 0
	s_sendmsg sendmsg(MSG_DEALLOC_VGPRS)
	s_endpgm
.LBB19_2230:
	s_nop 0
	s_sendmsg sendmsg(MSG_DEALLOC_VGPRS)
	s_endpgm
.LBB19_2231:
	s_mov_b32 s0, 0
	s_mov_b32 s2, 0
                                        ; implicit-def: $vgpr0_vgpr1
                                        ; implicit-def: $vgpr13
	s_branch .LBB19_2187
.LBB19_2232:
	s_cbranch_execnz .LBB19_2236
; %bb.2233:
	s_or_b32 s1, s1, exec_lo
                                        ; implicit-def: $vgpr5
	s_cbranch_execz .LBB19_1692
	s_branch .LBB19_1693
.LBB19_2234:
	s_or_saveexec_b32 s7, s7
                                        ; implicit-def: $sgpr10
	s_delay_alu instid0(SALU_CYCLE_1)
	s_xor_b32 exec_lo, exec_lo, s7
	s_cbranch_execz .LBB19_1784
.LBB19_2235:
	v_add_f32_e64 v3, 0x46000000, |v4|
	s_and_not1_b32 s6, s6, exec_lo
	s_mov_b32 s10, 0
	s_delay_alu instid0(VALU_DEP_1) | instskip(NEXT) | instid1(VALU_DEP_1)
	v_and_b32_e32 v3, 0xff, v3
	v_cmp_ne_u32_e32 vcc_lo, 0, v3
	s_and_b32 s11, vcc_lo, exec_lo
	s_delay_alu instid0(SALU_CYCLE_1)
	s_or_b32 s6, s6, s11
	s_or_b32 exec_lo, exec_lo, s7
	v_mov_b32_e32 v5, s10
	s_and_saveexec_b32 s7, s6
	s_cbranch_execnz .LBB19_1785
	s_branch .LBB19_1786
.LBB19_2236:
	s_trap 2
	s_sendmsg_rtn_b32 s0, sendmsg(MSG_RTN_GET_DOORBELL)
	s_mov_b32 ttmp2, m0
	s_waitcnt lgkmcnt(0)
	s_and_b32 s0, s0, 0x3ff
	s_delay_alu instid0(SALU_CYCLE_1) | instskip(NEXT) | instid1(SALU_CYCLE_1)
	s_bitset1_b32 s0, 10
	s_mov_b32 m0, s0
	s_sendmsg sendmsg(MSG_INTERRUPT)
	s_mov_b32 m0, ttmp2
.LBB19_2237:                            ; =>This Inner Loop Header: Depth=1
	s_sethalt 5
	s_branch .LBB19_2237
.LBB19_2238:
	s_cbranch_execnz .LBB19_2244
; %bb.2239:
	s_or_b32 s1, s1, exec_lo
	s_cbranch_execz .LBB19_1832
	s_branch .LBB19_1833
.LBB19_2240:
	s_or_saveexec_b32 s6, s6
                                        ; implicit-def: $sgpr7
	s_delay_alu instid0(SALU_CYCLE_1)
	s_xor_b32 exec_lo, exec_lo, s6
	s_cbranch_execz .LBB19_1797
.LBB19_2241:
	v_add_f32_e64 v3, 0x42800000, |v4|
	s_and_not1_b32 s3, s3, exec_lo
	s_mov_b32 s7, 0
	s_delay_alu instid0(VALU_DEP_1) | instskip(NEXT) | instid1(VALU_DEP_1)
	v_and_b32_e32 v3, 0xff, v3
	v_cmp_ne_u32_e32 vcc_lo, 0, v3
	s_and_b32 s10, vcc_lo, exec_lo
	s_delay_alu instid0(SALU_CYCLE_1)
	s_or_b32 s3, s3, s10
	s_or_b32 exec_lo, exec_lo, s6
	v_mov_b32_e32 v5, s7
	s_and_saveexec_b32 s6, s3
	s_cbranch_execnz .LBB19_1798
	s_branch .LBB19_1799
.LBB19_2242:
	s_or_saveexec_b32 s7, s7
                                        ; implicit-def: $sgpr10
	s_delay_alu instid0(SALU_CYCLE_1)
	s_xor_b32 exec_lo, exec_lo, s7
	s_cbranch_execz .LBB19_1902
.LBB19_2243:
	v_add_f32_e64 v4, 0x46000000, |v6|
	s_and_not1_b32 s6, s6, exec_lo
	s_mov_b32 s10, 0
	s_delay_alu instid0(VALU_DEP_1) | instskip(NEXT) | instid1(VALU_DEP_1)
	v_and_b32_e32 v4, 0xff, v4
	v_cmp_ne_u32_e32 vcc_lo, 0, v4
	s_and_b32 s11, vcc_lo, exec_lo
	s_delay_alu instid0(SALU_CYCLE_1)
	s_or_b32 s6, s6, s11
	s_or_b32 exec_lo, exec_lo, s7
	v_mov_b32_e32 v5, s10
	s_and_saveexec_b32 s7, s6
	s_cbranch_execnz .LBB19_1903
	s_branch .LBB19_1904
.LBB19_2244:
	s_trap 2
	s_sendmsg_rtn_b32 s0, sendmsg(MSG_RTN_GET_DOORBELL)
	s_mov_b32 ttmp2, m0
	s_waitcnt lgkmcnt(0)
	s_and_b32 s0, s0, 0x3ff
	s_delay_alu instid0(SALU_CYCLE_1) | instskip(NEXT) | instid1(SALU_CYCLE_1)
	s_bitset1_b32 s0, 10
	s_mov_b32 m0, s0
	s_sendmsg sendmsg(MSG_INTERRUPT)
	s_mov_b32 m0, ttmp2
.LBB19_2245:                            ; =>This Inner Loop Header: Depth=1
	s_sethalt 5
	s_branch .LBB19_2245
.LBB19_2246:
	s_cbranch_execnz .LBB19_2252
; %bb.2247:
	s_or_b32 s1, s1, exec_lo
	s_cbranch_execz .LBB19_1950
	s_branch .LBB19_1951
.LBB19_2248:
	s_or_saveexec_b32 s6, s6
                                        ; implicit-def: $sgpr7
	s_delay_alu instid0(SALU_CYCLE_1)
	s_xor_b32 exec_lo, exec_lo, s6
	s_cbranch_execz .LBB19_1915
.LBB19_2249:
	v_add_f32_e64 v4, 0x42800000, |v6|
	s_and_not1_b32 s3, s3, exec_lo
	s_mov_b32 s7, 0
	s_delay_alu instid0(VALU_DEP_1) | instskip(NEXT) | instid1(VALU_DEP_1)
	v_and_b32_e32 v4, 0xff, v4
	v_cmp_ne_u32_e32 vcc_lo, 0, v4
	s_and_b32 s10, vcc_lo, exec_lo
	s_delay_alu instid0(SALU_CYCLE_1)
	s_or_b32 s3, s3, s10
	s_or_b32 exec_lo, exec_lo, s6
	v_mov_b32_e32 v5, s7
	s_and_saveexec_b32 s6, s3
	s_cbranch_execnz .LBB19_1916
	s_branch .LBB19_1917
.LBB19_2250:
	s_or_saveexec_b32 s7, s7
                                        ; implicit-def: $sgpr10
	s_delay_alu instid0(SALU_CYCLE_1)
	s_xor_b32 exec_lo, exec_lo, s7
	s_cbranch_execz .LBB19_2020
.LBB19_2251:
	v_add_f32_e64 v3, 0x46000000, |v8|
	s_and_not1_b32 s6, s6, exec_lo
	s_mov_b32 s10, 0
	s_delay_alu instid0(VALU_DEP_1) | instskip(NEXT) | instid1(VALU_DEP_1)
	v_and_b32_e32 v3, 0xff, v3
	v_cmp_ne_u32_e32 vcc_lo, 0, v3
	s_and_b32 s11, vcc_lo, exec_lo
	s_delay_alu instid0(SALU_CYCLE_1)
	s_or_b32 s6, s6, s11
	s_or_b32 exec_lo, exec_lo, s7
	v_mov_b32_e32 v4, s10
	s_and_saveexec_b32 s7, s6
	s_cbranch_execnz .LBB19_2021
	s_branch .LBB19_2022
.LBB19_2252:
	s_trap 2
	s_sendmsg_rtn_b32 s0, sendmsg(MSG_RTN_GET_DOORBELL)
	s_mov_b32 ttmp2, m0
	s_waitcnt lgkmcnt(0)
	s_and_b32 s0, s0, 0x3ff
	s_delay_alu instid0(SALU_CYCLE_1) | instskip(NEXT) | instid1(SALU_CYCLE_1)
	s_bitset1_b32 s0, 10
	s_mov_b32 m0, s0
	s_sendmsg sendmsg(MSG_INTERRUPT)
	s_mov_b32 m0, ttmp2
.LBB19_2253:                            ; =>This Inner Loop Header: Depth=1
	s_sethalt 5
	s_branch .LBB19_2253
.LBB19_2254:
	s_cbranch_execnz .LBB19_2260
; %bb.2255:
	s_or_b32 s1, s1, exec_lo
	s_cbranch_execz .LBB19_2068
	s_branch .LBB19_2069
.LBB19_2256:
	s_or_saveexec_b32 s6, s6
                                        ; implicit-def: $sgpr7
	s_delay_alu instid0(SALU_CYCLE_1)
	s_xor_b32 exec_lo, exec_lo, s6
	s_cbranch_execz .LBB19_2033
.LBB19_2257:
	v_add_f32_e64 v3, 0x42800000, |v8|
	s_and_not1_b32 s3, s3, exec_lo
	s_mov_b32 s7, 0
	s_delay_alu instid0(VALU_DEP_1) | instskip(NEXT) | instid1(VALU_DEP_1)
	v_and_b32_e32 v3, 0xff, v3
	v_cmp_ne_u32_e32 vcc_lo, 0, v3
	s_and_b32 s10, vcc_lo, exec_lo
	s_delay_alu instid0(SALU_CYCLE_1)
	s_or_b32 s3, s3, s10
	s_or_b32 exec_lo, exec_lo, s6
	v_mov_b32_e32 v4, s7
	s_and_saveexec_b32 s6, s3
	s_cbranch_execnz .LBB19_2034
	s_branch .LBB19_2035
.LBB19_2258:
	s_or_saveexec_b32 s5, s5
                                        ; implicit-def: $sgpr6
	s_delay_alu instid0(SALU_CYCLE_1)
	s_xor_b32 exec_lo, exec_lo, s5
	s_cbranch_execz .LBB19_2139
.LBB19_2259:
	v_add_f32_e64 v2, 0x46000000, |v10|
	s_and_not1_b32 s4, s4, exec_lo
	s_mov_b32 s6, 0
	s_delay_alu instid0(VALU_DEP_1) | instskip(NEXT) | instid1(VALU_DEP_1)
	v_and_b32_e32 v2, 0xff, v2
	v_cmp_ne_u32_e32 vcc_lo, 0, v2
	s_and_b32 s7, vcc_lo, exec_lo
	s_delay_alu instid0(SALU_CYCLE_1)
	s_or_b32 s4, s4, s7
	s_or_b32 exec_lo, exec_lo, s5
	v_mov_b32_e32 v3, s6
	s_and_saveexec_b32 s5, s4
	s_cbranch_execnz .LBB19_2140
	s_branch .LBB19_2141
.LBB19_2260:
	s_trap 2
	s_sendmsg_rtn_b32 s0, sendmsg(MSG_RTN_GET_DOORBELL)
	s_mov_b32 ttmp2, m0
	s_waitcnt lgkmcnt(0)
	s_and_b32 s0, s0, 0x3ff
	s_delay_alu instid0(SALU_CYCLE_1) | instskip(NEXT) | instid1(SALU_CYCLE_1)
	s_bitset1_b32 s0, 10
	s_mov_b32 m0, s0
	s_sendmsg sendmsg(MSG_INTERRUPT)
	s_mov_b32 m0, ttmp2
.LBB19_2261:                            ; =>This Inner Loop Header: Depth=1
	s_sethalt 5
	s_branch .LBB19_2261
.LBB19_2262:
	s_cbranch_execnz .LBB19_2266
; %bb.2263:
	s_mov_b32 s2, 0
	s_or_b32 s1, s1, exec_lo
	s_branch .LBB19_2185
.LBB19_2264:
	s_or_saveexec_b32 s4, s4
                                        ; implicit-def: $sgpr5
	s_delay_alu instid0(SALU_CYCLE_1)
	s_xor_b32 exec_lo, exec_lo, s4
	s_cbranch_execz .LBB19_2151
.LBB19_2265:
	v_add_f32_e64 v2, 0x42800000, |v10|
	s_and_not1_b32 s3, s3, exec_lo
	s_mov_b32 s5, 0
	s_delay_alu instid0(VALU_DEP_1) | instskip(NEXT) | instid1(VALU_DEP_1)
	v_and_b32_e32 v2, 0xff, v2
	v_cmp_ne_u32_e32 vcc_lo, 0, v2
	s_and_b32 s6, vcc_lo, exec_lo
	s_delay_alu instid0(SALU_CYCLE_1)
	s_or_b32 s3, s3, s6
	s_or_b32 exec_lo, exec_lo, s4
	v_mov_b32_e32 v3, s5
	s_and_saveexec_b32 s4, s3
	s_cbranch_execnz .LBB19_2152
	s_branch .LBB19_2153
.LBB19_2266:
	s_trap 2
	s_sendmsg_rtn_b32 s0, sendmsg(MSG_RTN_GET_DOORBELL)
	s_mov_b32 ttmp2, m0
	s_waitcnt lgkmcnt(0)
	s_and_b32 s0, s0, 0x3ff
	s_delay_alu instid0(SALU_CYCLE_1) | instskip(NEXT) | instid1(SALU_CYCLE_1)
	s_bitset1_b32 s0, 10
	s_mov_b32 m0, s0
	s_sendmsg sendmsg(MSG_INTERRUPT)
	s_mov_b32 m0, ttmp2
.LBB19_2267:                            ; =>This Inner Loop Header: Depth=1
	s_sethalt 5
	s_branch .LBB19_2267
	.section	.rodata,"a",@progbits
	.p2align	6, 0x0
	.amdhsa_kernel _ZN2at6native32elementwise_kernel_manual_unrollILi128ELi4EZNS0_15gpu_kernel_implIZZZNS0_12_GLOBAL__N_130modified_bessel_i1_kernel_cudaERNS_18TensorIteratorBaseEENKUlvE_clEvENKUlvE0_clEvEUlfE_EEvS5_RKT_EUlibE0_EEviT1_
		.amdhsa_group_segment_fixed_size 0
		.amdhsa_private_segment_fixed_size 0
		.amdhsa_kernarg_size 360
		.amdhsa_user_sgpr_count 15
		.amdhsa_user_sgpr_dispatch_ptr 0
		.amdhsa_user_sgpr_queue_ptr 0
		.amdhsa_user_sgpr_kernarg_segment_ptr 1
		.amdhsa_user_sgpr_dispatch_id 0
		.amdhsa_user_sgpr_private_segment_size 0
		.amdhsa_wavefront_size32 1
		.amdhsa_uses_dynamic_stack 0
		.amdhsa_enable_private_segment 0
		.amdhsa_system_sgpr_workgroup_id_x 1
		.amdhsa_system_sgpr_workgroup_id_y 0
		.amdhsa_system_sgpr_workgroup_id_z 0
		.amdhsa_system_sgpr_workgroup_info 0
		.amdhsa_system_vgpr_workitem_id 0
		.amdhsa_next_free_vgpr 18
		.amdhsa_next_free_sgpr 68
		.amdhsa_reserve_vcc 1
		.amdhsa_float_round_mode_32 0
		.amdhsa_float_round_mode_16_64 0
		.amdhsa_float_denorm_mode_32 3
		.amdhsa_float_denorm_mode_16_64 3
		.amdhsa_dx10_clamp 1
		.amdhsa_ieee_mode 1
		.amdhsa_fp16_overflow 0
		.amdhsa_workgroup_processor_mode 1
		.amdhsa_memory_ordered 1
		.amdhsa_forward_progress 0
		.amdhsa_shared_vgpr_count 0
		.amdhsa_exception_fp_ieee_invalid_op 0
		.amdhsa_exception_fp_denorm_src 0
		.amdhsa_exception_fp_ieee_div_zero 0
		.amdhsa_exception_fp_ieee_overflow 0
		.amdhsa_exception_fp_ieee_underflow 0
		.amdhsa_exception_fp_ieee_inexact 0
		.amdhsa_exception_int_div_zero 0
	.end_amdhsa_kernel
	.section	.text._ZN2at6native32elementwise_kernel_manual_unrollILi128ELi4EZNS0_15gpu_kernel_implIZZZNS0_12_GLOBAL__N_130modified_bessel_i1_kernel_cudaERNS_18TensorIteratorBaseEENKUlvE_clEvENKUlvE0_clEvEUlfE_EEvS5_RKT_EUlibE0_EEviT1_,"axG",@progbits,_ZN2at6native32elementwise_kernel_manual_unrollILi128ELi4EZNS0_15gpu_kernel_implIZZZNS0_12_GLOBAL__N_130modified_bessel_i1_kernel_cudaERNS_18TensorIteratorBaseEENKUlvE_clEvENKUlvE0_clEvEUlfE_EEvS5_RKT_EUlibE0_EEviT1_,comdat
.Lfunc_end19:
	.size	_ZN2at6native32elementwise_kernel_manual_unrollILi128ELi4EZNS0_15gpu_kernel_implIZZZNS0_12_GLOBAL__N_130modified_bessel_i1_kernel_cudaERNS_18TensorIteratorBaseEENKUlvE_clEvENKUlvE0_clEvEUlfE_EEvS5_RKT_EUlibE0_EEviT1_, .Lfunc_end19-_ZN2at6native32elementwise_kernel_manual_unrollILi128ELi4EZNS0_15gpu_kernel_implIZZZNS0_12_GLOBAL__N_130modified_bessel_i1_kernel_cudaERNS_18TensorIteratorBaseEENKUlvE_clEvENKUlvE0_clEvEUlfE_EEvS5_RKT_EUlibE0_EEviT1_
                                        ; -- End function
	.section	.AMDGPU.csdata,"",@progbits
; Kernel info:
; codeLenInByte = 58712
; NumSgprs: 70
; NumVgprs: 18
; ScratchSize: 0
; MemoryBound: 1
; FloatMode: 240
; IeeeMode: 1
; LDSByteSize: 0 bytes/workgroup (compile time only)
; SGPRBlocks: 8
; VGPRBlocks: 2
; NumSGPRsForWavesPerEU: 70
; NumVGPRsForWavesPerEU: 18
; Occupancy: 16
; WaveLimiterHint : 1
; COMPUTE_PGM_RSRC2:SCRATCH_EN: 0
; COMPUTE_PGM_RSRC2:USER_SGPR: 15
; COMPUTE_PGM_RSRC2:TRAP_HANDLER: 0
; COMPUTE_PGM_RSRC2:TGID_X_EN: 1
; COMPUTE_PGM_RSRC2:TGID_Y_EN: 0
; COMPUTE_PGM_RSRC2:TGID_Z_EN: 0
; COMPUTE_PGM_RSRC2:TIDIG_COMP_CNT: 0
	.text
	.p2alignl 7, 3214868480
	.fill 96, 4, 3214868480
	.type	__hip_cuid_f20ac9b25e19e362,@object ; @__hip_cuid_f20ac9b25e19e362
	.section	.bss,"aw",@nobits
	.globl	__hip_cuid_f20ac9b25e19e362
__hip_cuid_f20ac9b25e19e362:
	.byte	0                               ; 0x0
	.size	__hip_cuid_f20ac9b25e19e362, 1

	.ident	"AMD clang version 19.0.0git (https://github.com/RadeonOpenCompute/llvm-project roc-6.4.0 25133 c7fe45cf4b819c5991fe208aaa96edf142730f1d)"
	.section	".note.GNU-stack","",@progbits
	.addrsig
	.addrsig_sym __hip_cuid_f20ac9b25e19e362
	.amdgpu_metadata
---
amdhsa.kernels:
  - .args:
      - .offset:         0
        .size:           4
        .value_kind:     by_value
      - .offset:         4
        .size:           1
        .value_kind:     by_value
      - .offset:         8
        .size:           16
        .value_kind:     by_value
    .group_segment_fixed_size: 0
    .kernarg_segment_align: 8
    .kernarg_segment_size: 24
    .language:       OpenCL C
    .language_version:
      - 2
      - 0
    .max_flat_workgroup_size: 256
    .name:           _ZN2at6native29vectorized_elementwise_kernelILi16EZZZNS0_12_GLOBAL__N_130modified_bessel_i1_kernel_cudaERNS_18TensorIteratorBaseEENKUlvE_clEvENKUlvE_clEvEUldE_St5arrayIPcLm2EEEEviT0_T1_
    .private_segment_fixed_size: 0
    .sgpr_count:     35
    .sgpr_spill_count: 0
    .symbol:         _ZN2at6native29vectorized_elementwise_kernelILi16EZZZNS0_12_GLOBAL__N_130modified_bessel_i1_kernel_cudaERNS_18TensorIteratorBaseEENKUlvE_clEvENKUlvE_clEvEUldE_St5arrayIPcLm2EEEEviT0_T1_.kd
    .uniform_work_group_size: 1
    .uses_dynamic_stack: false
    .vgpr_count:     32
    .vgpr_spill_count: 0
    .wavefront_size: 32
    .workgroup_processor_mode: 1
  - .args:
      - .offset:         0
        .size:           4
        .value_kind:     by_value
      - .offset:         4
        .size:           1
        .value_kind:     by_value
      - .offset:         8
        .size:           16
        .value_kind:     by_value
    .group_segment_fixed_size: 0
    .kernarg_segment_align: 8
    .kernarg_segment_size: 24
    .language:       OpenCL C
    .language_version:
      - 2
      - 0
    .max_flat_workgroup_size: 256
    .name:           _ZN2at6native29vectorized_elementwise_kernelILi8EZZZNS0_12_GLOBAL__N_130modified_bessel_i1_kernel_cudaERNS_18TensorIteratorBaseEENKUlvE_clEvENKUlvE_clEvEUldE_St5arrayIPcLm2EEEEviT0_T1_
    .private_segment_fixed_size: 0
    .sgpr_count:     35
    .sgpr_spill_count: 0
    .symbol:         _ZN2at6native29vectorized_elementwise_kernelILi8EZZZNS0_12_GLOBAL__N_130modified_bessel_i1_kernel_cudaERNS_18TensorIteratorBaseEENKUlvE_clEvENKUlvE_clEvEUldE_St5arrayIPcLm2EEEEviT0_T1_.kd
    .uniform_work_group_size: 1
    .uses_dynamic_stack: false
    .vgpr_count:     32
    .vgpr_spill_count: 0
    .wavefront_size: 32
    .workgroup_processor_mode: 1
  - .args:
      - .offset:         0
        .size:           4
        .value_kind:     by_value
      - .offset:         4
        .size:           1
        .value_kind:     by_value
      - .offset:         8
        .size:           16
        .value_kind:     by_value
    .group_segment_fixed_size: 0
    .kernarg_segment_align: 8
    .kernarg_segment_size: 24
    .language:       OpenCL C
    .language_version:
      - 2
      - 0
    .max_flat_workgroup_size: 256
    .name:           _ZN2at6native29vectorized_elementwise_kernelILi4EZZZNS0_12_GLOBAL__N_130modified_bessel_i1_kernel_cudaERNS_18TensorIteratorBaseEENKUlvE_clEvENKUlvE_clEvEUldE_St5arrayIPcLm2EEEEviT0_T1_
    .private_segment_fixed_size: 0
    .sgpr_count:     35
    .sgpr_spill_count: 0
    .symbol:         _ZN2at6native29vectorized_elementwise_kernelILi4EZZZNS0_12_GLOBAL__N_130modified_bessel_i1_kernel_cudaERNS_18TensorIteratorBaseEENKUlvE_clEvENKUlvE_clEvEUldE_St5arrayIPcLm2EEEEviT0_T1_.kd
    .uniform_work_group_size: 1
    .uses_dynamic_stack: false
    .vgpr_count:     32
    .vgpr_spill_count: 0
    .wavefront_size: 32
    .workgroup_processor_mode: 1
  - .args:
      - .offset:         0
        .size:           4
        .value_kind:     by_value
      - .offset:         4
        .size:           1
        .value_kind:     by_value
      - .offset:         8
        .size:           16
        .value_kind:     by_value
    .group_segment_fixed_size: 0
    .kernarg_segment_align: 8
    .kernarg_segment_size: 24
    .language:       OpenCL C
    .language_version:
      - 2
      - 0
    .max_flat_workgroup_size: 256
    .name:           _ZN2at6native29vectorized_elementwise_kernelILi2EZZZNS0_12_GLOBAL__N_130modified_bessel_i1_kernel_cudaERNS_18TensorIteratorBaseEENKUlvE_clEvENKUlvE_clEvEUldE_St5arrayIPcLm2EEEEviT0_T1_
    .private_segment_fixed_size: 0
    .sgpr_count:     35
    .sgpr_spill_count: 0
    .symbol:         _ZN2at6native29vectorized_elementwise_kernelILi2EZZZNS0_12_GLOBAL__N_130modified_bessel_i1_kernel_cudaERNS_18TensorIteratorBaseEENKUlvE_clEvENKUlvE_clEvEUldE_St5arrayIPcLm2EEEEviT0_T1_.kd
    .uniform_work_group_size: 1
    .uses_dynamic_stack: false
    .vgpr_count:     32
    .vgpr_spill_count: 0
    .wavefront_size: 32
    .workgroup_processor_mode: 1
  - .args:
      - .offset:         0
        .size:           4
        .value_kind:     by_value
      - .offset:         4
        .size:           1
        .value_kind:     by_value
      - .offset:         8
        .size:           16
        .value_kind:     by_value
      - .offset:         24
        .size:           1
        .value_kind:     by_value
      - .offset:         25
        .size:           1
        .value_kind:     by_value
      - .offset:         26
        .size:           1
        .value_kind:     by_value
      - .offset:         27
        .size:           1
        .value_kind:     by_value
    .group_segment_fixed_size: 0
    .kernarg_segment_align: 8
    .kernarg_segment_size: 28
    .language:       OpenCL C
    .language_version:
      - 2
      - 0
    .max_flat_workgroup_size: 256
    .name:           _ZN2at6native27unrolled_elementwise_kernelIZZZNS0_12_GLOBAL__N_130modified_bessel_i1_kernel_cudaERNS_18TensorIteratorBaseEENKUlvE_clEvENKUlvE_clEvEUldE_St5arrayIPcLm2EELi4E23TrivialOffsetCalculatorILi1EjESC_NS0_6memory15LoadWithoutCastENSD_16StoreWithoutCastEEEviT_T0_T2_T3_T4_T5_
    .private_segment_fixed_size: 0
    .sgpr_count:     35
    .sgpr_spill_count: 0
    .symbol:         _ZN2at6native27unrolled_elementwise_kernelIZZZNS0_12_GLOBAL__N_130modified_bessel_i1_kernel_cudaERNS_18TensorIteratorBaseEENKUlvE_clEvENKUlvE_clEvEUldE_St5arrayIPcLm2EELi4E23TrivialOffsetCalculatorILi1EjESC_NS0_6memory15LoadWithoutCastENSD_16StoreWithoutCastEEEviT_T0_T2_T3_T4_T5_.kd
    .uniform_work_group_size: 1
    .uses_dynamic_stack: false
    .vgpr_count:     32
    .vgpr_spill_count: 0
    .wavefront_size: 32
    .workgroup_processor_mode: 1
  - .args:
      - .offset:         0
        .size:           4
        .value_kind:     by_value
      - .offset:         8
        .size:           352
        .value_kind:     by_value
    .group_segment_fixed_size: 0
    .kernarg_segment_align: 8
    .kernarg_segment_size: 360
    .language:       OpenCL C
    .language_version:
      - 2
      - 0
    .max_flat_workgroup_size: 128
    .name:           _ZN2at6native32elementwise_kernel_manual_unrollILi128ELi4EZNS0_22gpu_kernel_impl_nocastIZZZNS0_12_GLOBAL__N_130modified_bessel_i1_kernel_cudaERNS_18TensorIteratorBaseEENKUlvE_clEvENKUlvE_clEvEUldE_EEvS5_RKT_EUlibE_EEviT1_
    .private_segment_fixed_size: 0
    .sgpr_count:     58
    .sgpr_spill_count: 0
    .symbol:         _ZN2at6native32elementwise_kernel_manual_unrollILi128ELi4EZNS0_22gpu_kernel_impl_nocastIZZZNS0_12_GLOBAL__N_130modified_bessel_i1_kernel_cudaERNS_18TensorIteratorBaseEENKUlvE_clEvENKUlvE_clEvEUldE_EEvS5_RKT_EUlibE_EEviT1_.kd
    .uniform_work_group_size: 1
    .uses_dynamic_stack: false
    .vgpr_count:     26
    .vgpr_spill_count: 0
    .wavefront_size: 32
    .workgroup_processor_mode: 1
  - .args:
      - .offset:         0
        .size:           4
        .value_kind:     by_value
      - .offset:         8
        .size:           32
        .value_kind:     by_value
    .group_segment_fixed_size: 0
    .kernarg_segment_align: 8
    .kernarg_segment_size: 40
    .language:       OpenCL C
    .language_version:
      - 2
      - 0
    .max_flat_workgroup_size: 128
    .name:           _ZN2at6native32elementwise_kernel_manual_unrollILi128ELi4EZNS0_15gpu_kernel_implIZZZNS0_12_GLOBAL__N_130modified_bessel_i1_kernel_cudaERNS_18TensorIteratorBaseEENKUlvE_clEvENKUlvE_clEvEUldE_EEvS5_RKT_EUlibE_EEviT1_
    .private_segment_fixed_size: 0
    .sgpr_count:     28
    .sgpr_spill_count: 0
    .symbol:         _ZN2at6native32elementwise_kernel_manual_unrollILi128ELi4EZNS0_15gpu_kernel_implIZZZNS0_12_GLOBAL__N_130modified_bessel_i1_kernel_cudaERNS_18TensorIteratorBaseEENKUlvE_clEvENKUlvE_clEvEUldE_EEvS5_RKT_EUlibE_EEviT1_.kd
    .uniform_work_group_size: 1
    .uses_dynamic_stack: false
    .vgpr_count:     23
    .vgpr_spill_count: 0
    .wavefront_size: 32
    .workgroup_processor_mode: 1
  - .args:
      - .offset:         0
        .size:           4
        .value_kind:     by_value
      - .offset:         8
        .size:           352
        .value_kind:     by_value
    .group_segment_fixed_size: 0
    .kernarg_segment_align: 8
    .kernarg_segment_size: 360
    .language:       OpenCL C
    .language_version:
      - 2
      - 0
    .max_flat_workgroup_size: 128
    .name:           _ZN2at6native32elementwise_kernel_manual_unrollILi128ELi4EZNS0_15gpu_kernel_implIZZZNS0_12_GLOBAL__N_130modified_bessel_i1_kernel_cudaERNS_18TensorIteratorBaseEENKUlvE_clEvENKUlvE_clEvEUldE_EEvS5_RKT_EUlibE0_EEviT1_
    .private_segment_fixed_size: 0
    .sgpr_count:     70
    .sgpr_spill_count: 0
    .symbol:         _ZN2at6native32elementwise_kernel_manual_unrollILi128ELi4EZNS0_15gpu_kernel_implIZZZNS0_12_GLOBAL__N_130modified_bessel_i1_kernel_cudaERNS_18TensorIteratorBaseEENKUlvE_clEvENKUlvE_clEvEUldE_EEvS5_RKT_EUlibE0_EEviT1_.kd
    .uniform_work_group_size: 1
    .uses_dynamic_stack: false
    .vgpr_count:     27
    .vgpr_spill_count: 0
    .wavefront_size: 32
    .workgroup_processor_mode: 1
  - .args:
      - .offset:         0
        .size:           4
        .value_kind:     by_value
      - .offset:         4
        .size:           1
        .value_kind:     by_value
      - .offset:         8
        .size:           16
        .value_kind:     by_value
    .group_segment_fixed_size: 0
    .kernarg_segment_align: 8
    .kernarg_segment_size: 24
    .language:       OpenCL C
    .language_version:
      - 2
      - 0
    .max_flat_workgroup_size: 256
    .name:           _ZN2at6native29vectorized_elementwise_kernelILi16EZZZNS0_12_GLOBAL__N_130modified_bessel_i1_kernel_cudaERNS_18TensorIteratorBaseEENKUlvE_clEvENKUlvE0_clEvEUlfE_St5arrayIPcLm2EEEEviT0_T1_
    .private_segment_fixed_size: 0
    .sgpr_count:     35
    .sgpr_spill_count: 0
    .symbol:         _ZN2at6native29vectorized_elementwise_kernelILi16EZZZNS0_12_GLOBAL__N_130modified_bessel_i1_kernel_cudaERNS_18TensorIteratorBaseEENKUlvE_clEvENKUlvE0_clEvEUlfE_St5arrayIPcLm2EEEEviT0_T1_.kd
    .uniform_work_group_size: 1
    .uses_dynamic_stack: false
    .vgpr_count:     32
    .vgpr_spill_count: 0
    .wavefront_size: 32
    .workgroup_processor_mode: 1
  - .args:
      - .offset:         0
        .size:           4
        .value_kind:     by_value
      - .offset:         4
        .size:           1
        .value_kind:     by_value
      - .offset:         8
        .size:           16
        .value_kind:     by_value
    .group_segment_fixed_size: 0
    .kernarg_segment_align: 8
    .kernarg_segment_size: 24
    .language:       OpenCL C
    .language_version:
      - 2
      - 0
    .max_flat_workgroup_size: 256
    .name:           _ZN2at6native29vectorized_elementwise_kernelILi8EZZZNS0_12_GLOBAL__N_130modified_bessel_i1_kernel_cudaERNS_18TensorIteratorBaseEENKUlvE_clEvENKUlvE0_clEvEUlfE_St5arrayIPcLm2EEEEviT0_T1_
    .private_segment_fixed_size: 0
    .sgpr_count:     35
    .sgpr_spill_count: 0
    .symbol:         _ZN2at6native29vectorized_elementwise_kernelILi8EZZZNS0_12_GLOBAL__N_130modified_bessel_i1_kernel_cudaERNS_18TensorIteratorBaseEENKUlvE_clEvENKUlvE0_clEvEUlfE_St5arrayIPcLm2EEEEviT0_T1_.kd
    .uniform_work_group_size: 1
    .uses_dynamic_stack: false
    .vgpr_count:     32
    .vgpr_spill_count: 0
    .wavefront_size: 32
    .workgroup_processor_mode: 1
  - .args:
      - .offset:         0
        .size:           4
        .value_kind:     by_value
      - .offset:         4
        .size:           1
        .value_kind:     by_value
      - .offset:         8
        .size:           16
        .value_kind:     by_value
    .group_segment_fixed_size: 0
    .kernarg_segment_align: 8
    .kernarg_segment_size: 24
    .language:       OpenCL C
    .language_version:
      - 2
      - 0
    .max_flat_workgroup_size: 256
    .name:           _ZN2at6native29vectorized_elementwise_kernelILi4EZZZNS0_12_GLOBAL__N_130modified_bessel_i1_kernel_cudaERNS_18TensorIteratorBaseEENKUlvE_clEvENKUlvE0_clEvEUlfE_St5arrayIPcLm2EEEEviT0_T1_
    .private_segment_fixed_size: 0
    .sgpr_count:     35
    .sgpr_spill_count: 0
    .symbol:         _ZN2at6native29vectorized_elementwise_kernelILi4EZZZNS0_12_GLOBAL__N_130modified_bessel_i1_kernel_cudaERNS_18TensorIteratorBaseEENKUlvE_clEvENKUlvE0_clEvEUlfE_St5arrayIPcLm2EEEEviT0_T1_.kd
    .uniform_work_group_size: 1
    .uses_dynamic_stack: false
    .vgpr_count:     32
    .vgpr_spill_count: 0
    .wavefront_size: 32
    .workgroup_processor_mode: 1
  - .args:
      - .offset:         0
        .size:           4
        .value_kind:     by_value
      - .offset:         4
        .size:           1
        .value_kind:     by_value
      - .offset:         8
        .size:           16
        .value_kind:     by_value
    .group_segment_fixed_size: 0
    .kernarg_segment_align: 8
    .kernarg_segment_size: 24
    .language:       OpenCL C
    .language_version:
      - 2
      - 0
    .max_flat_workgroup_size: 256
    .name:           _ZN2at6native29vectorized_elementwise_kernelILi2EZZZNS0_12_GLOBAL__N_130modified_bessel_i1_kernel_cudaERNS_18TensorIteratorBaseEENKUlvE_clEvENKUlvE0_clEvEUlfE_St5arrayIPcLm2EEEEviT0_T1_
    .private_segment_fixed_size: 0
    .sgpr_count:     35
    .sgpr_spill_count: 0
    .symbol:         _ZN2at6native29vectorized_elementwise_kernelILi2EZZZNS0_12_GLOBAL__N_130modified_bessel_i1_kernel_cudaERNS_18TensorIteratorBaseEENKUlvE_clEvENKUlvE0_clEvEUlfE_St5arrayIPcLm2EEEEviT0_T1_.kd
    .uniform_work_group_size: 1
    .uses_dynamic_stack: false
    .vgpr_count:     32
    .vgpr_spill_count: 0
    .wavefront_size: 32
    .workgroup_processor_mode: 1
  - .args:
      - .offset:         0
        .size:           4
        .value_kind:     by_value
      - .offset:         4
        .size:           1
        .value_kind:     by_value
      - .offset:         8
        .size:           16
        .value_kind:     by_value
      - .offset:         24
        .size:           1
        .value_kind:     by_value
      - .offset:         25
        .size:           1
        .value_kind:     by_value
      - .offset:         26
        .size:           1
        .value_kind:     by_value
      - .offset:         27
        .size:           1
        .value_kind:     by_value
    .group_segment_fixed_size: 0
    .kernarg_segment_align: 8
    .kernarg_segment_size: 28
    .language:       OpenCL C
    .language_version:
      - 2
      - 0
    .max_flat_workgroup_size: 256
    .name:           _ZN2at6native27unrolled_elementwise_kernelIZZZNS0_12_GLOBAL__N_130modified_bessel_i1_kernel_cudaERNS_18TensorIteratorBaseEENKUlvE_clEvENKUlvE0_clEvEUlfE_St5arrayIPcLm2EELi4E23TrivialOffsetCalculatorILi1EjESC_NS0_6memory15LoadWithoutCastENSD_16StoreWithoutCastEEEviT_T0_T2_T3_T4_T5_
    .private_segment_fixed_size: 0
    .sgpr_count:     35
    .sgpr_spill_count: 0
    .symbol:         _ZN2at6native27unrolled_elementwise_kernelIZZZNS0_12_GLOBAL__N_130modified_bessel_i1_kernel_cudaERNS_18TensorIteratorBaseEENKUlvE_clEvENKUlvE0_clEvEUlfE_St5arrayIPcLm2EELi4E23TrivialOffsetCalculatorILi1EjESC_NS0_6memory15LoadWithoutCastENSD_16StoreWithoutCastEEEviT_T0_T2_T3_T4_T5_.kd
    .uniform_work_group_size: 1
    .uses_dynamic_stack: false
    .vgpr_count:     32
    .vgpr_spill_count: 0
    .wavefront_size: 32
    .workgroup_processor_mode: 1
  - .args:
      - .offset:         0
        .size:           4
        .value_kind:     by_value
      - .offset:         8
        .size:           352
        .value_kind:     by_value
    .group_segment_fixed_size: 0
    .kernarg_segment_align: 8
    .kernarg_segment_size: 360
    .language:       OpenCL C
    .language_version:
      - 2
      - 0
    .max_flat_workgroup_size: 128
    .name:           _ZN2at6native32elementwise_kernel_manual_unrollILi128ELi4EZNS0_22gpu_kernel_impl_nocastIZZZNS0_12_GLOBAL__N_130modified_bessel_i1_kernel_cudaERNS_18TensorIteratorBaseEENKUlvE_clEvENKUlvE0_clEvEUlfE_EEvS5_RKT_EUlibE_EEviT1_
    .private_segment_fixed_size: 0
    .sgpr_count:     58
    .sgpr_spill_count: 0
    .symbol:         _ZN2at6native32elementwise_kernel_manual_unrollILi128ELi4EZNS0_22gpu_kernel_impl_nocastIZZZNS0_12_GLOBAL__N_130modified_bessel_i1_kernel_cudaERNS_18TensorIteratorBaseEENKUlvE_clEvENKUlvE0_clEvEUlfE_EEvS5_RKT_EUlibE_EEviT1_.kd
    .uniform_work_group_size: 1
    .uses_dynamic_stack: false
    .vgpr_count:     18
    .vgpr_spill_count: 0
    .wavefront_size: 32
    .workgroup_processor_mode: 1
  - .args:
      - .offset:         0
        .size:           4
        .value_kind:     by_value
      - .offset:         8
        .size:           32
        .value_kind:     by_value
    .group_segment_fixed_size: 0
    .kernarg_segment_align: 8
    .kernarg_segment_size: 40
    .language:       OpenCL C
    .language_version:
      - 2
      - 0
    .max_flat_workgroup_size: 128
    .name:           _ZN2at6native32elementwise_kernel_manual_unrollILi128ELi4EZNS0_15gpu_kernel_implIZZZNS0_12_GLOBAL__N_130modified_bessel_i1_kernel_cudaERNS_18TensorIteratorBaseEENKUlvE_clEvENKUlvE0_clEvEUlfE_EEvS5_RKT_EUlibE_EEviT1_
    .private_segment_fixed_size: 0
    .sgpr_count:     26
    .sgpr_spill_count: 0
    .symbol:         _ZN2at6native32elementwise_kernel_manual_unrollILi128ELi4EZNS0_15gpu_kernel_implIZZZNS0_12_GLOBAL__N_130modified_bessel_i1_kernel_cudaERNS_18TensorIteratorBaseEENKUlvE_clEvENKUlvE0_clEvEUlfE_EEvS5_RKT_EUlibE_EEviT1_.kd
    .uniform_work_group_size: 1
    .uses_dynamic_stack: false
    .vgpr_count:     15
    .vgpr_spill_count: 0
    .wavefront_size: 32
    .workgroup_processor_mode: 1
  - .args:
      - .offset:         0
        .size:           4
        .value_kind:     by_value
      - .offset:         8
        .size:           352
        .value_kind:     by_value
    .group_segment_fixed_size: 0
    .kernarg_segment_align: 8
    .kernarg_segment_size: 360
    .language:       OpenCL C
    .language_version:
      - 2
      - 0
    .max_flat_workgroup_size: 128
    .name:           _ZN2at6native32elementwise_kernel_manual_unrollILi128ELi4EZNS0_15gpu_kernel_implIZZZNS0_12_GLOBAL__N_130modified_bessel_i1_kernel_cudaERNS_18TensorIteratorBaseEENKUlvE_clEvENKUlvE0_clEvEUlfE_EEvS5_RKT_EUlibE0_EEviT1_
    .private_segment_fixed_size: 0
    .sgpr_count:     70
    .sgpr_spill_count: 0
    .symbol:         _ZN2at6native32elementwise_kernel_manual_unrollILi128ELi4EZNS0_15gpu_kernel_implIZZZNS0_12_GLOBAL__N_130modified_bessel_i1_kernel_cudaERNS_18TensorIteratorBaseEENKUlvE_clEvENKUlvE0_clEvEUlfE_EEvS5_RKT_EUlibE0_EEviT1_.kd
    .uniform_work_group_size: 1
    .uses_dynamic_stack: false
    .vgpr_count:     18
    .vgpr_spill_count: 0
    .wavefront_size: 32
    .workgroup_processor_mode: 1
amdhsa.target:   amdgcn-amd-amdhsa--gfx1100
amdhsa.version:
  - 1
  - 2
...

	.end_amdgpu_metadata
